;; amdgpu-corpus repo=ggml-org/llama.cpp kind=compiled arch=gfx1100 opt=O3
	.text
	.amdgcn_target "amdgcn-amd-amdhsa--gfx1100"
	.amdhsa_code_object_version 6
	.section	.text._ZL15flash_attn_tileILi576ELi512ELi2ELi16ELb0EEvPKcS1_S1_S1_S1_PKiPfP15HIP_vector_typeIfLj2EEffffjfiS5_IjLj3EEiiiiiiiiiiiliiliiiiil,"axG",@progbits,_ZL15flash_attn_tileILi576ELi512ELi2ELi16ELb0EEvPKcS1_S1_S1_S1_PKiPfP15HIP_vector_typeIfLj2EEffffjfiS5_IjLj3EEiiiiiiiiiiiliiliiiiil,comdat
	.globl	_ZL15flash_attn_tileILi576ELi512ELi2ELi16ELb0EEvPKcS1_S1_S1_S1_PKiPfP15HIP_vector_typeIfLj2EEffffjfiS5_IjLj3EEiiiiiiiiiiiliiliiiiil ; -- Begin function _ZL15flash_attn_tileILi576ELi512ELi2ELi16ELb0EEvPKcS1_S1_S1_S1_PKiPfP15HIP_vector_typeIfLj2EEffffjfiS5_IjLj3EEiiiiiiiiiiiliiliiiiil
	.p2align	8
	.type	_ZL15flash_attn_tileILi576ELi512ELi2ELi16ELb0EEvPKcS1_S1_S1_S1_PKiPfP15HIP_vector_typeIfLj2EEffffjfiS5_IjLj3EEiiiiiiiiiiiliiliiiiil,@function
_ZL15flash_attn_tileILi576ELi512ELi2ELi16ELb0EEvPKcS1_S1_S1_S1_PKiPfP15HIP_vector_typeIfLj2EEffffjfiS5_IjLj3EEiiiiiiiiiiiliiliiiiil: ; @_ZL15flash_attn_tileILi576ELi512ELi2ELi16ELb0EEvPKcS1_S1_S1_S1_PKiPfP15HIP_vector_typeIfLj2EEffffjfiS5_IjLj3EEiiiiiiiiiiiliiliiiiil
; %bb.0:
	s_clause 0x1
	s_load_b128 s[4:7], s[0:1], 0x5c
	s_load_b64 s[34:35], s[0:1], 0x80
	s_mov_b64 s[36:37], 0
	s_waitcnt lgkmcnt(0)
	s_ashr_i32 s2, s7, 31
	s_delay_alu instid0(SALU_CYCLE_1) | instskip(NEXT) | instid1(SALU_CYCLE_1)
	s_lshr_b32 s2, s2, 28
	s_add_i32 s2, s7, s2
	s_delay_alu instid0(SALU_CYCLE_1) | instskip(NEXT) | instid1(SALU_CYCLE_1)
	s_ashr_i32 s2, s2, 4
	v_cvt_f32_u32_e32 v1, s2
	s_sub_i32 s8, 0, s2
	s_delay_alu instid0(VALU_DEP_1) | instskip(SKIP_2) | instid1(VALU_DEP_1)
	v_rcp_iflag_f32_e32 v1, v1
	s_waitcnt_depctr 0xfff
	v_mul_f32_e32 v1, 0x4f7ffffe, v1
	v_cvt_u32_f32_e32 v1, v1
	s_delay_alu instid0(VALU_DEP_1) | instskip(NEXT) | instid1(VALU_DEP_1)
	v_readfirstlane_b32 s3, v1
	s_mul_i32 s8, s8, s3
	s_delay_alu instid0(SALU_CYCLE_1) | instskip(NEXT) | instid1(SALU_CYCLE_1)
	s_mul_hi_u32 s8, s3, s8
	s_add_i32 s3, s3, s8
	s_delay_alu instid0(SALU_CYCLE_1) | instskip(NEXT) | instid1(SALU_CYCLE_1)
	s_mul_hi_u32 s3, s15, s3
	s_mul_i32 s8, s3, s2
	s_add_i32 s9, s3, 1
	s_sub_i32 s8, s15, s8
	s_delay_alu instid0(SALU_CYCLE_1)
	s_sub_i32 s10, s8, s2
	s_cmp_ge_u32 s8, s2
	s_cselect_b32 s3, s9, s3
	s_cselect_b32 s8, s10, s8
	s_add_i32 s9, s3, 1
	s_cmp_ge_u32 s8, s2
	s_cselect_b32 s33, s9, s3
	s_abs_i32 s2, s35
	s_abs_i32 s11, s7
	v_cvt_f32_u32_e32 v1, s2
	s_sub_i32 s8, 0, s2
	s_lshl_b32 s9, s15, 4
	s_mul_i32 s10, s33, s7
	s_delay_alu instid0(VALU_DEP_1) | instskip(SKIP_3) | instid1(VALU_DEP_1)
	v_rcp_iflag_f32_e32 v1, v1
	s_sub_i32 s12, s9, s10
	s_waitcnt_depctr 0xfff
	v_mul_f32_e32 v1, 0x4f7ffffe, v1
	v_cvt_u32_f32_e32 v1, v1
	s_delay_alu instid0(VALU_DEP_1) | instskip(NEXT) | instid1(VALU_DEP_1)
	v_readfirstlane_b32 s3, v1
	s_mul_i32 s8, s8, s3
	s_delay_alu instid0(SALU_CYCLE_1) | instskip(NEXT) | instid1(SALU_CYCLE_1)
	s_mul_hi_u32 s8, s3, s8
	s_add_i32 s3, s3, s8
	s_xor_b32 s8, s7, s35
	s_mul_hi_u32 s3, s11, s3
	s_ashr_i32 s8, s8, 31
	s_mul_i32 s9, s3, s2
	s_add_i32 s10, s3, 1
	s_sub_i32 s9, s11, s9
	s_delay_alu instid0(SALU_CYCLE_1)
	s_sub_i32 s11, s9, s2
	s_cmp_ge_u32 s9, s2
	s_cselect_b32 s3, s10, s3
	s_cselect_b32 s9, s11, s9
	s_add_i32 s10, s3, 1
	s_cmp_ge_u32 s9, s2
	s_cselect_b32 s2, s10, s3
	s_delay_alu instid0(SALU_CYCLE_1) | instskip(NEXT) | instid1(SALU_CYCLE_1)
	s_xor_b32 s2, s2, s8
	s_sub_i32 s15, s2, s8
	s_clause 0x1
	s_load_b512 s[16:31], s[0:1], 0x0
	s_load_b64 s[2:3], s[0:1], 0xb8
	s_abs_i32 s35, s15
	s_delay_alu instid0(SALU_CYCLE_1) | instskip(NEXT) | instid1(VALU_DEP_1)
	v_cvt_f32_u32_e32 v1, s35
	v_rcp_iflag_f32_e32 v1, v1
	s_waitcnt_depctr 0xfff
	v_mul_f32_e32 v1, 0x4f7ffffe, v1
	s_waitcnt lgkmcnt(0)
	s_cmp_eq_u64 s[22:23], 0
	s_delay_alu instid0(VALU_DEP_1) | instskip(NEXT) | instid1(VALU_DEP_1)
	v_cvt_u32_f32_e32 v1, v1
	v_readfirstlane_b32 s38, v1
	s_cbranch_scc1 .LBB0_2
; %bb.1:
	s_abs_i32 s2, s2
	s_abs_i32 s10, s33
	v_cvt_f32_u32_e32 v1, s2
	s_sub_i32 s9, 0, s2
	s_delay_alu instid0(VALU_DEP_1) | instskip(SKIP_2) | instid1(VALU_DEP_1)
	v_rcp_iflag_f32_e32 v1, v1
	s_waitcnt_depctr 0xfff
	v_mul_f32_e32 v1, 0x4f7ffffe, v1
	v_cvt_u32_f32_e32 v1, v1
	s_delay_alu instid0(VALU_DEP_1) | instskip(NEXT) | instid1(VALU_DEP_1)
	v_readfirstlane_b32 s8, v1
	s_mul_i32 s9, s9, s8
	s_delay_alu instid0(SALU_CYCLE_1) | instskip(NEXT) | instid1(SALU_CYCLE_1)
	s_mul_hi_u32 s9, s8, s9
	s_add_i32 s11, s8, s9
	s_load_b64 s[8:9], s[0:1], 0xc8
	s_mul_hi_u32 s11, s10, s11
	s_delay_alu instid0(SALU_CYCLE_1) | instskip(NEXT) | instid1(SALU_CYCLE_1)
	s_mul_i32 s11, s11, s2
	s_sub_i32 s10, s10, s11
	s_ashr_i32 s11, s33, 31
	s_sub_i32 s36, s10, s2
	s_cmp_ge_u32 s10, s2
	s_cselect_b32 s10, s36, s10
	s_delay_alu instid0(SALU_CYCLE_1) | instskip(SKIP_2) | instid1(SALU_CYCLE_1)
	s_sub_i32 s36, s10, s2
	s_cmp_ge_u32 s10, s2
	s_cselect_b32 s2, s36, s10
	s_xor_b32 s2, s2, s11
	s_delay_alu instid0(SALU_CYCLE_1)
	s_sub_i32 s2, s2, s11
	s_waitcnt lgkmcnt(0)
	s_mul_i32 s9, s2, s9
	s_mul_hi_u32 s10, s2, s8
	s_ashr_i32 s11, s2, 31
	s_add_i32 s9, s10, s9
	s_mul_i32 s11, s11, s8
	s_mul_i32 s2, s2, s8
	s_add_i32 s9, s9, s11
	s_add_u32 s36, s22, s2
	s_addc_u32 s37, s23, s9
.LBB0_2:
	v_bfe_u32 v4, v0, 10, 10
	s_load_b128 s[8:11], s[0:1], 0x70
	v_and_b32_e32 v17, 0x3ff, v0
	s_delay_alu instid0(VALU_DEP_2) | instskip(SKIP_1) | instid1(VALU_DEP_2)
	v_lshrrev_b32_e32 v1, 2, v4
	v_lshlrev_b32_e32 v6, 2, v4
	v_lshl_add_u32 v16, s13, 1, v1
	s_delay_alu instid0(VALU_DEP_2) | instskip(NEXT) | instid1(VALU_DEP_2)
	v_and_b32_e32 v32, 12, v6
	v_mul_hi_u32 v1, s4, v16
	s_waitcnt lgkmcnt(0)
	s_mul_i32 s2, s33, s10
	s_mul_i32 s4, s12, s9
	s_delay_alu instid0(VALU_DEP_1) | instskip(NEXT) | instid1(VALU_DEP_1)
	v_add_nc_u32_e32 v1, v16, v1
	v_lshrrev_b32_e32 v1, s5, v1
	s_ashr_i32 s5, s2, 31
	s_add_u32 s2, s16, s2
	s_addc_u32 s5, s17, s5
	s_ashr_i32 s10, s4, 31
	v_mul_lo_u32 v1, v1, s6
	s_add_u32 s2, s2, s4
	s_addc_u32 s4, s5, s10
	s_ashr_i32 s10, s8, 31
	s_ashr_i32 s5, s9, 31
	v_alignbit_b32 v3, s10, s8, 2
	s_lshr_b32 s8, s10, 2
	s_delay_alu instid0(VALU_DEP_2) | instskip(NEXT) | instid1(VALU_DEP_1)
	v_sub_nc_u32_e32 v5, v16, v1
	v_mad_u64_u32 v[1:2], null, v3, v5, 0
	v_alignbit_b32 v3, s5, s9, 2
	s_delay_alu instid0(VALU_DEP_1) | instskip(NEXT) | instid1(VALU_DEP_3)
	v_mad_u64_u32 v[7:8], null, v3, v32, 0
	v_mad_u64_u32 v[9:10], null, s8, v5, v[2:3]
	s_lshr_b32 s8, s5, 2
	s_delay_alu instid0(VALU_DEP_1) | instskip(NEXT) | instid1(VALU_DEP_1)
	v_dual_mov_b32 v3, v8 :: v_dual_mov_b32 v2, v9
	v_mad_u64_u32 v[8:9], null, s8, v32, v[3:4]
	s_delay_alu instid0(VALU_DEP_2) | instskip(SKIP_2) | instid1(VALU_DEP_2)
	v_lshlrev_b64 v[0:1], 2, v[1:2]
	v_lshlrev_b32_e32 v2, 4, v17
	s_load_b32 s8, s[0:1], 0x40
	v_add_co_u32 v3, vcc_lo, s2, v0
	s_delay_alu instid0(VALU_DEP_3) | instskip(SKIP_1) | instid1(VALU_DEP_3)
	v_add_co_ci_u32_e32 v9, vcc_lo, s4, v1, vcc_lo
	v_lshlrev_b64 v[0:1], 2, v[7:8]
	v_add_co_u32 v2, vcc_lo, v3, v2
	s_delay_alu instid0(VALU_DEP_3) | instskip(SKIP_1) | instid1(VALU_DEP_3)
	v_add_co_ci_u32_e32 v3, vcc_lo, 0, v9, vcc_lo
	v_lshlrev_b32_e32 v7, 1, v17
	v_add_co_u32 v0, vcc_lo, v2, v0
	s_delay_alu instid0(VALU_DEP_3)
	v_add_co_ci_u32_e32 v1, vcc_lo, v3, v1, vcc_lo
	v_mul_u32_u24_e32 v8, 0x480, v4
	v_cmp_gt_u32_e32 vcc_lo, 16, v17
	s_clause 0x3
	global_load_b128 v[9:12], v[0:1], off
	global_load_b128 v[18:21], v[0:1], off offset:512
	global_load_b128 v[22:25], v[0:1], off offset:1024
	;; [unrolled: 1-line block ×3, first 2 shown]
	s_mov_b32 s4, s9
	v_add_lshl_u32 v8, v8, v7, 2
	s_lshr_b64 s[4:5], s[4:5], 2
	s_waitcnt vmcnt(3) lgkmcnt(0)
	v_fma_mixlo_f16 v13, v9, s8, 0
	v_fma_mixlo_f16 v14, v11, s8, 0
	s_waitcnt vmcnt(2)
	v_fma_mixlo_f16 v30, v18, s8, 0
	v_fma_mixlo_f16 v31, v20, s8, 0
	s_waitcnt vmcnt(1)
	;; [unrolled: 3-line block ×3, first 2 shown]
	v_fma_mixlo_f16 v35, v26, s8, 0
	v_fma_mixlo_f16 v36, v28, s8, 0
	v_fma_mixhi_f16 v14, v12, s8, 0
	v_fma_mixhi_f16 v13, v10, s8, 0
	;; [unrolled: 1-line block ×8, first 2 shown]
	ds_store_2addr_b64 v8, v[13:14], v[30:31] offset1:32
	ds_store_2addr_b64 v8, v[33:34], v[35:36] offset0:64 offset1:96
	s_and_saveexec_b32 s2, vcc_lo
	s_cbranch_execz .LBB0_4
; %bb.3:
	global_load_b128 v[9:12], v[0:1], off offset:2048
	s_waitcnt vmcnt(0)
	v_fma_mixlo_f16 v1, v11, s8, 0
	v_fma_mixlo_f16 v0, v9, s8, 0
	s_delay_alu instid0(VALU_DEP_2) | instskip(NEXT) | instid1(VALU_DEP_2)
	v_fma_mixhi_f16 v1, v12, s8, 0
	v_fma_mixhi_f16 v0, v10, s8, 0
	ds_store_b64 v8, v[0:1] offset:1024
.LBB0_4:
	s_or_b32 exec_lo, exec_lo, s2
	v_or_b32_e32 v26, 1, v6
	s_delay_alu instid0(VALU_DEP_1) | instskip(SKIP_1) | instid1(VALU_DEP_2)
	v_and_b32_e32 v10, 13, v26
	v_mul_u32_u24_e32 v26, 0x120, v26
	v_mad_u64_u32 v[0:1], null, s4, v10, 0
	s_delay_alu instid0(VALU_DEP_2) | instskip(NEXT) | instid1(VALU_DEP_2)
	v_add_lshl_u32 v7, v26, v7, 2
	v_mad_u64_u32 v[8:9], null, s5, v10, v[1:2]
	s_delay_alu instid0(VALU_DEP_1) | instskip(NEXT) | instid1(VALU_DEP_1)
	v_mov_b32_e32 v1, v8
	v_lshlrev_b64 v[0:1], 2, v[0:1]
	s_delay_alu instid0(VALU_DEP_1) | instskip(NEXT) | instid1(VALU_DEP_1)
	v_add_co_u32 v0, s2, v2, v0
	v_add_co_ci_u32_e64 v1, s2, v3, v1, s2
	s_clause 0x3
	global_load_b128 v[8:11], v[0:1], off
	global_load_b128 v[12:15], v[0:1], off offset:512
	global_load_b128 v[18:21], v[0:1], off offset:1024
	;; [unrolled: 1-line block ×3, first 2 shown]
	s_waitcnt vmcnt(3)
	v_fma_mixlo_f16 v26, v8, s8, 0
	v_fma_mixlo_f16 v27, v10, s8, 0
	s_waitcnt vmcnt(2)
	v_fma_mixlo_f16 v28, v12, s8, 0
	v_fma_mixlo_f16 v29, v14, s8, 0
	;; [unrolled: 3-line block ×4, first 2 shown]
	v_fma_mixhi_f16 v27, v11, s8, 0
	v_fma_mixhi_f16 v26, v9, s8, 0
	;; [unrolled: 1-line block ×8, first 2 shown]
	ds_store_2addr_b64 v7, v[26:27], v[28:29] offset1:32
	ds_store_2addr_b64 v7, v[30:31], v[33:34] offset0:64 offset1:96
	s_and_saveexec_b32 s2, vcc_lo
	s_cbranch_execz .LBB0_6
; %bb.5:
	global_load_b128 v[8:11], v[0:1], off offset:2048
	s_waitcnt vmcnt(0)
	v_fma_mixlo_f16 v1, v10, s8, 0
	v_fma_mixlo_f16 v0, v8, s8, 0
	s_delay_alu instid0(VALU_DEP_2) | instskip(NEXT) | instid1(VALU_DEP_2)
	v_fma_mixhi_f16 v1, v11, s8, 0
	v_fma_mixhi_f16 v0, v9, s8, 0
	ds_store_b64 v7, v[0:1] offset:1024
.LBB0_6:
	s_or_b32 exec_lo, exec_lo, s2
	v_or_b32_e32 v0, 2, v6
	s_delay_alu instid0(VALU_DEP_1) | instskip(NEXT) | instid1(VALU_DEP_1)
	v_and_b32_e32 v10, 14, v0
	v_mad_u64_u32 v[0:1], null, s4, v10, 0
	s_delay_alu instid0(VALU_DEP_1) | instskip(NEXT) | instid1(VALU_DEP_1)
	v_mad_u64_u32 v[8:9], null, s5, v10, v[1:2]
	v_mov_b32_e32 v1, v8
	s_delay_alu instid0(VALU_DEP_1) | instskip(NEXT) | instid1(VALU_DEP_1)
	v_lshlrev_b64 v[0:1], 2, v[0:1]
	v_add_co_u32 v0, s2, v2, v0
	s_delay_alu instid0(VALU_DEP_1)
	v_add_co_ci_u32_e64 v1, s2, v3, v1, s2
	s_clause 0x3
	global_load_b128 v[8:11], v[0:1], off
	global_load_b128 v[12:15], v[0:1], off offset:512
	global_load_b128 v[18:21], v[0:1], off offset:1024
	;; [unrolled: 1-line block ×3, first 2 shown]
	s_waitcnt vmcnt(3)
	v_fma_mixlo_f16 v26, v8, s8, 0
	v_fma_mixlo_f16 v27, v10, s8, 0
	s_waitcnt vmcnt(2)
	v_fma_mixlo_f16 v28, v12, s8, 0
	v_fma_mixlo_f16 v29, v14, s8, 0
	;; [unrolled: 3-line block ×4, first 2 shown]
	v_fma_mixhi_f16 v27, v11, s8, 0
	v_fma_mixhi_f16 v26, v9, s8, 0
	;; [unrolled: 1-line block ×8, first 2 shown]
	ds_store_2addr_b64 v7, v[26:27], v[28:29] offset0:144 offset1:176
	ds_store_2addr_b64 v7, v[30:31], v[33:34] offset0:208 offset1:240
	s_and_saveexec_b32 s2, vcc_lo
	s_cbranch_execz .LBB0_8
; %bb.7:
	global_load_b128 v[8:11], v[0:1], off offset:2048
	s_waitcnt vmcnt(0)
	v_fma_mixlo_f16 v1, v10, s8, 0
	v_fma_mixlo_f16 v0, v8, s8, 0
	s_delay_alu instid0(VALU_DEP_2) | instskip(NEXT) | instid1(VALU_DEP_2)
	v_fma_mixhi_f16 v1, v11, s8, 0
	v_fma_mixhi_f16 v0, v9, s8, 0
	ds_store_b64 v7, v[0:1] offset:2176
.LBB0_8:
	s_or_b32 exec_lo, exec_lo, s2
	v_or_b32_e32 v0, 3, v6
	v_add_nc_u32_e32 v33, 0x800, v7
	s_delay_alu instid0(VALU_DEP_2) | instskip(NEXT) | instid1(VALU_DEP_1)
	v_and_b32_e32 v10, 15, v0
	v_mad_u64_u32 v[0:1], null, s4, v10, 0
	s_delay_alu instid0(VALU_DEP_1) | instskip(NEXT) | instid1(VALU_DEP_1)
	v_mad_u64_u32 v[8:9], null, s5, v10, v[1:2]
	v_mov_b32_e32 v1, v8
	s_delay_alu instid0(VALU_DEP_1) | instskip(NEXT) | instid1(VALU_DEP_1)
	v_lshlrev_b64 v[0:1], 2, v[0:1]
	v_add_co_u32 v0, s2, v2, v0
	s_delay_alu instid0(VALU_DEP_1)
	v_add_co_ci_u32_e64 v1, s2, v3, v1, s2
	s_clause 0x3
	global_load_b128 v[8:11], v[0:1], off
	global_load_b128 v[12:15], v[0:1], off offset:512
	global_load_b128 v[18:21], v[0:1], off offset:1024
	;; [unrolled: 1-line block ×3, first 2 shown]
	s_waitcnt vmcnt(3)
	v_fma_mixlo_f16 v2, v8, s8, 0
	v_fma_mixlo_f16 v3, v10, s8, 0
	s_waitcnt vmcnt(2)
	v_fma_mixlo_f16 v26, v12, s8, 0
	v_fma_mixlo_f16 v27, v14, s8, 0
	;; [unrolled: 3-line block ×4, first 2 shown]
	v_fma_mixhi_f16 v3, v11, s8, 0
	v_fma_mixhi_f16 v2, v9, s8, 0
	;; [unrolled: 1-line block ×8, first 2 shown]
	ds_store_2addr_b64 v33, v[2:3], v[26:27] offset0:32 offset1:64
	ds_store_2addr_b64 v33, v[28:29], v[30:31] offset0:96 offset1:128
	s_and_saveexec_b32 s2, vcc_lo
	s_cbranch_execz .LBB0_10
; %bb.9:
	global_load_b128 v[0:3], v[0:1], off offset:2048
	s_waitcnt vmcnt(0)
	v_fma_mixlo_f16 v9, v2, s8, 0
	v_fma_mixlo_f16 v8, v0, s8, 0
	s_delay_alu instid0(VALU_DEP_2) | instskip(NEXT) | instid1(VALU_DEP_2)
	v_fma_mixhi_f16 v9, v3, s8, 0
	v_fma_mixhi_f16 v8, v1, s8, 0
	ds_store_b64 v7, v[8:9] offset:3328
.LBB0_10:
	s_or_b32 exec_lo, exec_lo, s2
	s_cmp_eq_u64 s[26:27], 0
	s_waitcnt lgkmcnt(0)
	s_barrier
	buffer_gl0_inv
	s_cbranch_scc1 .LBB0_12
; %bb.11:
	s_load_b32 s2, s[0:1], 0xd0
	s_mov_b32 s5, 0
	s_waitcnt lgkmcnt(0)
	s_mul_i32 s2, s2, s33
	s_delay_alu instid0(SALU_CYCLE_1) | instskip(NEXT) | instid1(SALU_CYCLE_1)
	s_add_i32 s4, s2, s13
	s_lshl_b64 s[4:5], s[4:5], 2
	s_delay_alu instid0(SALU_CYCLE_1)
	s_add_u32 s4, s26, s4
	s_addc_u32 s5, s27, s5
	s_load_b32 s34, s[4:5], 0x0
.LBB0_12:
	v_lshlrev_b32_e32 v31, 2, v17
	v_mbcnt_lo_u32_b32 v33, -1, 0
	s_lshl_b32 s13, s14, 7
	s_waitcnt lgkmcnt(0)
	s_cmp_lt_i32 s13, s34
	s_cbranch_scc1 .LBB0_14
; %bb.13:
	v_mbcnt_lo_u32_b32 v8, -1, 0
	v_mov_b32_e32 v7, 32
	s_mov_b32 s2, 0
	s_mov_b32 s4, 0xfeffffff
	s_delay_alu instid0(VALU_DEP_2)
	v_xor_b32_e32 v12, 16, v8
	v_xor_b32_e32 v13, 8, v8
	;; [unrolled: 1-line block ×5, first 2 shown]
	s_branch .LBB0_15
.LBB0_14:
	s_mov_b32 s2, -1
                                        ; implicit-def: $sgpr4
                                        ; implicit-def: $vgpr8
                                        ; implicit-def: $vgpr7
                                        ; implicit-def: $vgpr12
                                        ; implicit-def: $vgpr13
                                        ; implicit-def: $vgpr14
                                        ; implicit-def: $vgpr15
                                        ; implicit-def: $vgpr55
.LBB0_15:
	s_delay_alu instid0(SALU_CYCLE_1) | instskip(SKIP_2) | instid1(VALU_DEP_3)
	v_cndmask_b32_e64 v0, 0, 1, s2
	v_dual_mov_b32 v3, s4 :: v_dual_mov_b32 v76, s2
	v_dual_mov_b32 v72, s2 :: v_dual_mov_b32 v1, s4
	v_cmp_ne_u32_e32 vcc_lo, 1, v0
	v_dual_mov_b32 v2, s4 :: v_dual_mov_b32 v79, s2
	v_dual_mov_b32 v0, s4 :: v_dual_mov_b32 v77, s2
	;; [unrolled: 1-line block ×18, first 2 shown]
	s_cbranch_vccnz .LBB0_24
; %bb.16:
	s_clause 0x1
	s_load_b128 s[8:11], s[0:1], 0x98
	s_load_b64 s[4:5], s[0:1], 0x8c
	s_sub_i32 s2, 0, s35
	s_abs_i32 s22, s12
	s_mul_i32 s2, s2, s38
	s_ashr_i32 s26, s15, 31
	s_mul_hi_u32 s2, s38, s2
	s_ashr_i32 s27, s33, 31
	s_add_i32 s38, s38, s2
	s_ashr_i32 s2, s3, 1
	s_mul_hi_u32 s3, s22, s38
	s_ashr_i32 s23, s12, 31
	s_load_b64 s[16:17], s[0:1], 0xa8
	s_mul_i32 s38, s3, s35
	v_lshrrev_b32_e32 v0, 3, v17
	v_mov_b32_e32 v48, 0
	v_dual_mov_b32 v47, 0 :: v_dual_and_b32 v12, 28, v31
	v_dual_mov_b32 v58, 0 :: v_dual_lshlrev_b32 v11, 10, v4
	s_waitcnt lgkmcnt(0)
	s_mul_i32 s39, s27, s8
	s_ashr_i32 s15, s4, 2
	s_mul_i32 s4, s33, s9
	s_mul_hi_u32 s9, s33, s8
	s_mul_i32 s8, s33, s8
	s_add_i32 s4, s9, s4
	s_ashr_i32 s10, s10, 2
	s_add_i32 s4, s4, s39
	s_add_u32 s8, s18, s8
	s_addc_u32 s4, s19, s4
	s_sub_i32 s18, s22, s38
	s_xor_b32 s9, s23, s26
	s_add_i32 s19, s3, 1
	s_sub_i32 s22, s18, s35
	s_cmp_ge_u32 s18, s35
	v_add_nc_u32_e32 v1, v0, v6
	s_cselect_b32 s3, s19, s3
	s_cselect_b32 s18, s22, s18
	s_add_i32 s19, s3, 1
	s_cmp_ge_u32 s18, s35
	s_mul_i32 s17, s33, s17
	s_cselect_b32 s3, s19, s3
	s_mul_hi_u32 s18, s33, s16
	s_xor_b32 s3, s3, s9
	s_mul_i32 s27, s27, s16
	s_sub_i32 s3, s3, s9
	v_mul_lo_u32 v0, s15, v1
	s_mul_i32 s5, s3, s5
	s_mul_i32 s16, s33, s16
	s_ashr_i32 s9, s5, 31
	s_add_u32 s8, s8, s5
	s_addc_u32 s9, s4, s9
	s_add_i32 s4, s18, s17
	s_mul_i32 s3, s3, s11
	s_add_i32 s4, s4, s27
	s_add_u32 s5, s20, s16
	s_addc_u32 s4, s21, s4
	s_ashr_i32 s16, s3, 31
	s_add_u32 s11, s5, s3
	s_addc_u32 s16, s4, s16
	s_lshl_b32 s3, s15, 5
	v_mul_lo_u32 v10, s10, v4
	v_dual_mov_b32 v91, 0xfeffffff :: v_dual_add_nc_u32 v2, s3, v0
	v_dual_mov_b32 v52, 0 :: v_dual_lshlrev_b32 v3, 2, v12
	v_mul_u32_u24_e32 v39, 0x1200, v4
	s_delay_alu instid0(VALU_DEP_3) | instskip(NEXT) | instid1(VALU_DEP_3)
	v_dual_mov_b32 v51, 0 :: v_dual_add_nc_u32 v6, s3, v2
	v_mad_u32_u24 v9, 0x90, v1, v3
	v_lshl_add_u32 v4, s10, 3, v10
	v_ashrrev_i32_e32 v1, 31, v0
	s_delay_alu instid0(VALU_DEP_4) | instskip(NEXT) | instid1(VALU_DEP_4)
	v_dual_mov_b32 v53, 0 :: v_dual_add_nc_u32 v8, s3, v6
	v_dual_mov_b32 v49, 0 :: v_dual_add_nc_u32 v34, 0x9000, v9
	;; [unrolled: 1-line block ×3, first 2 shown]
	v_ashrrev_i32_e32 v3, 31, v2
	v_dual_mov_b32 v57, 0 :: v_dual_add_nc_u32 v36, 0xb400, v9
	v_ashrrev_i32_e32 v7, 31, v6
	v_dual_mov_b32 v54, 0 :: v_dual_add_nc_u32 v37, 0xc600, v9
	v_ashrrev_i32_e32 v9, 31, v8
	v_lshl_add_u32 v13, v31, 2, v11
	v_mad_u64_u32 v[18:19], null, v5, s2, v[17:18]
	v_dual_mov_b32 v61, 0 :: v_dual_add_nc_u32 v40, 0xd800, v11
	v_ashrrev_i32_e32 v11, 31, v10
	v_ashrrev_i32_e32 v5, 31, v4
	v_lshlrev_b64 v[19:20], 2, v[0:1]
	v_lshlrev_b64 v[21:22], 2, v[2:3]
	;; [unrolled: 1-line block ×6, first 2 shown]
	v_mul_u32_u24_e32 v38, 0x90, v17
	v_dual_mov_b32 v62, 0 :: v_dual_lshlrev_b32 v41, 3, v17
	v_dual_mov_b32 v59, 0 :: v_dual_add_nc_u32 v42, 0x9000, v13
	v_dual_mov_b32 v60, 0 :: v_dual_add_nc_u32 v43, 0x9200, v13
	;; [unrolled: 1-line block ×4, first 2 shown]
	v_dual_mov_b32 v65, 0 :: v_dual_lshlrev_b32 v46, 2, v12
	v_dual_mov_b32 v66, 0 :: v_dual_mov_b32 v69, 0
	v_dual_mov_b32 v67, 0 :: v_dual_mov_b32 v70, 0
	;; [unrolled: 1-line block ×11, first 2 shown]
	s_add_u32 s2, s0, 0xd0
	s_addc_u32 s3, s1, 0
	s_mov_b32 s5, 0
.LBB0_17:                               ; =>This Loop Header: Depth=1
                                        ;     Child Loop BB0_19 Depth 2
	s_mul_hi_i32 s19, s13, s15
	s_mul_i32 s18, s13, s15
	v_dual_mov_b32 v76, 0 :: v_dual_mov_b32 v79, 0
	s_lshl_b64 s[18:19], s[18:19], 2
	v_dual_mov_b32 v55, 0 :: v_dual_mov_b32 v78, 0
	v_dual_mov_b32 v99, 0 :: v_dual_mov_b32 v96, 0
	;; [unrolled: 1-line block ×7, first 2 shown]
	s_add_u32 s17, s8, s18
	s_addc_u32 s18, s9, s19
	s_mov_b32 s19, s5
	s_branch .LBB0_19
.LBB0_18:                               ;   in Loop: Header=BB0_19 Depth=2
	s_and_b32 vcc_lo, exec_lo, s4
	s_addk_i32 s19, 0xc0
	s_cbranch_vccnz .LBB0_21
.LBB0_19:                               ;   Parent Loop BB0_17 Depth=1
                                        ; =>  This Inner Loop Header: Depth=2
	s_lshr_b32 s4, s19, 1
	s_delay_alu instid0(SALU_CYCLE_1) | instskip(NEXT) | instid1(SALU_CYCLE_1)
	s_lshl_b64 s[20:21], s[4:5], 2
	s_add_u32 s4, s17, s20
	s_addc_u32 s20, s18, s21
	v_add_co_u32 v0, vcc_lo, s4, v19
	v_add_co_ci_u32_e32 v1, vcc_lo, s20, v20, vcc_lo
	v_add_co_u32 v2, vcc_lo, s4, v21
	v_add_co_ci_u32_e32 v3, vcc_lo, s20, v22, vcc_lo
	s_delay_alu instid0(VALU_DEP_4) | instskip(NEXT) | instid1(VALU_DEP_4)
	v_add_co_u32 v0, vcc_lo, v0, v46
	v_add_co_ci_u32_e32 v1, vcc_lo, 0, v1, vcc_lo
	s_delay_alu instid0(VALU_DEP_4) | instskip(NEXT) | instid1(VALU_DEP_4)
	v_add_co_u32 v4, vcc_lo, v2, v46
	v_add_co_ci_u32_e32 v5, vcc_lo, 0, v3, vcc_lo
	v_add_co_u32 v2, vcc_lo, s4, v23
	v_add_co_ci_u32_e32 v3, vcc_lo, s20, v24, vcc_lo
	;; [unrolled: 2-line block ×3, first 2 shown]
	s_delay_alu instid0(VALU_DEP_4) | instskip(NEXT) | instid1(VALU_DEP_4)
	v_add_co_u32 v8, vcc_lo, v2, v46
	v_add_co_ci_u32_e32 v9, vcc_lo, 0, v3, vcc_lo
	s_delay_alu instid0(VALU_DEP_4) | instskip(NEXT) | instid1(VALU_DEP_4)
	v_add_co_u32 v12, vcc_lo, v6, v46
	v_add_co_ci_u32_e32 v13, vcc_lo, 0, v7, vcc_lo
	s_clause 0x3
	global_load_b128 v[0:3], v[0:1], off
	global_load_b128 v[4:7], v[4:5], off
	;; [unrolled: 1-line block ×4, first 2 shown]
	s_lshl_b32 s20, s19, 1
	s_add_i32 s21, s19, 64
	v_add_nc_u32_e32 v90, s20, v39
	v_add3_u32 v120, s20, 16, v39
	v_add3_u32 v126, 0x70, s20, v39
	s_lshr_b32 s4, s21, 1
	s_waitcnt vmcnt(3)
	ds_store_b128 v34, v[0:3]
	s_waitcnt vmcnt(2)
	ds_store_b128 v35, v[4:7]
	;; [unrolled: 2-line block ×4, first 2 shown]
	s_waitcnt lgkmcnt(0)
	s_barrier
	buffer_gl0_inv
	ds_load_b128 v[0:3], v38 offset:36864
	ds_load_b128 v[4:7], v90
	ds_load_b128 v[8:11], v90 offset:1152
	ds_load_b128 v[12:15], v90 offset:2304
	;; [unrolled: 1-line block ×6, first 2 shown]
	s_lshl_b64 s[22:23], s[4:5], 2
	s_waitcnt lgkmcnt(6)
	;;#ASMSTART
	v_dot2_f32_f16 v76, v0, v4, v76
	;;#ASMEND
	;;#ASMSTART
	v_dot2_f32_f16 v76, v1, v5, v76
	;;#ASMEND
	;;#ASMSTART
	v_dot2_f32_f16 v76, v2, v6, v76
	;;#ASMEND
	;;#ASMSTART
	v_dot2_f32_f16 v76, v3, v7, v76
	;;#ASMEND
	s_waitcnt lgkmcnt(5)
	;;#ASMSTART
	v_dot2_f32_f16 v79, v0, v8, v79
	;;#ASMEND
	;;#ASMSTART
	v_dot2_f32_f16 v79, v1, v9, v79
	;;#ASMEND
	;;#ASMSTART
	v_dot2_f32_f16 v79, v2, v10, v79
	;;#ASMEND
	;;#ASMSTART
	v_dot2_f32_f16 v79, v3, v11, v79
	;;#ASMEND
	;; [unrolled: 13-line block ×5, first 2 shown]
	;;#ASMSTART
	v_dot2_f32_f16 v97, v108, v8, v97
	;;#ASMEND
	;;#ASMSTART
	v_dot2_f32_f16 v97, v109, v9, v97
	;;#ASMEND
	;;#ASMSTART
	v_dot2_f32_f16 v97, v110, v10, v97
	;;#ASMEND
	;;#ASMSTART
	v_dot2_f32_f16 v97, v111, v11, v97
	;;#ASMEND
	;;#ASMSTART
	v_dot2_f32_f16 v96, v108, v12, v96
	;;#ASMEND
	;;#ASMSTART
	v_dot2_f32_f16 v96, v109, v13, v96
	;;#ASMEND
	;;#ASMSTART
	v_dot2_f32_f16 v96, v110, v14, v96
	;;#ASMEND
	;;#ASMSTART
	v_dot2_f32_f16 v96, v111, v15, v96
	;;#ASMEND
	;;#ASMSTART
	v_dot2_f32_f16 v84, v108, v104, v84
	;;#ASMEND
	;;#ASMSTART
	v_dot2_f32_f16 v84, v109, v105, v84
	;;#ASMEND
	;;#ASMSTART
	v_dot2_f32_f16 v84, v110, v106, v84
	;;#ASMEND
	;;#ASMSTART
	v_dot2_f32_f16 v84, v111, v107, v84
	;;#ASMEND
	s_waitcnt lgkmcnt(1)
	;;#ASMSTART
	v_dot2_f32_f16 v103, v112, v4, v103
	;;#ASMEND
	;;#ASMSTART
	v_dot2_f32_f16 v103, v113, v5, v103
	;;#ASMEND
	;; [unrolled: 3-line block ×16, first 2 shown]
	s_waitcnt lgkmcnt(0)
	;;#ASMSTART
	v_dot2_f32_f16 v85, v116, v4, v85
	;;#ASMEND
	;;#ASMSTART
	v_dot2_f32_f16 v85, v117, v5, v85
	;;#ASMEND
	;; [unrolled: 3-line block ×16, first 2 shown]
	ds_load_b128 v[0:3], v38 offset:36880
	ds_load_b128 v[4:7], v90 offset:16
	;; [unrolled: 1-line block ×8, first 2 shown]
	s_waitcnt lgkmcnt(6)
	;;#ASMSTART
	v_dot2_f32_f16 v76, v0, v4, v76
	;;#ASMEND
	;;#ASMSTART
	v_dot2_f32_f16 v76, v1, v5, v76
	;;#ASMEND
	;;#ASMSTART
	v_dot2_f32_f16 v76, v2, v6, v76
	;;#ASMEND
	;;#ASMSTART
	v_dot2_f32_f16 v76, v3, v7, v76
	;;#ASMEND
	s_waitcnt lgkmcnt(5)
	;;#ASMSTART
	v_dot2_f32_f16 v79, v0, v8, v79
	;;#ASMEND
	;;#ASMSTART
	v_dot2_f32_f16 v79, v1, v9, v79
	;;#ASMEND
	;;#ASMSTART
	v_dot2_f32_f16 v79, v2, v10, v79
	;;#ASMEND
	;;#ASMSTART
	v_dot2_f32_f16 v79, v3, v11, v79
	;;#ASMEND
	;; [unrolled: 13-line block ×5, first 2 shown]
	;;#ASMSTART
	v_dot2_f32_f16 v97, v108, v8, v97
	;;#ASMEND
	;;#ASMSTART
	v_dot2_f32_f16 v97, v109, v9, v97
	;;#ASMEND
	;;#ASMSTART
	v_dot2_f32_f16 v97, v110, v10, v97
	;;#ASMEND
	;;#ASMSTART
	v_dot2_f32_f16 v97, v111, v11, v97
	;;#ASMEND
	;;#ASMSTART
	v_dot2_f32_f16 v96, v108, v12, v96
	;;#ASMEND
	;;#ASMSTART
	v_dot2_f32_f16 v96, v109, v13, v96
	;;#ASMEND
	;;#ASMSTART
	v_dot2_f32_f16 v96, v110, v14, v96
	;;#ASMEND
	;;#ASMSTART
	v_dot2_f32_f16 v96, v111, v15, v96
	;;#ASMEND
	;;#ASMSTART
	v_dot2_f32_f16 v84, v108, v104, v84
	;;#ASMEND
	;;#ASMSTART
	v_dot2_f32_f16 v84, v109, v105, v84
	;;#ASMEND
	;;#ASMSTART
	v_dot2_f32_f16 v84, v110, v106, v84
	;;#ASMEND
	;;#ASMSTART
	v_dot2_f32_f16 v84, v111, v107, v84
	;;#ASMEND
	s_waitcnt lgkmcnt(1)
	;;#ASMSTART
	v_dot2_f32_f16 v103, v112, v4, v103
	;;#ASMEND
	;;#ASMSTART
	v_dot2_f32_f16 v103, v113, v5, v103
	;;#ASMEND
	;; [unrolled: 3-line block ×16, first 2 shown]
	s_waitcnt lgkmcnt(0)
	;;#ASMSTART
	v_dot2_f32_f16 v85, v116, v4, v85
	;;#ASMEND
	;;#ASMSTART
	v_dot2_f32_f16 v85, v117, v5, v85
	;;#ASMEND
	;; [unrolled: 3-line block ×11, first 2 shown]
	v_add3_u32 v120, s20, 32, v39
	;;#ASMSTART
	v_dot2_f32_f16 v80, v119, v15, v80
	;;#ASMEND
	;;#ASMSTART
	v_dot2_f32_f16 v95, v116, v104, v95
	;;#ASMEND
	;; [unrolled: 3-line block ×5, first 2 shown]
	ds_load_b128 v[0:3], v38 offset:36896
	ds_load_b128 v[4:7], v90 offset:32
	;; [unrolled: 1-line block ×8, first 2 shown]
	s_waitcnt lgkmcnt(6)
	;;#ASMSTART
	v_dot2_f32_f16 v76, v0, v4, v76
	;;#ASMEND
	;;#ASMSTART
	v_dot2_f32_f16 v76, v1, v5, v76
	;;#ASMEND
	;;#ASMSTART
	v_dot2_f32_f16 v76, v2, v6, v76
	;;#ASMEND
	;;#ASMSTART
	v_dot2_f32_f16 v76, v3, v7, v76
	;;#ASMEND
	s_waitcnt lgkmcnt(5)
	;;#ASMSTART
	v_dot2_f32_f16 v79, v0, v8, v79
	;;#ASMEND
	;;#ASMSTART
	v_dot2_f32_f16 v79, v1, v9, v79
	;;#ASMEND
	;;#ASMSTART
	v_dot2_f32_f16 v79, v2, v10, v79
	;;#ASMEND
	;;#ASMSTART
	v_dot2_f32_f16 v79, v3, v11, v79
	;;#ASMEND
	;; [unrolled: 13-line block ×5, first 2 shown]
	;;#ASMSTART
	v_dot2_f32_f16 v97, v108, v8, v97
	;;#ASMEND
	;;#ASMSTART
	v_dot2_f32_f16 v97, v109, v9, v97
	;;#ASMEND
	;; [unrolled: 3-line block ×12, first 2 shown]
	s_waitcnt lgkmcnt(1)
	;;#ASMSTART
	v_dot2_f32_f16 v103, v112, v4, v103
	;;#ASMEND
	;;#ASMSTART
	v_dot2_f32_f16 v103, v113, v5, v103
	;;#ASMEND
	;; [unrolled: 3-line block ×16, first 2 shown]
	s_waitcnt lgkmcnt(0)
	;;#ASMSTART
	v_dot2_f32_f16 v85, v116, v4, v85
	;;#ASMEND
	;;#ASMSTART
	v_dot2_f32_f16 v85, v117, v5, v85
	;;#ASMEND
	;; [unrolled: 3-line block ×11, first 2 shown]
	v_add3_u32 v120, s20, 48, v39
	;;#ASMSTART
	v_dot2_f32_f16 v80, v119, v15, v80
	;;#ASMEND
	;;#ASMSTART
	v_dot2_f32_f16 v95, v116, v104, v95
	;;#ASMEND
	;; [unrolled: 3-line block ×5, first 2 shown]
	ds_load_b128 v[0:3], v38 offset:36912
	ds_load_b128 v[4:7], v90 offset:48
	;; [unrolled: 1-line block ×8, first 2 shown]
	s_waitcnt lgkmcnt(6)
	;;#ASMSTART
	v_dot2_f32_f16 v76, v0, v4, v76
	;;#ASMEND
	;;#ASMSTART
	v_dot2_f32_f16 v76, v1, v5, v76
	;;#ASMEND
	;;#ASMSTART
	v_dot2_f32_f16 v76, v2, v6, v76
	;;#ASMEND
	;;#ASMSTART
	v_dot2_f32_f16 v76, v3, v7, v76
	;;#ASMEND
	s_waitcnt lgkmcnt(5)
	;;#ASMSTART
	v_dot2_f32_f16 v79, v0, v8, v79
	;;#ASMEND
	;;#ASMSTART
	v_dot2_f32_f16 v79, v1, v9, v79
	;;#ASMEND
	;;#ASMSTART
	v_dot2_f32_f16 v79, v2, v10, v79
	;;#ASMEND
	;;#ASMSTART
	v_dot2_f32_f16 v79, v3, v11, v79
	;;#ASMEND
	;; [unrolled: 13-line block ×5, first 2 shown]
	;;#ASMSTART
	v_dot2_f32_f16 v97, v108, v8, v97
	;;#ASMEND
	;;#ASMSTART
	v_dot2_f32_f16 v97, v109, v9, v97
	;;#ASMEND
	;; [unrolled: 3-line block ×12, first 2 shown]
	s_waitcnt lgkmcnt(1)
	;;#ASMSTART
	v_dot2_f32_f16 v103, v112, v4, v103
	;;#ASMEND
	;;#ASMSTART
	v_dot2_f32_f16 v103, v113, v5, v103
	;;#ASMEND
	;; [unrolled: 3-line block ×16, first 2 shown]
	s_waitcnt lgkmcnt(0)
	;;#ASMSTART
	v_dot2_f32_f16 v85, v116, v4, v85
	;;#ASMEND
	;;#ASMSTART
	v_dot2_f32_f16 v85, v117, v5, v85
	;;#ASMEND
	;; [unrolled: 3-line block ×11, first 2 shown]
	v_add3_u32 v120, s20, 64, v39
	;;#ASMSTART
	v_dot2_f32_f16 v80, v119, v15, v80
	;;#ASMEND
	;;#ASMSTART
	v_dot2_f32_f16 v95, v116, v104, v95
	;;#ASMEND
	;; [unrolled: 3-line block ×5, first 2 shown]
	ds_load_b128 v[0:3], v38 offset:36928
	ds_load_b128 v[4:7], v90 offset:64
	;; [unrolled: 1-line block ×8, first 2 shown]
	s_waitcnt lgkmcnt(6)
	;;#ASMSTART
	v_dot2_f32_f16 v76, v0, v4, v76
	;;#ASMEND
	;;#ASMSTART
	v_dot2_f32_f16 v76, v1, v5, v76
	;;#ASMEND
	;;#ASMSTART
	v_dot2_f32_f16 v76, v2, v6, v76
	;;#ASMEND
	;;#ASMSTART
	v_dot2_f32_f16 v76, v3, v7, v76
	;;#ASMEND
	s_waitcnt lgkmcnt(5)
	;;#ASMSTART
	v_dot2_f32_f16 v79, v0, v8, v79
	;;#ASMEND
	;;#ASMSTART
	v_dot2_f32_f16 v79, v1, v9, v79
	;;#ASMEND
	;;#ASMSTART
	v_dot2_f32_f16 v79, v2, v10, v79
	;;#ASMEND
	;;#ASMSTART
	v_dot2_f32_f16 v79, v3, v11, v79
	;;#ASMEND
	;; [unrolled: 13-line block ×5, first 2 shown]
	;;#ASMSTART
	v_dot2_f32_f16 v97, v109, v8, v97
	;;#ASMEND
	;;#ASMSTART
	v_dot2_f32_f16 v97, v110, v9, v97
	;;#ASMEND
	;; [unrolled: 3-line block ×12, first 2 shown]
	s_waitcnt lgkmcnt(1)
	;;#ASMSTART
	v_dot2_f32_f16 v103, v113, v4, v103
	;;#ASMEND
	;;#ASMSTART
	v_dot2_f32_f16 v103, v114, v5, v103
	;;#ASMEND
	;; [unrolled: 3-line block ×16, first 2 shown]
	s_waitcnt lgkmcnt(0)
	;;#ASMSTART
	v_dot2_f32_f16 v85, v117, v4, v85
	;;#ASMEND
	;;#ASMSTART
	v_dot2_f32_f16 v85, v118, v5, v85
	;;#ASMEND
	;; [unrolled: 3-line block ×11, first 2 shown]
	v_add3_u32 v104, 0x50, s20, v39
	;;#ASMSTART
	v_dot2_f32_f16 v80, v120, v15, v80
	;;#ASMEND
	;;#ASMSTART
	v_dot2_f32_f16 v95, v117, v105, v95
	;;#ASMEND
	;; [unrolled: 3-line block ×5, first 2 shown]
	ds_load_b128 v[12:15], v38 offset:36944
	ds_load_b128 v[8:11], v90 offset:80
	;; [unrolled: 1-line block ×8, first 2 shown]
	s_waitcnt lgkmcnt(6)
	;;#ASMSTART
	v_dot2_f32_f16 v76, v12, v8, v76
	;;#ASMEND
	;;#ASMSTART
	v_dot2_f32_f16 v76, v13, v9, v76
	;;#ASMEND
	;;#ASMSTART
	v_dot2_f32_f16 v76, v14, v10, v76
	;;#ASMEND
	;;#ASMSTART
	v_dot2_f32_f16 v76, v15, v11, v76
	;;#ASMEND
	s_waitcnt lgkmcnt(5)
	;;#ASMSTART
	v_dot2_f32_f16 v79, v12, v0, v79
	;;#ASMEND
	;;#ASMSTART
	v_dot2_f32_f16 v79, v13, v1, v79
	;;#ASMEND
	;;#ASMSTART
	v_dot2_f32_f16 v79, v14, v2, v79
	;;#ASMEND
	;;#ASMSTART
	v_dot2_f32_f16 v79, v15, v3, v79
	;;#ASMEND
	;; [unrolled: 13-line block ×5, first 2 shown]
	;;#ASMSTART
	v_dot2_f32_f16 v97, v108, v0, v97
	;;#ASMEND
	;;#ASMSTART
	v_dot2_f32_f16 v97, v109, v1, v97
	;;#ASMEND
	;; [unrolled: 3-line block ×12, first 2 shown]
	s_waitcnt lgkmcnt(1)
	;;#ASMSTART
	v_dot2_f32_f16 v103, v112, v8, v103
	;;#ASMEND
	;;#ASMSTART
	v_dot2_f32_f16 v103, v113, v9, v103
	;;#ASMEND
	;; [unrolled: 3-line block ×16, first 2 shown]
	s_waitcnt lgkmcnt(0)
	;;#ASMSTART
	v_dot2_f32_f16 v85, v116, v8, v85
	;;#ASMEND
	;;#ASMSTART
	v_dot2_f32_f16 v85, v117, v9, v85
	;;#ASMEND
	;; [unrolled: 3-line block ×16, first 2 shown]
	ds_load_b128 v[0:3], v38 offset:36960
	ds_load_b128 v[4:7], v90 offset:96
	v_add3_u32 v120, 0x60, s20, v39
	s_add_u32 s4, s17, s22
	s_addc_u32 s20, s18, s23
	v_add_co_u32 v121, vcc_lo, s4, v19
	ds_load_b128 v[8:11], v120 offset:1152
	ds_load_b128 v[12:15], v120 offset:2304
	ds_load_b128 v[104:107], v120 offset:3456
	ds_load_b128 v[108:111], v38 offset:41568
	ds_load_b128 v[112:115], v38 offset:46176
	ds_load_b128 v[116:119], v38 offset:50784
	s_waitcnt lgkmcnt(6)
	;;#ASMSTART
	v_dot2_f32_f16 v76, v0, v4, v76
	;;#ASMEND
	;;#ASMSTART
	v_dot2_f32_f16 v76, v1, v5, v76
	;;#ASMEND
	;;#ASMSTART
	v_dot2_f32_f16 v76, v2, v6, v76
	;;#ASMEND
	;;#ASMSTART
	v_dot2_f32_f16 v76, v3, v7, v76
	;;#ASMEND
	s_waitcnt lgkmcnt(5)
	;;#ASMSTART
	v_dot2_f32_f16 v79, v0, v8, v79
	;;#ASMEND
	;;#ASMSTART
	v_dot2_f32_f16 v79, v1, v9, v79
	;;#ASMEND
	;;#ASMSTART
	v_dot2_f32_f16 v79, v2, v10, v79
	;;#ASMEND
	;;#ASMSTART
	v_dot2_f32_f16 v79, v3, v11, v79
	;;#ASMEND
	;; [unrolled: 13-line block ×5, first 2 shown]
	;;#ASMSTART
	v_dot2_f32_f16 v97, v108, v8, v97
	;;#ASMEND
	;;#ASMSTART
	v_dot2_f32_f16 v97, v109, v9, v97
	;;#ASMEND
	;; [unrolled: 3-line block ×12, first 2 shown]
	s_waitcnt lgkmcnt(1)
	;;#ASMSTART
	v_dot2_f32_f16 v103, v112, v4, v103
	;;#ASMEND
	;;#ASMSTART
	v_dot2_f32_f16 v103, v113, v5, v103
	;;#ASMEND
	;; [unrolled: 3-line block ×16, first 2 shown]
	s_waitcnt lgkmcnt(0)
	;;#ASMSTART
	v_dot2_f32_f16 v85, v116, v4, v85
	;;#ASMEND
	;;#ASMSTART
	v_dot2_f32_f16 v85, v117, v5, v85
	;;#ASMEND
	;; [unrolled: 3-line block ×16, first 2 shown]
	ds_load_b128 v[0:3], v38 offset:36976
	ds_load_b128 v[4:7], v90 offset:112
	;; [unrolled: 1-line block ×8, first 2 shown]
	s_waitcnt lgkmcnt(6)
	;;#ASMSTART
	v_dot2_f32_f16 v76, v0, v4, v76
	;;#ASMEND
	;;#ASMSTART
	v_dot2_f32_f16 v76, v1, v5, v76
	;;#ASMEND
	;;#ASMSTART
	v_dot2_f32_f16 v76, v2, v6, v76
	;;#ASMEND
	;;#ASMSTART
	v_dot2_f32_f16 v76, v3, v7, v76
	;;#ASMEND
	s_waitcnt lgkmcnt(5)
	;;#ASMSTART
	v_dot2_f32_f16 v79, v0, v8, v79
	;;#ASMEND
	;;#ASMSTART
	v_dot2_f32_f16 v79, v1, v9, v79
	;;#ASMEND
	;;#ASMSTART
	v_dot2_f32_f16 v79, v2, v10, v79
	;;#ASMEND
	;;#ASMSTART
	v_dot2_f32_f16 v79, v3, v11, v79
	;;#ASMEND
	;; [unrolled: 13-line block ×5, first 2 shown]
	;;#ASMSTART
	v_dot2_f32_f16 v97, v108, v8, v97
	;;#ASMEND
	;;#ASMSTART
	v_dot2_f32_f16 v97, v109, v9, v97
	;;#ASMEND
	;; [unrolled: 3-line block ×12, first 2 shown]
	s_waitcnt lgkmcnt(1)
	;;#ASMSTART
	v_dot2_f32_f16 v103, v112, v4, v103
	;;#ASMEND
	v_add_co_ci_u32_e32 v122, vcc_lo, s20, v20, vcc_lo
	;;#ASMSTART
	v_dot2_f32_f16 v103, v113, v5, v103
	;;#ASMEND
	v_add_co_u32 v123, vcc_lo, s4, v21
	;;#ASMSTART
	v_dot2_f32_f16 v103, v114, v6, v103
	;;#ASMEND
	;;#ASMSTART
	v_dot2_f32_f16 v103, v115, v7, v103
	;;#ASMEND
	;;#ASMSTART
	v_dot2_f32_f16 v102, v112, v8, v102
	;;#ASMEND
	v_add_co_ci_u32_e32 v124, vcc_lo, s20, v22, vcc_lo
	;;#ASMSTART
	v_dot2_f32_f16 v102, v113, v9, v102
	;;#ASMEND
	v_add_co_u32 v125, vcc_lo, s4, v23
	;;#ASMSTART
	v_dot2_f32_f16 v102, v114, v10, v102
	;;#ASMEND
	;;#ASMSTART
	v_dot2_f32_f16 v102, v115, v11, v102
	;;#ASMEND
	;; [unrolled: 14-line block ×4, first 2 shown]
	s_waitcnt lgkmcnt(0)
	;;#ASMSTART
	v_dot2_f32_f16 v85, v116, v4, v85
	;;#ASMEND
	v_add_co_ci_u32_e32 v121, vcc_lo, 0, v122, vcc_lo
	;;#ASMSTART
	v_dot2_f32_f16 v85, v117, v5, v85
	;;#ASMEND
	v_add_co_u32 v122, vcc_lo, v123, v46
	;;#ASMSTART
	v_dot2_f32_f16 v85, v118, v6, v85
	;;#ASMEND
	;;#ASMSTART
	v_dot2_f32_f16 v85, v119, v7, v85
	;;#ASMEND
	;;#ASMSTART
	v_dot2_f32_f16 v98, v116, v8, v98
	;;#ASMEND
	v_add_co_ci_u32_e32 v123, vcc_lo, 0, v124, vcc_lo
	;;#ASMSTART
	v_dot2_f32_f16 v98, v117, v9, v98
	;;#ASMEND
	v_add_co_u32 v124, vcc_lo, v125, v46
	;;#ASMSTART
	v_dot2_f32_f16 v98, v118, v10, v98
	;;#ASMEND
	;;#ASMSTART
	v_dot2_f32_f16 v98, v119, v11, v98
	;;#ASMEND
	;; [unrolled: 14-line block ×3, first 2 shown]
	;;#ASMSTART
	v_dot2_f32_f16 v95, v116, v104, v95
	;;#ASMEND
	v_add_co_ci_u32_e32 v127, vcc_lo, 0, v129, vcc_lo
	;;#ASMSTART
	v_dot2_f32_f16 v95, v117, v105, v95
	;;#ASMEND
	;;#ASMSTART
	v_dot2_f32_f16 v95, v118, v106, v95
	;;#ASMEND
	;; [unrolled: 3-line block ×3, first 2 shown]
	s_barrier
	buffer_gl0_inv
	s_clause 0x3
	global_load_b128 v[0:3], v[120:121], off
	global_load_b128 v[4:7], v[122:123], off
	;; [unrolled: 1-line block ×4, first 2 shown]
	s_lshl_b32 s20, s21, 1
	s_add_i32 s21, s19, 0x80
	v_add_nc_u32_e32 v90, s20, v39
	v_add3_u32 v120, s20, 16, v39
	v_add3_u32 v126, 0x70, s20, v39
	s_lshr_b32 s4, s21, 1
	s_waitcnt vmcnt(3)
	ds_store_b128 v34, v[0:3]
	s_waitcnt vmcnt(2)
	ds_store_b128 v35, v[4:7]
	;; [unrolled: 2-line block ×4, first 2 shown]
	s_waitcnt lgkmcnt(0)
	s_barrier
	buffer_gl0_inv
	ds_load_b128 v[0:3], v38 offset:36864
	ds_load_b128 v[4:7], v90
	ds_load_b128 v[8:11], v90 offset:1152
	ds_load_b128 v[12:15], v90 offset:2304
	;; [unrolled: 1-line block ×6, first 2 shown]
	s_waitcnt lgkmcnt(6)
	;;#ASMSTART
	v_dot2_f32_f16 v76, v0, v4, v76
	;;#ASMEND
	;;#ASMSTART
	v_dot2_f32_f16 v76, v1, v5, v76
	;;#ASMEND
	;;#ASMSTART
	v_dot2_f32_f16 v76, v2, v6, v76
	;;#ASMEND
	;;#ASMSTART
	v_dot2_f32_f16 v76, v3, v7, v76
	;;#ASMEND
	s_waitcnt lgkmcnt(5)
	;;#ASMSTART
	v_dot2_f32_f16 v79, v0, v8, v79
	;;#ASMEND
	;;#ASMSTART
	v_dot2_f32_f16 v79, v1, v9, v79
	;;#ASMEND
	;;#ASMSTART
	v_dot2_f32_f16 v79, v2, v10, v79
	;;#ASMEND
	;;#ASMSTART
	v_dot2_f32_f16 v79, v3, v11, v79
	;;#ASMEND
	;; [unrolled: 13-line block ×5, first 2 shown]
	;;#ASMSTART
	v_dot2_f32_f16 v97, v108, v8, v97
	;;#ASMEND
	;;#ASMSTART
	v_dot2_f32_f16 v97, v109, v9, v97
	;;#ASMEND
	;;#ASMSTART
	v_dot2_f32_f16 v97, v110, v10, v97
	;;#ASMEND
	;;#ASMSTART
	v_dot2_f32_f16 v97, v111, v11, v97
	;;#ASMEND
	;;#ASMSTART
	v_dot2_f32_f16 v96, v108, v12, v96
	;;#ASMEND
	;;#ASMSTART
	v_dot2_f32_f16 v96, v109, v13, v96
	;;#ASMEND
	;;#ASMSTART
	v_dot2_f32_f16 v96, v110, v14, v96
	;;#ASMEND
	;;#ASMSTART
	v_dot2_f32_f16 v96, v111, v15, v96
	;;#ASMEND
	;;#ASMSTART
	v_dot2_f32_f16 v84, v108, v104, v84
	;;#ASMEND
	;;#ASMSTART
	v_dot2_f32_f16 v84, v109, v105, v84
	;;#ASMEND
	;;#ASMSTART
	v_dot2_f32_f16 v84, v110, v106, v84
	;;#ASMEND
	;;#ASMSTART
	v_dot2_f32_f16 v84, v111, v107, v84
	;;#ASMEND
	s_waitcnt lgkmcnt(1)
	;;#ASMSTART
	v_dot2_f32_f16 v103, v112, v4, v103
	;;#ASMEND
	;;#ASMSTART
	v_dot2_f32_f16 v103, v113, v5, v103
	;;#ASMEND
	;;#ASMSTART
	v_dot2_f32_f16 v103, v114, v6, v103
	;;#ASMEND
	;;#ASMSTART
	v_dot2_f32_f16 v103, v115, v7, v103
	;;#ASMEND
	;;#ASMSTART
	v_dot2_f32_f16 v102, v112, v8, v102
	;;#ASMEND
	;;#ASMSTART
	v_dot2_f32_f16 v102, v113, v9, v102
	;;#ASMEND
	;;#ASMSTART
	v_dot2_f32_f16 v102, v114, v10, v102
	;;#ASMEND
	;;#ASMSTART
	v_dot2_f32_f16 v102, v115, v11, v102
	;;#ASMEND
	;;#ASMSTART
	v_dot2_f32_f16 v101, v112, v12, v101
	;;#ASMEND
	;;#ASMSTART
	v_dot2_f32_f16 v101, v113, v13, v101
	;;#ASMEND
	;;#ASMSTART
	v_dot2_f32_f16 v101, v114, v14, v101
	;;#ASMEND
	;;#ASMSTART
	v_dot2_f32_f16 v101, v115, v15, v101
	;;#ASMEND
	;;#ASMSTART
	v_dot2_f32_f16 v100, v112, v104, v100
	;;#ASMEND
	;;#ASMSTART
	v_dot2_f32_f16 v100, v113, v105, v100
	;;#ASMEND
	;;#ASMSTART
	v_dot2_f32_f16 v100, v114, v106, v100
	;;#ASMEND
	;;#ASMSTART
	v_dot2_f32_f16 v100, v115, v107, v100
	;;#ASMEND
	s_waitcnt lgkmcnt(0)
	;;#ASMSTART
	v_dot2_f32_f16 v85, v116, v4, v85
	;;#ASMEND
	;;#ASMSTART
	v_dot2_f32_f16 v85, v117, v5, v85
	;;#ASMEND
	;; [unrolled: 3-line block ×16, first 2 shown]
	ds_load_b128 v[0:3], v38 offset:36880
	ds_load_b128 v[4:7], v90 offset:16
	;; [unrolled: 1-line block ×8, first 2 shown]
	s_waitcnt lgkmcnt(6)
	;;#ASMSTART
	v_dot2_f32_f16 v76, v0, v4, v76
	;;#ASMEND
	;;#ASMSTART
	v_dot2_f32_f16 v76, v1, v5, v76
	;;#ASMEND
	;;#ASMSTART
	v_dot2_f32_f16 v76, v2, v6, v76
	;;#ASMEND
	;;#ASMSTART
	v_dot2_f32_f16 v76, v3, v7, v76
	;;#ASMEND
	s_waitcnt lgkmcnt(5)
	;;#ASMSTART
	v_dot2_f32_f16 v79, v0, v8, v79
	;;#ASMEND
	;;#ASMSTART
	v_dot2_f32_f16 v79, v1, v9, v79
	;;#ASMEND
	;;#ASMSTART
	v_dot2_f32_f16 v79, v2, v10, v79
	;;#ASMEND
	;;#ASMSTART
	v_dot2_f32_f16 v79, v3, v11, v79
	;;#ASMEND
	;; [unrolled: 13-line block ×5, first 2 shown]
	;;#ASMSTART
	v_dot2_f32_f16 v97, v108, v8, v97
	;;#ASMEND
	;;#ASMSTART
	v_dot2_f32_f16 v97, v109, v9, v97
	;;#ASMEND
	;; [unrolled: 3-line block ×12, first 2 shown]
	s_waitcnt lgkmcnt(1)
	;;#ASMSTART
	v_dot2_f32_f16 v103, v112, v4, v103
	;;#ASMEND
	;;#ASMSTART
	v_dot2_f32_f16 v103, v113, v5, v103
	;;#ASMEND
	;; [unrolled: 3-line block ×16, first 2 shown]
	s_waitcnt lgkmcnt(0)
	;;#ASMSTART
	v_dot2_f32_f16 v85, v116, v4, v85
	;;#ASMEND
	;;#ASMSTART
	v_dot2_f32_f16 v85, v117, v5, v85
	;;#ASMEND
	;; [unrolled: 3-line block ×11, first 2 shown]
	v_add3_u32 v120, s20, 32, v39
	;;#ASMSTART
	v_dot2_f32_f16 v80, v119, v15, v80
	;;#ASMEND
	;;#ASMSTART
	v_dot2_f32_f16 v95, v116, v104, v95
	;;#ASMEND
	;; [unrolled: 3-line block ×5, first 2 shown]
	ds_load_b128 v[0:3], v38 offset:36896
	ds_load_b128 v[4:7], v90 offset:32
	;; [unrolled: 1-line block ×8, first 2 shown]
	s_waitcnt lgkmcnt(6)
	;;#ASMSTART
	v_dot2_f32_f16 v76, v0, v4, v76
	;;#ASMEND
	;;#ASMSTART
	v_dot2_f32_f16 v76, v1, v5, v76
	;;#ASMEND
	;;#ASMSTART
	v_dot2_f32_f16 v76, v2, v6, v76
	;;#ASMEND
	;;#ASMSTART
	v_dot2_f32_f16 v76, v3, v7, v76
	;;#ASMEND
	s_waitcnt lgkmcnt(5)
	;;#ASMSTART
	v_dot2_f32_f16 v79, v0, v8, v79
	;;#ASMEND
	;;#ASMSTART
	v_dot2_f32_f16 v79, v1, v9, v79
	;;#ASMEND
	;;#ASMSTART
	v_dot2_f32_f16 v79, v2, v10, v79
	;;#ASMEND
	;;#ASMSTART
	v_dot2_f32_f16 v79, v3, v11, v79
	;;#ASMEND
	;; [unrolled: 13-line block ×5, first 2 shown]
	;;#ASMSTART
	v_dot2_f32_f16 v97, v108, v8, v97
	;;#ASMEND
	;;#ASMSTART
	v_dot2_f32_f16 v97, v109, v9, v97
	;;#ASMEND
	;; [unrolled: 3-line block ×12, first 2 shown]
	s_waitcnt lgkmcnt(1)
	;;#ASMSTART
	v_dot2_f32_f16 v103, v112, v4, v103
	;;#ASMEND
	;;#ASMSTART
	v_dot2_f32_f16 v103, v113, v5, v103
	;;#ASMEND
	;; [unrolled: 3-line block ×16, first 2 shown]
	s_waitcnt lgkmcnt(0)
	;;#ASMSTART
	v_dot2_f32_f16 v85, v116, v4, v85
	;;#ASMEND
	;;#ASMSTART
	v_dot2_f32_f16 v85, v117, v5, v85
	;;#ASMEND
	;; [unrolled: 3-line block ×11, first 2 shown]
	v_add3_u32 v120, s20, 48, v39
	;;#ASMSTART
	v_dot2_f32_f16 v80, v119, v15, v80
	;;#ASMEND
	;;#ASMSTART
	v_dot2_f32_f16 v95, v116, v104, v95
	;;#ASMEND
	;; [unrolled: 3-line block ×5, first 2 shown]
	ds_load_b128 v[0:3], v38 offset:36912
	ds_load_b128 v[4:7], v90 offset:48
	;; [unrolled: 1-line block ×8, first 2 shown]
	s_waitcnt lgkmcnt(6)
	;;#ASMSTART
	v_dot2_f32_f16 v76, v0, v4, v76
	;;#ASMEND
	;;#ASMSTART
	v_dot2_f32_f16 v76, v1, v5, v76
	;;#ASMEND
	;;#ASMSTART
	v_dot2_f32_f16 v76, v2, v6, v76
	;;#ASMEND
	;;#ASMSTART
	v_dot2_f32_f16 v76, v3, v7, v76
	;;#ASMEND
	s_waitcnt lgkmcnt(5)
	;;#ASMSTART
	v_dot2_f32_f16 v79, v0, v8, v79
	;;#ASMEND
	;;#ASMSTART
	v_dot2_f32_f16 v79, v1, v9, v79
	;;#ASMEND
	;;#ASMSTART
	v_dot2_f32_f16 v79, v2, v10, v79
	;;#ASMEND
	;;#ASMSTART
	v_dot2_f32_f16 v79, v3, v11, v79
	;;#ASMEND
	;; [unrolled: 13-line block ×5, first 2 shown]
	;;#ASMSTART
	v_dot2_f32_f16 v97, v108, v8, v97
	;;#ASMEND
	;;#ASMSTART
	v_dot2_f32_f16 v97, v109, v9, v97
	;;#ASMEND
	;; [unrolled: 3-line block ×12, first 2 shown]
	s_waitcnt lgkmcnt(1)
	;;#ASMSTART
	v_dot2_f32_f16 v103, v112, v4, v103
	;;#ASMEND
	;;#ASMSTART
	v_dot2_f32_f16 v103, v113, v5, v103
	;;#ASMEND
	;; [unrolled: 3-line block ×16, first 2 shown]
	s_waitcnt lgkmcnt(0)
	;;#ASMSTART
	v_dot2_f32_f16 v85, v116, v4, v85
	;;#ASMEND
	;;#ASMSTART
	v_dot2_f32_f16 v85, v117, v5, v85
	;;#ASMEND
	;; [unrolled: 3-line block ×11, first 2 shown]
	v_add3_u32 v120, s20, 64, v39
	;;#ASMSTART
	v_dot2_f32_f16 v80, v119, v15, v80
	;;#ASMEND
	;;#ASMSTART
	v_dot2_f32_f16 v95, v116, v104, v95
	;;#ASMEND
	;; [unrolled: 3-line block ×5, first 2 shown]
	ds_load_b128 v[0:3], v38 offset:36928
	ds_load_b128 v[4:7], v90 offset:64
	;; [unrolled: 1-line block ×8, first 2 shown]
	s_waitcnt lgkmcnt(6)
	;;#ASMSTART
	v_dot2_f32_f16 v76, v0, v4, v76
	;;#ASMEND
	;;#ASMSTART
	v_dot2_f32_f16 v76, v1, v5, v76
	;;#ASMEND
	;;#ASMSTART
	v_dot2_f32_f16 v76, v2, v6, v76
	;;#ASMEND
	;;#ASMSTART
	v_dot2_f32_f16 v76, v3, v7, v76
	;;#ASMEND
	s_waitcnt lgkmcnt(5)
	;;#ASMSTART
	v_dot2_f32_f16 v79, v0, v8, v79
	;;#ASMEND
	;;#ASMSTART
	v_dot2_f32_f16 v79, v1, v9, v79
	;;#ASMEND
	;;#ASMSTART
	v_dot2_f32_f16 v79, v2, v10, v79
	;;#ASMEND
	;;#ASMSTART
	v_dot2_f32_f16 v79, v3, v11, v79
	;;#ASMEND
	;; [unrolled: 13-line block ×5, first 2 shown]
	;;#ASMSTART
	v_dot2_f32_f16 v97, v109, v8, v97
	;;#ASMEND
	;;#ASMSTART
	v_dot2_f32_f16 v97, v110, v9, v97
	;;#ASMEND
	;; [unrolled: 3-line block ×12, first 2 shown]
	s_waitcnt lgkmcnt(1)
	;;#ASMSTART
	v_dot2_f32_f16 v103, v113, v4, v103
	;;#ASMEND
	;;#ASMSTART
	v_dot2_f32_f16 v103, v114, v5, v103
	;;#ASMEND
	;; [unrolled: 3-line block ×16, first 2 shown]
	s_waitcnt lgkmcnt(0)
	;;#ASMSTART
	v_dot2_f32_f16 v85, v117, v4, v85
	;;#ASMEND
	;;#ASMSTART
	v_dot2_f32_f16 v85, v118, v5, v85
	;;#ASMEND
	;; [unrolled: 3-line block ×11, first 2 shown]
	v_add3_u32 v104, 0x50, s20, v39
	;;#ASMSTART
	v_dot2_f32_f16 v80, v120, v15, v80
	;;#ASMEND
	;;#ASMSTART
	v_dot2_f32_f16 v95, v117, v105, v95
	;;#ASMEND
	;; [unrolled: 3-line block ×5, first 2 shown]
	ds_load_b128 v[12:15], v38 offset:36944
	ds_load_b128 v[8:11], v90 offset:80
	;; [unrolled: 1-line block ×8, first 2 shown]
	s_waitcnt lgkmcnt(6)
	;;#ASMSTART
	v_dot2_f32_f16 v76, v12, v8, v76
	;;#ASMEND
	;;#ASMSTART
	v_dot2_f32_f16 v76, v13, v9, v76
	;;#ASMEND
	;;#ASMSTART
	v_dot2_f32_f16 v76, v14, v10, v76
	;;#ASMEND
	;;#ASMSTART
	v_dot2_f32_f16 v76, v15, v11, v76
	;;#ASMEND
	s_waitcnt lgkmcnt(5)
	;;#ASMSTART
	v_dot2_f32_f16 v79, v12, v0, v79
	;;#ASMEND
	;;#ASMSTART
	v_dot2_f32_f16 v79, v13, v1, v79
	;;#ASMEND
	;;#ASMSTART
	v_dot2_f32_f16 v79, v14, v2, v79
	;;#ASMEND
	;;#ASMSTART
	v_dot2_f32_f16 v79, v15, v3, v79
	;;#ASMEND
	;; [unrolled: 13-line block ×5, first 2 shown]
	;;#ASMSTART
	v_dot2_f32_f16 v97, v108, v0, v97
	;;#ASMEND
	;;#ASMSTART
	v_dot2_f32_f16 v97, v109, v1, v97
	;;#ASMEND
	;; [unrolled: 3-line block ×12, first 2 shown]
	s_waitcnt lgkmcnt(1)
	;;#ASMSTART
	v_dot2_f32_f16 v103, v112, v8, v103
	;;#ASMEND
	;;#ASMSTART
	v_dot2_f32_f16 v103, v113, v9, v103
	;;#ASMEND
	;; [unrolled: 3-line block ×16, first 2 shown]
	s_waitcnt lgkmcnt(0)
	;;#ASMSTART
	v_dot2_f32_f16 v85, v116, v8, v85
	;;#ASMEND
	;;#ASMSTART
	v_dot2_f32_f16 v85, v117, v9, v85
	;;#ASMEND
	;; [unrolled: 3-line block ×16, first 2 shown]
	ds_load_b128 v[0:3], v38 offset:36960
	ds_load_b128 v[4:7], v90 offset:96
	v_add3_u32 v120, 0x60, s20, v39
	s_lshl_b64 s[22:23], s[4:5], 2
	s_delay_alu instid0(SALU_CYCLE_1)
	s_add_u32 s4, s17, s22
	s_addc_u32 s20, s18, s23
	ds_load_b128 v[8:11], v120 offset:1152
	ds_load_b128 v[12:15], v120 offset:2304
	ds_load_b128 v[104:107], v120 offset:3456
	ds_load_b128 v[108:111], v38 offset:41568
	ds_load_b128 v[112:115], v38 offset:46176
	ds_load_b128 v[116:119], v38 offset:50784
	s_waitcnt lgkmcnt(6)
	;;#ASMSTART
	v_dot2_f32_f16 v76, v0, v4, v76
	;;#ASMEND
	;;#ASMSTART
	v_dot2_f32_f16 v76, v1, v5, v76
	;;#ASMEND
	;;#ASMSTART
	v_dot2_f32_f16 v76, v2, v6, v76
	;;#ASMEND
	;;#ASMSTART
	v_dot2_f32_f16 v76, v3, v7, v76
	;;#ASMEND
	s_waitcnt lgkmcnt(5)
	;;#ASMSTART
	v_dot2_f32_f16 v79, v0, v8, v79
	;;#ASMEND
	;;#ASMSTART
	v_dot2_f32_f16 v79, v1, v9, v79
	;;#ASMEND
	;;#ASMSTART
	v_dot2_f32_f16 v79, v2, v10, v79
	;;#ASMEND
	;;#ASMSTART
	v_dot2_f32_f16 v79, v3, v11, v79
	;;#ASMEND
	;; [unrolled: 13-line block ×5, first 2 shown]
	;;#ASMSTART
	v_dot2_f32_f16 v97, v108, v8, v97
	;;#ASMEND
	;;#ASMSTART
	v_dot2_f32_f16 v97, v109, v9, v97
	;;#ASMEND
	;; [unrolled: 3-line block ×12, first 2 shown]
	s_waitcnt lgkmcnt(1)
	;;#ASMSTART
	v_dot2_f32_f16 v103, v112, v4, v103
	;;#ASMEND
	;;#ASMSTART
	v_dot2_f32_f16 v103, v113, v5, v103
	;;#ASMEND
	;; [unrolled: 3-line block ×16, first 2 shown]
	s_waitcnt lgkmcnt(0)
	;;#ASMSTART
	v_dot2_f32_f16 v85, v116, v4, v85
	;;#ASMEND
	;;#ASMSTART
	v_dot2_f32_f16 v85, v117, v5, v85
	;;#ASMEND
	;; [unrolled: 3-line block ×16, first 2 shown]
	ds_load_b128 v[0:3], v38 offset:36976
	ds_load_b128 v[4:7], v90 offset:112
	;; [unrolled: 1-line block ×8, first 2 shown]
	s_waitcnt lgkmcnt(6)
	;;#ASMSTART
	v_dot2_f32_f16 v76, v0, v4, v76
	;;#ASMEND
	;;#ASMSTART
	v_dot2_f32_f16 v76, v1, v5, v76
	;;#ASMEND
	;;#ASMSTART
	v_dot2_f32_f16 v76, v2, v6, v76
	;;#ASMEND
	;;#ASMSTART
	v_dot2_f32_f16 v76, v3, v7, v76
	;;#ASMEND
	s_waitcnt lgkmcnt(5)
	;;#ASMSTART
	v_dot2_f32_f16 v79, v0, v8, v79
	;;#ASMEND
	;;#ASMSTART
	v_dot2_f32_f16 v79, v1, v9, v79
	;;#ASMEND
	;;#ASMSTART
	v_dot2_f32_f16 v79, v2, v10, v79
	;;#ASMEND
	;;#ASMSTART
	v_dot2_f32_f16 v79, v3, v11, v79
	;;#ASMEND
	;; [unrolled: 13-line block ×5, first 2 shown]
	;;#ASMSTART
	v_dot2_f32_f16 v97, v108, v8, v97
	;;#ASMEND
	;;#ASMSTART
	v_dot2_f32_f16 v97, v109, v9, v97
	;;#ASMEND
	;; [unrolled: 3-line block ×10, first 2 shown]
	v_add_co_u32 v121, vcc_lo, s4, v19
	;;#ASMSTART
	v_dot2_f32_f16 v84, v110, v106, v84
	;;#ASMEND
	;;#ASMSTART
	v_dot2_f32_f16 v84, v111, v107, v84
	;;#ASMEND
	s_waitcnt lgkmcnt(1)
	;;#ASMSTART
	v_dot2_f32_f16 v103, v112, v4, v103
	;;#ASMEND
	v_add_co_ci_u32_e32 v122, vcc_lo, s20, v20, vcc_lo
	;;#ASMSTART
	v_dot2_f32_f16 v103, v113, v5, v103
	;;#ASMEND
	v_add_co_u32 v123, vcc_lo, s4, v21
	;;#ASMSTART
	v_dot2_f32_f16 v103, v114, v6, v103
	;;#ASMEND
	;;#ASMSTART
	v_dot2_f32_f16 v103, v115, v7, v103
	;;#ASMEND
	;;#ASMSTART
	v_dot2_f32_f16 v102, v112, v8, v102
	;;#ASMEND
	v_add_co_ci_u32_e32 v124, vcc_lo, s20, v22, vcc_lo
	;;#ASMSTART
	v_dot2_f32_f16 v102, v113, v9, v102
	;;#ASMEND
	v_add_co_u32 v125, vcc_lo, s4, v23
	;;#ASMSTART
	v_dot2_f32_f16 v102, v114, v10, v102
	;;#ASMEND
	;;#ASMSTART
	v_dot2_f32_f16 v102, v115, v11, v102
	;;#ASMEND
	;; [unrolled: 14-line block ×4, first 2 shown]
	s_waitcnt lgkmcnt(0)
	;;#ASMSTART
	v_dot2_f32_f16 v85, v116, v4, v85
	;;#ASMEND
	v_add_co_ci_u32_e32 v121, vcc_lo, 0, v122, vcc_lo
	;;#ASMSTART
	v_dot2_f32_f16 v85, v117, v5, v85
	;;#ASMEND
	v_add_co_u32 v122, vcc_lo, v123, v46
	;;#ASMSTART
	v_dot2_f32_f16 v85, v118, v6, v85
	;;#ASMEND
	;;#ASMSTART
	v_dot2_f32_f16 v85, v119, v7, v85
	;;#ASMEND
	;;#ASMSTART
	v_dot2_f32_f16 v98, v116, v8, v98
	;;#ASMEND
	v_add_co_ci_u32_e32 v123, vcc_lo, 0, v124, vcc_lo
	;;#ASMSTART
	v_dot2_f32_f16 v98, v117, v9, v98
	;;#ASMEND
	v_add_co_u32 v124, vcc_lo, v125, v46
	;;#ASMSTART
	v_dot2_f32_f16 v98, v118, v10, v98
	;;#ASMEND
	;;#ASMSTART
	v_dot2_f32_f16 v98, v119, v11, v98
	;;#ASMEND
	;; [unrolled: 14-line block ×3, first 2 shown]
	;;#ASMSTART
	v_dot2_f32_f16 v95, v116, v104, v95
	;;#ASMEND
	v_add_co_ci_u32_e32 v127, vcc_lo, 0, v129, vcc_lo
	;;#ASMSTART
	v_dot2_f32_f16 v95, v117, v105, v95
	;;#ASMEND
	;;#ASMSTART
	v_dot2_f32_f16 v95, v118, v106, v95
	;;#ASMEND
	;; [unrolled: 3-line block ×3, first 2 shown]
	s_barrier
	buffer_gl0_inv
	s_clause 0x3
	global_load_b128 v[1:4], v[120:121], off
	global_load_b128 v[5:8], v[122:123], off
	;; [unrolled: 1-line block ×4, first 2 shown]
	s_lshl_b32 s4, s21, 1
	s_waitcnt vmcnt(3)
	ds_store_b128 v34, v[1:4]
	s_waitcnt vmcnt(2)
	ds_store_b128 v35, v[5:8]
	;; [unrolled: 2-line block ×4, first 2 shown]
	v_add_nc_u32_e32 v0, s4, v39
	s_waitcnt lgkmcnt(0)
	s_barrier
	buffer_gl0_inv
	ds_load_b128 v[1:4], v38 offset:36864
	ds_load_b128 v[5:8], v0
	ds_load_b128 v[9:12], v0 offset:1152
	ds_load_b128 v[104:107], v0 offset:2304
	;; [unrolled: 1-line block ×6, first 2 shown]
	s_waitcnt lgkmcnt(6)
	;;#ASMSTART
	v_dot2_f32_f16 v76, v1, v5, v76
	;;#ASMEND
	;;#ASMSTART
	v_dot2_f32_f16 v76, v2, v6, v76
	;;#ASMEND
	;;#ASMSTART
	v_dot2_f32_f16 v76, v3, v7, v76
	;;#ASMEND
	;;#ASMSTART
	v_dot2_f32_f16 v76, v4, v8, v76
	;;#ASMEND
	s_waitcnt lgkmcnt(5)
	;;#ASMSTART
	v_dot2_f32_f16 v79, v1, v9, v79
	;;#ASMEND
	;;#ASMSTART
	v_dot2_f32_f16 v79, v2, v10, v79
	;;#ASMEND
	;;#ASMSTART
	v_dot2_f32_f16 v79, v3, v11, v79
	;;#ASMEND
	;;#ASMSTART
	v_dot2_f32_f16 v79, v4, v12, v79
	;;#ASMEND
	;; [unrolled: 13-line block ×5, first 2 shown]
	;;#ASMSTART
	v_dot2_f32_f16 v97, v112, v9, v97
	;;#ASMEND
	;;#ASMSTART
	v_dot2_f32_f16 v97, v113, v10, v97
	;;#ASMEND
	;; [unrolled: 3-line block ×12, first 2 shown]
	s_waitcnt lgkmcnt(1)
	;;#ASMSTART
	v_dot2_f32_f16 v103, v116, v5, v103
	;;#ASMEND
	;;#ASMSTART
	v_dot2_f32_f16 v103, v117, v6, v103
	;;#ASMEND
	;;#ASMSTART
	v_dot2_f32_f16 v103, v118, v7, v103
	;;#ASMEND
	;;#ASMSTART
	v_dot2_f32_f16 v103, v119, v8, v103
	;;#ASMEND
	;;#ASMSTART
	v_dot2_f32_f16 v102, v116, v9, v102
	;;#ASMEND
	;;#ASMSTART
	v_dot2_f32_f16 v102, v117, v10, v102
	;;#ASMEND
	;;#ASMSTART
	v_dot2_f32_f16 v102, v118, v11, v102
	;;#ASMEND
	;;#ASMSTART
	v_dot2_f32_f16 v102, v119, v12, v102
	;;#ASMEND
	;;#ASMSTART
	v_dot2_f32_f16 v101, v116, v104, v101
	;;#ASMEND
	;;#ASMSTART
	v_dot2_f32_f16 v101, v117, v105, v101
	;;#ASMEND
	;;#ASMSTART
	v_dot2_f32_f16 v101, v118, v106, v101
	;;#ASMEND
	;;#ASMSTART
	v_dot2_f32_f16 v101, v119, v107, v101
	;;#ASMEND
	;;#ASMSTART
	v_dot2_f32_f16 v100, v116, v108, v100
	;;#ASMEND
	;;#ASMSTART
	v_dot2_f32_f16 v100, v117, v109, v100
	;;#ASMEND
	;;#ASMSTART
	v_dot2_f32_f16 v100, v118, v110, v100
	;;#ASMEND
	;;#ASMSTART
	v_dot2_f32_f16 v100, v119, v111, v100
	;;#ASMEND
	s_waitcnt lgkmcnt(0)
	;;#ASMSTART
	v_dot2_f32_f16 v85, v120, v5, v85
	;;#ASMEND
	;;#ASMSTART
	v_dot2_f32_f16 v85, v121, v6, v85
	;;#ASMEND
	;; [unrolled: 3-line block ×11, first 2 shown]
	v_add3_u32 v13, s4, 16, v39
	;;#ASMSTART
	v_dot2_f32_f16 v80, v123, v107, v80
	;;#ASMEND
	;;#ASMSTART
	v_dot2_f32_f16 v95, v120, v108, v95
	;;#ASMEND
	;; [unrolled: 3-line block ×5, first 2 shown]
	ds_load_b128 v[1:4], v38 offset:36880
	ds_load_b128 v[5:8], v0 offset:16
	;; [unrolled: 1-line block ×8, first 2 shown]
	s_waitcnt lgkmcnt(6)
	;;#ASMSTART
	v_dot2_f32_f16 v76, v1, v5, v76
	;;#ASMEND
	;;#ASMSTART
	v_dot2_f32_f16 v76, v2, v6, v76
	;;#ASMEND
	;;#ASMSTART
	v_dot2_f32_f16 v76, v3, v7, v76
	;;#ASMEND
	;;#ASMSTART
	v_dot2_f32_f16 v76, v4, v8, v76
	;;#ASMEND
	s_waitcnt lgkmcnt(5)
	;;#ASMSTART
	v_dot2_f32_f16 v79, v1, v9, v79
	;;#ASMEND
	;;#ASMSTART
	v_dot2_f32_f16 v79, v2, v10, v79
	;;#ASMEND
	;;#ASMSTART
	v_dot2_f32_f16 v79, v3, v11, v79
	;;#ASMEND
	;;#ASMSTART
	v_dot2_f32_f16 v79, v4, v12, v79
	;;#ASMEND
	;; [unrolled: 13-line block ×5, first 2 shown]
	;;#ASMSTART
	v_dot2_f32_f16 v97, v112, v9, v97
	;;#ASMEND
	;;#ASMSTART
	v_dot2_f32_f16 v97, v113, v10, v97
	;;#ASMEND
	;; [unrolled: 3-line block ×12, first 2 shown]
	s_waitcnt lgkmcnt(1)
	;;#ASMSTART
	v_dot2_f32_f16 v103, v116, v5, v103
	;;#ASMEND
	;;#ASMSTART
	v_dot2_f32_f16 v103, v117, v6, v103
	;;#ASMEND
	;; [unrolled: 3-line block ×16, first 2 shown]
	s_waitcnt lgkmcnt(0)
	;;#ASMSTART
	v_dot2_f32_f16 v85, v120, v5, v85
	;;#ASMEND
	;;#ASMSTART
	v_dot2_f32_f16 v85, v121, v6, v85
	;;#ASMEND
	;; [unrolled: 3-line block ×11, first 2 shown]
	v_add3_u32 v13, s4, 32, v39
	;;#ASMSTART
	v_dot2_f32_f16 v80, v123, v107, v80
	;;#ASMEND
	;;#ASMSTART
	v_dot2_f32_f16 v95, v120, v108, v95
	;;#ASMEND
	;; [unrolled: 3-line block ×5, first 2 shown]
	ds_load_b128 v[1:4], v38 offset:36896
	ds_load_b128 v[5:8], v0 offset:32
	;; [unrolled: 1-line block ×8, first 2 shown]
	s_waitcnt lgkmcnt(6)
	;;#ASMSTART
	v_dot2_f32_f16 v76, v1, v5, v76
	;;#ASMEND
	;;#ASMSTART
	v_dot2_f32_f16 v76, v2, v6, v76
	;;#ASMEND
	;;#ASMSTART
	v_dot2_f32_f16 v76, v3, v7, v76
	;;#ASMEND
	;;#ASMSTART
	v_dot2_f32_f16 v76, v4, v8, v76
	;;#ASMEND
	s_waitcnt lgkmcnt(5)
	;;#ASMSTART
	v_dot2_f32_f16 v79, v1, v9, v79
	;;#ASMEND
	;;#ASMSTART
	v_dot2_f32_f16 v79, v2, v10, v79
	;;#ASMEND
	;;#ASMSTART
	v_dot2_f32_f16 v79, v3, v11, v79
	;;#ASMEND
	;;#ASMSTART
	v_dot2_f32_f16 v79, v4, v12, v79
	;;#ASMEND
	;; [unrolled: 13-line block ×5, first 2 shown]
	;;#ASMSTART
	v_dot2_f32_f16 v97, v112, v9, v97
	;;#ASMEND
	;;#ASMSTART
	v_dot2_f32_f16 v97, v113, v10, v97
	;;#ASMEND
	;; [unrolled: 3-line block ×12, first 2 shown]
	s_waitcnt lgkmcnt(1)
	;;#ASMSTART
	v_dot2_f32_f16 v103, v116, v5, v103
	;;#ASMEND
	;;#ASMSTART
	v_dot2_f32_f16 v103, v117, v6, v103
	;;#ASMEND
	;; [unrolled: 3-line block ×16, first 2 shown]
	s_waitcnt lgkmcnt(0)
	;;#ASMSTART
	v_dot2_f32_f16 v85, v120, v5, v85
	;;#ASMEND
	;;#ASMSTART
	v_dot2_f32_f16 v85, v121, v6, v85
	;;#ASMEND
	;;#ASMSTART
	v_dot2_f32_f16 v85, v122, v7, v85
	;;#ASMEND
	;;#ASMSTART
	v_dot2_f32_f16 v85, v123, v8, v85
	;;#ASMEND
	;;#ASMSTART
	v_dot2_f32_f16 v98, v120, v9, v98
	;;#ASMEND
	;;#ASMSTART
	v_dot2_f32_f16 v98, v121, v10, v98
	;;#ASMEND
	;;#ASMSTART
	v_dot2_f32_f16 v98, v122, v11, v98
	;;#ASMEND
	;;#ASMSTART
	v_dot2_f32_f16 v98, v123, v12, v98
	;;#ASMEND
	;;#ASMSTART
	v_dot2_f32_f16 v80, v120, v104, v80
	;;#ASMEND
	;;#ASMSTART
	v_dot2_f32_f16 v80, v121, v105, v80
	;;#ASMEND
	;;#ASMSTART
	v_dot2_f32_f16 v80, v122, v106, v80
	;;#ASMEND
	v_add3_u32 v13, s4, 48, v39
	;;#ASMSTART
	v_dot2_f32_f16 v80, v123, v107, v80
	;;#ASMEND
	;;#ASMSTART
	v_dot2_f32_f16 v95, v120, v108, v95
	;;#ASMEND
	;; [unrolled: 3-line block ×5, first 2 shown]
	ds_load_b128 v[1:4], v38 offset:36912
	ds_load_b128 v[5:8], v0 offset:48
	;; [unrolled: 1-line block ×8, first 2 shown]
	s_waitcnt lgkmcnt(6)
	;;#ASMSTART
	v_dot2_f32_f16 v76, v1, v5, v76
	;;#ASMEND
	;;#ASMSTART
	v_dot2_f32_f16 v76, v2, v6, v76
	;;#ASMEND
	;;#ASMSTART
	v_dot2_f32_f16 v76, v3, v7, v76
	;;#ASMEND
	;;#ASMSTART
	v_dot2_f32_f16 v76, v4, v8, v76
	;;#ASMEND
	s_waitcnt lgkmcnt(5)
	;;#ASMSTART
	v_dot2_f32_f16 v79, v1, v9, v79
	;;#ASMEND
	;;#ASMSTART
	v_dot2_f32_f16 v79, v2, v10, v79
	;;#ASMEND
	;;#ASMSTART
	v_dot2_f32_f16 v79, v3, v11, v79
	;;#ASMEND
	;;#ASMSTART
	v_dot2_f32_f16 v79, v4, v12, v79
	;;#ASMEND
	;; [unrolled: 13-line block ×5, first 2 shown]
	;;#ASMSTART
	v_dot2_f32_f16 v97, v112, v9, v97
	;;#ASMEND
	;;#ASMSTART
	v_dot2_f32_f16 v97, v113, v10, v97
	;;#ASMEND
	;; [unrolled: 3-line block ×12, first 2 shown]
	s_waitcnt lgkmcnt(1)
	;;#ASMSTART
	v_dot2_f32_f16 v103, v116, v5, v103
	;;#ASMEND
	;;#ASMSTART
	v_dot2_f32_f16 v103, v117, v6, v103
	;;#ASMEND
	;;#ASMSTART
	v_dot2_f32_f16 v103, v118, v7, v103
	;;#ASMEND
	;;#ASMSTART
	v_dot2_f32_f16 v103, v119, v8, v103
	;;#ASMEND
	;;#ASMSTART
	v_dot2_f32_f16 v102, v116, v9, v102
	;;#ASMEND
	;;#ASMSTART
	v_dot2_f32_f16 v102, v117, v10, v102
	;;#ASMEND
	;;#ASMSTART
	v_dot2_f32_f16 v102, v118, v11, v102
	;;#ASMEND
	;;#ASMSTART
	v_dot2_f32_f16 v102, v119, v12, v102
	;;#ASMEND
	;;#ASMSTART
	v_dot2_f32_f16 v101, v116, v104, v101
	;;#ASMEND
	;;#ASMSTART
	v_dot2_f32_f16 v101, v117, v105, v101
	;;#ASMEND
	;;#ASMSTART
	v_dot2_f32_f16 v101, v118, v106, v101
	;;#ASMEND
	;;#ASMSTART
	v_dot2_f32_f16 v101, v119, v107, v101
	;;#ASMEND
	;;#ASMSTART
	v_dot2_f32_f16 v100, v116, v108, v100
	;;#ASMEND
	;;#ASMSTART
	v_dot2_f32_f16 v100, v117, v109, v100
	;;#ASMEND
	;;#ASMSTART
	v_dot2_f32_f16 v100, v118, v110, v100
	;;#ASMEND
	;;#ASMSTART
	v_dot2_f32_f16 v100, v119, v111, v100
	;;#ASMEND
	s_waitcnt lgkmcnt(0)
	;;#ASMSTART
	v_dot2_f32_f16 v85, v120, v5, v85
	;;#ASMEND
	;;#ASMSTART
	v_dot2_f32_f16 v85, v121, v6, v85
	;;#ASMEND
	;; [unrolled: 3-line block ×11, first 2 shown]
	v_add3_u32 v13, s4, 64, v39
	;;#ASMSTART
	v_dot2_f32_f16 v80, v123, v107, v80
	;;#ASMEND
	;;#ASMSTART
	v_dot2_f32_f16 v95, v120, v108, v95
	;;#ASMEND
	;;#ASMSTART
	v_dot2_f32_f16 v95, v121, v109, v95
	;;#ASMEND
	;;#ASMSTART
	v_dot2_f32_f16 v95, v122, v110, v95
	;;#ASMEND
	;;#ASMSTART
	v_dot2_f32_f16 v95, v123, v111, v95
	;;#ASMEND
	ds_load_b128 v[1:4], v38 offset:36928
	ds_load_b128 v[5:8], v0 offset:64
	;; [unrolled: 1-line block ×8, first 2 shown]
	s_waitcnt lgkmcnt(6)
	;;#ASMSTART
	v_dot2_f32_f16 v76, v1, v5, v76
	;;#ASMEND
	;;#ASMSTART
	v_dot2_f32_f16 v76, v2, v6, v76
	;;#ASMEND
	;;#ASMSTART
	v_dot2_f32_f16 v76, v3, v7, v76
	;;#ASMEND
	;;#ASMSTART
	v_dot2_f32_f16 v76, v4, v8, v76
	;;#ASMEND
	s_waitcnt lgkmcnt(5)
	;;#ASMSTART
	v_dot2_f32_f16 v79, v1, v9, v79
	;;#ASMEND
	;;#ASMSTART
	v_dot2_f32_f16 v79, v2, v10, v79
	;;#ASMEND
	;;#ASMSTART
	v_dot2_f32_f16 v79, v3, v11, v79
	;;#ASMEND
	;;#ASMSTART
	v_dot2_f32_f16 v79, v4, v12, v79
	;;#ASMEND
	;; [unrolled: 13-line block ×5, first 2 shown]
	;;#ASMSTART
	v_dot2_f32_f16 v97, v112, v9, v97
	;;#ASMEND
	;;#ASMSTART
	v_dot2_f32_f16 v97, v113, v10, v97
	;;#ASMEND
	;; [unrolled: 3-line block ×12, first 2 shown]
	s_waitcnt lgkmcnt(1)
	;;#ASMSTART
	v_dot2_f32_f16 v103, v116, v5, v103
	;;#ASMEND
	;;#ASMSTART
	v_dot2_f32_f16 v103, v117, v6, v103
	;;#ASMEND
	;;#ASMSTART
	v_dot2_f32_f16 v103, v118, v7, v103
	;;#ASMEND
	;;#ASMSTART
	v_dot2_f32_f16 v103, v119, v8, v103
	;;#ASMEND
	;;#ASMSTART
	v_dot2_f32_f16 v102, v116, v9, v102
	;;#ASMEND
	;;#ASMSTART
	v_dot2_f32_f16 v102, v117, v10, v102
	;;#ASMEND
	;;#ASMSTART
	v_dot2_f32_f16 v102, v118, v11, v102
	;;#ASMEND
	;;#ASMSTART
	v_dot2_f32_f16 v102, v119, v12, v102
	;;#ASMEND
	;;#ASMSTART
	v_dot2_f32_f16 v101, v116, v104, v101
	;;#ASMEND
	;;#ASMSTART
	v_dot2_f32_f16 v101, v117, v105, v101
	;;#ASMEND
	;;#ASMSTART
	v_dot2_f32_f16 v101, v118, v106, v101
	;;#ASMEND
	;;#ASMSTART
	v_dot2_f32_f16 v101, v119, v107, v101
	;;#ASMEND
	;;#ASMSTART
	v_dot2_f32_f16 v100, v116, v108, v100
	;;#ASMEND
	;;#ASMSTART
	v_dot2_f32_f16 v100, v117, v109, v100
	;;#ASMEND
	;;#ASMSTART
	v_dot2_f32_f16 v100, v118, v110, v100
	;;#ASMEND
	;;#ASMSTART
	v_dot2_f32_f16 v100, v119, v111, v100
	;;#ASMEND
	s_waitcnt lgkmcnt(0)
	;;#ASMSTART
	v_dot2_f32_f16 v85, v120, v5, v85
	;;#ASMEND
	;;#ASMSTART
	v_dot2_f32_f16 v85, v121, v6, v85
	;;#ASMEND
	;; [unrolled: 3-line block ×11, first 2 shown]
	v_add3_u32 v13, 0x50, s4, v39
	;;#ASMSTART
	v_dot2_f32_f16 v80, v123, v107, v80
	;;#ASMEND
	;;#ASMSTART
	v_dot2_f32_f16 v95, v120, v108, v95
	;;#ASMEND
	;; [unrolled: 3-line block ×5, first 2 shown]
	ds_load_b128 v[1:4], v38 offset:36944
	ds_load_b128 v[5:8], v0 offset:80
	;; [unrolled: 1-line block ×8, first 2 shown]
	s_waitcnt lgkmcnt(6)
	;;#ASMSTART
	v_dot2_f32_f16 v76, v1, v5, v76
	;;#ASMEND
	;;#ASMSTART
	v_dot2_f32_f16 v76, v2, v6, v76
	;;#ASMEND
	;;#ASMSTART
	v_dot2_f32_f16 v76, v3, v7, v76
	;;#ASMEND
	;;#ASMSTART
	v_dot2_f32_f16 v76, v4, v8, v76
	;;#ASMEND
	s_waitcnt lgkmcnt(5)
	;;#ASMSTART
	v_dot2_f32_f16 v79, v1, v9, v79
	;;#ASMEND
	;;#ASMSTART
	v_dot2_f32_f16 v79, v2, v10, v79
	;;#ASMEND
	;;#ASMSTART
	v_dot2_f32_f16 v79, v3, v11, v79
	;;#ASMEND
	;;#ASMSTART
	v_dot2_f32_f16 v79, v4, v12, v79
	;;#ASMEND
	;; [unrolled: 13-line block ×5, first 2 shown]
	;;#ASMSTART
	v_dot2_f32_f16 v97, v112, v9, v97
	;;#ASMEND
	;;#ASMSTART
	v_dot2_f32_f16 v97, v113, v10, v97
	;;#ASMEND
	;; [unrolled: 3-line block ×12, first 2 shown]
	s_waitcnt lgkmcnt(1)
	;;#ASMSTART
	v_dot2_f32_f16 v103, v116, v5, v103
	;;#ASMEND
	;;#ASMSTART
	v_dot2_f32_f16 v103, v117, v6, v103
	;;#ASMEND
	;; [unrolled: 3-line block ×16, first 2 shown]
	s_waitcnt lgkmcnt(0)
	;;#ASMSTART
	v_dot2_f32_f16 v85, v120, v5, v85
	;;#ASMEND
	;;#ASMSTART
	v_dot2_f32_f16 v85, v121, v6, v85
	;;#ASMEND
	;; [unrolled: 3-line block ×11, first 2 shown]
	v_add3_u32 v13, 0x60, s4, v39
	;;#ASMSTART
	v_dot2_f32_f16 v80, v123, v107, v80
	;;#ASMEND
	;;#ASMSTART
	v_dot2_f32_f16 v95, v120, v108, v95
	;;#ASMEND
	;; [unrolled: 3-line block ×5, first 2 shown]
	ds_load_b128 v[1:4], v38 offset:36960
	ds_load_b128 v[5:8], v0 offset:96
	;; [unrolled: 1-line block ×8, first 2 shown]
	s_waitcnt lgkmcnt(6)
	;;#ASMSTART
	v_dot2_f32_f16 v76, v1, v5, v76
	;;#ASMEND
	;;#ASMSTART
	v_dot2_f32_f16 v76, v2, v6, v76
	;;#ASMEND
	;;#ASMSTART
	v_dot2_f32_f16 v76, v3, v7, v76
	;;#ASMEND
	;;#ASMSTART
	v_dot2_f32_f16 v76, v4, v8, v76
	;;#ASMEND
	s_waitcnt lgkmcnt(5)
	;;#ASMSTART
	v_dot2_f32_f16 v79, v1, v9, v79
	;;#ASMEND
	;;#ASMSTART
	v_dot2_f32_f16 v79, v2, v10, v79
	;;#ASMEND
	;;#ASMSTART
	v_dot2_f32_f16 v79, v3, v11, v79
	;;#ASMEND
	;;#ASMSTART
	v_dot2_f32_f16 v79, v4, v12, v79
	;;#ASMEND
	;; [unrolled: 13-line block ×5, first 2 shown]
	;;#ASMSTART
	v_dot2_f32_f16 v97, v112, v9, v97
	;;#ASMEND
	;;#ASMSTART
	v_dot2_f32_f16 v97, v113, v10, v97
	;;#ASMEND
	;; [unrolled: 3-line block ×12, first 2 shown]
	s_waitcnt lgkmcnt(1)
	;;#ASMSTART
	v_dot2_f32_f16 v103, v116, v5, v103
	;;#ASMEND
	;;#ASMSTART
	v_dot2_f32_f16 v103, v117, v6, v103
	;;#ASMEND
	;; [unrolled: 3-line block ×16, first 2 shown]
	s_waitcnt lgkmcnt(0)
	;;#ASMSTART
	v_dot2_f32_f16 v85, v120, v5, v85
	;;#ASMEND
	;;#ASMSTART
	v_dot2_f32_f16 v85, v121, v6, v85
	;;#ASMEND
	;; [unrolled: 3-line block ×11, first 2 shown]
	v_add3_u32 v13, 0x70, s4, v39
	;;#ASMSTART
	v_dot2_f32_f16 v80, v123, v107, v80
	;;#ASMEND
	;;#ASMSTART
	v_dot2_f32_f16 v95, v120, v108, v95
	;;#ASMEND
	;; [unrolled: 3-line block ×5, first 2 shown]
	ds_load_b128 v[1:4], v38 offset:36976
	ds_load_b128 v[5:8], v0 offset:112
	ds_load_b128 v[9:12], v13 offset:1152
	ds_load_b128 v[104:107], v13 offset:2304
	ds_load_b128 v[108:111], v13 offset:3456
	ds_load_b128 v[112:115], v38 offset:41584
	ds_load_b128 v[116:119], v38 offset:46192
	ds_load_b128 v[120:123], v38 offset:50800
	s_waitcnt lgkmcnt(6)
	;;#ASMSTART
	v_dot2_f32_f16 v76, v1, v5, v76
	;;#ASMEND
	;;#ASMSTART
	v_dot2_f32_f16 v76, v2, v6, v76
	;;#ASMEND
	;;#ASMSTART
	v_dot2_f32_f16 v76, v3, v7, v76
	;;#ASMEND
	;;#ASMSTART
	v_dot2_f32_f16 v76, v4, v8, v76
	;;#ASMEND
	s_waitcnt lgkmcnt(5)
	;;#ASMSTART
	v_dot2_f32_f16 v79, v1, v9, v79
	;;#ASMEND
	;;#ASMSTART
	v_dot2_f32_f16 v79, v2, v10, v79
	;;#ASMEND
	;;#ASMSTART
	v_dot2_f32_f16 v79, v3, v11, v79
	;;#ASMEND
	;;#ASMSTART
	v_dot2_f32_f16 v79, v4, v12, v79
	;;#ASMEND
	;; [unrolled: 13-line block ×5, first 2 shown]
	;;#ASMSTART
	v_dot2_f32_f16 v97, v112, v9, v97
	;;#ASMEND
	;;#ASMSTART
	v_dot2_f32_f16 v97, v113, v10, v97
	;;#ASMEND
	;; [unrolled: 3-line block ×12, first 2 shown]
	s_waitcnt lgkmcnt(1)
	;;#ASMSTART
	v_dot2_f32_f16 v103, v116, v5, v103
	;;#ASMEND
	;;#ASMSTART
	v_dot2_f32_f16 v103, v117, v6, v103
	;;#ASMEND
	;; [unrolled: 3-line block ×16, first 2 shown]
	s_waitcnt lgkmcnt(0)
	;;#ASMSTART
	v_dot2_f32_f16 v85, v120, v5, v85
	;;#ASMEND
	;;#ASMSTART
	v_dot2_f32_f16 v85, v121, v6, v85
	;;#ASMEND
	;;#ASMSTART
	v_dot2_f32_f16 v85, v122, v7, v85
	;;#ASMEND
	;;#ASMSTART
	v_dot2_f32_f16 v85, v123, v8, v85
	;;#ASMEND
	;;#ASMSTART
	v_dot2_f32_f16 v98, v120, v9, v98
	;;#ASMEND
	;;#ASMSTART
	v_dot2_f32_f16 v98, v121, v10, v98
	;;#ASMEND
	;;#ASMSTART
	v_dot2_f32_f16 v98, v122, v11, v98
	;;#ASMEND
	s_cmpk_gt_u32 s19, 0x17f
	;;#ASMSTART
	v_dot2_f32_f16 v98, v123, v12, v98
	;;#ASMEND
	;;#ASMSTART
	v_dot2_f32_f16 v80, v120, v104, v80
	;;#ASMEND
	;;#ASMSTART
	v_dot2_f32_f16 v80, v121, v105, v80
	;;#ASMEND
	s_cselect_b32 s4, -1, 0
	;;#ASMSTART
	v_dot2_f32_f16 v80, v122, v106, v80
	;;#ASMEND
	;;#ASMSTART
	v_dot2_f32_f16 v80, v123, v107, v80
	;;#ASMEND
	;; [unrolled: 3-line block ×3, first 2 shown]
	s_and_b32 vcc_lo, exec_lo, s4
	;;#ASMSTART
	v_dot2_f32_f16 v95, v121, v109, v95
	;;#ASMEND
	;;#ASMSTART
	v_dot2_f32_f16 v95, v122, v110, v95
	;;#ASMEND
	;; [unrolled: 3-line block ×3, first 2 shown]
	s_cbranch_vccnz .LBB0_18
; %bb.20:                               ;   in Loop: Header=BB0_19 Depth=2
	s_barrier
	buffer_gl0_inv
	s_branch .LBB0_18
.LBB0_21:                               ;   in Loop: Header=BB0_17 Depth=1
	v_xor_b32_e32 v12, 16, v33
	v_add_nc_u32_e32 v0, s13, v18
	s_mul_hi_i32 s19, s13, s10
	s_mul_i32 s18, s13, s10
	v_add_nc_u32_e32 v120, v40, v41
	s_lshl_b64 s[18:19], s[18:19], 2
	v_ashrrev_i32_e32 v1, 31, v0
	s_add_u32 s4, s11, s18
	s_addc_u32 s17, s16, s19
	s_delay_alu instid0(VALU_DEP_1) | instskip(NEXT) | instid1(VALU_DEP_1)
	v_lshlrev_b64 v[0:1], 1, v[0:1]
	v_add_co_u32 v3, vcc_lo, s36, v0
	s_delay_alu instid0(VALU_DEP_2)
	v_add_co_ci_u32_e32 v4, vcc_lo, s37, v1, vcc_lo
	s_clause 0x3
	flat_load_u16 v0, v[3:4] offset:64
	flat_load_u16 v2, v[3:4] offset:128
	flat_load_u16 v1, v[3:4]
	flat_load_u16 v3, v[3:4] offset:192
	v_add_co_u32 v4, vcc_lo, s4, v27
	v_add_co_ci_u32_e32 v5, vcc_lo, s17, v28, vcc_lo
	s_waitcnt vmcnt(0) lgkmcnt(0)
	s_barrier
	buffer_gl0_inv
	v_cvt_f32_f16_e32 v0, v0
	v_cvt_f32_f16_e32 v2, v2
	v_lshlrev_b32_e32 v90, 2, v31
	v_cvt_f32_f16_e32 v1, v1
	v_cvt_f32_f16_e32 v3, v3
	v_add_f32_e32 v104, v99, v0
	v_add_f32_e32 v103, v103, v2
	v_add_co_u32 v8, vcc_lo, v4, v90
	v_add_co_ci_u32_e32 v9, vcc_lo, 0, v5, vcc_lo
	s_clause 0x1
	global_load_b128 v[4:7], v[8:9], off
	global_load_b128 v[8:11], v[8:9], off offset:512
	v_cmp_gt_i32_e32 vcc_lo, 32, v12
	v_dual_add_f32 v105, v97, v0 :: v_dual_add_f32 v106, v102, v2
	v_dual_add_f32 v107, v96, v0 :: v_dual_add_f32 v108, v101, v2
	v_cndmask_b32_e32 v13, v33, v12, vcc_lo
	v_dual_add_f32 v109, v84, v0 :: v_dual_add_f32 v112, v85, v3
	v_dual_add_f32 v110, v100, v2 :: v_dual_add_f32 v79, v79, v1
	s_delay_alu instid0(VALU_DEP_3) | instskip(SKIP_1) | instid1(VALU_DEP_3)
	v_lshlrev_b32_e32 v13, 2, v13
	v_dual_add_f32 v76, v76, v1 :: v_dual_add_f32 v111, v98, v3
	v_dual_add_f32 v78, v78, v1 :: v_dual_add_f32 v15, 0x40051340, v79
	v_dual_add_f32 v113, v55, v1 :: v_dual_add_f32 v80, v80, v3
	v_dual_add_f32 v114, v95, v3 :: v_dual_add_f32 v1, 0x40051340, v105
	v_dual_add_f32 v0, 0x40051340, v104 :: v_dual_add_f32 v3, 0x40051340, v109
	v_dual_add_f32 v2, 0x40051340, v107 :: v_dual_add_f32 v85, 0x40051340, v112
	v_dual_add_f32 v14, 0x40051340, v76 :: v_dual_add_f32 v55, 0x40051340, v103
	v_dual_add_f32 v96, 0x40051340, v113 :: v_dual_add_f32 v97, 0x40051340, v78
	v_dual_add_f32 v84, 0x40051340, v106 :: v_dual_add_f32 v95, 0x40051340, v111
	v_dual_add_f32 v98, 0x40051340, v108 :: v_dual_add_f32 v99, 0x40051340, v110
	v_add_f32_e32 v100, 0x40051340, v80
	v_max3_f32 v0, v91, v14, v0
	v_add_f32_e32 v14, 0x40051340, v114
	v_max3_f32 v1, v94, v15, v1
	v_max3_f32 v3, v92, v97, v3
	;; [unrolled: 1-line block ×4, first 2 shown]
	s_delay_alu instid0(VALU_DEP_4) | instskip(NEXT) | instid1(VALU_DEP_4)
	v_max3_f32 v1, v1, v84, v95
	v_max3_f32 v3, v3, v99, v14
	s_delay_alu instid0(VALU_DEP_4)
	v_max3_f32 v2, v2, v98, v100
	ds_bpermute_b32 v14, v13, v0
	ds_bpermute_b32 v15, v13, v1
	;; [unrolled: 1-line block ×4, first 2 shown]
	v_xor_b32_e32 v13, 8, v33
	s_delay_alu instid0(VALU_DEP_1) | instskip(SKIP_2) | instid1(VALU_DEP_1)
	v_cmp_gt_i32_e32 vcc_lo, 32, v13
	v_cndmask_b32_e32 v85, v33, v13, vcc_lo
	s_waitcnt lgkmcnt(3)
	v_dual_max_f32 v14, v14, v14 :: v_dual_lshlrev_b32 v85, 2, v85
	s_waitcnt lgkmcnt(2)
	v_max_f32_e32 v15, v15, v15
	s_waitcnt lgkmcnt(0)
	v_dual_max_f32 v55, v55, v55 :: v_dual_max_f32 v84, v84, v84
	s_delay_alu instid0(VALU_DEP_2) | instskip(NEXT) | instid1(VALU_DEP_2)
	v_dual_max_f32 v0, v0, v14 :: v_dual_max_f32 v1, v1, v15
	v_dual_max_f32 v3, v3, v55 :: v_dual_max_f32 v2, v2, v84
	v_xor_b32_e32 v14, 4, v33
	ds_bpermute_b32 v15, v85, v0
	ds_bpermute_b32 v55, v85, v1
	;; [unrolled: 1-line block ×4, first 2 shown]
	v_cmp_gt_i32_e32 vcc_lo, 32, v14
	s_waitcnt lgkmcnt(1)
	v_dual_cndmask_b32 v95, v33, v14 :: v_dual_max_f32 v84, v84, v84
	s_waitcnt lgkmcnt(0)
	v_max_f32_e32 v85, v85, v85
	v_max_f32_e32 v15, v15, v15
	s_delay_alu instid0(VALU_DEP_2) | instskip(NEXT) | instid1(VALU_DEP_2)
	v_dual_max_f32 v2, v2, v85 :: v_dual_lshlrev_b32 v95, 2, v95
	v_max_f32_e32 v0, v0, v15
	v_xor_b32_e32 v15, 2, v33
	s_delay_alu instid0(VALU_DEP_1) | instskip(SKIP_1) | instid1(VALU_DEP_1)
	v_cmp_gt_i32_e32 vcc_lo, 32, v15
	v_dual_max_f32 v3, v3, v84 :: v_dual_cndmask_b32 v96, v33, v15
	v_dual_max_f32 v55, v55, v55 :: v_dual_lshlrev_b32 v96, 2, v96
	s_delay_alu instid0(VALU_DEP_1)
	v_max_f32_e32 v1, v1, v55
	ds_bpermute_b32 v84, v95, v1
	s_waitcnt lgkmcnt(0)
	v_max_f32_e32 v84, v84, v84
	ds_bpermute_b32 v55, v95, v0
	ds_bpermute_b32 v85, v95, v3
	;; [unrolled: 1-line block ×3, first 2 shown]
	v_max_f32_e32 v1, v1, v84
	s_waitcnt lgkmcnt(2)
	v_max_f32_e32 v55, v55, v55
	s_waitcnt lgkmcnt(1)
	s_delay_alu instid0(VALU_DEP_1) | instskip(NEXT) | instid1(VALU_DEP_1)
	v_dual_max_f32 v85, v85, v85 :: v_dual_max_f32 v0, v0, v55
	v_max_f32_e32 v3, v3, v85
	ds_bpermute_b32 v85, v96, v1
	v_xor_b32_e32 v55, 1, v33
	ds_bpermute_b32 v84, v96, v0
	v_cmp_gt_i32_e32 vcc_lo, 32, v55
	v_cndmask_b32_e32 v97, v33, v55, vcc_lo
	s_delay_alu instid0(VALU_DEP_1) | instskip(SKIP_4) | instid1(VALU_DEP_2)
	v_lshlrev_b32_e32 v97, 2, v97
	s_waitcnt lgkmcnt(1)
	v_max_f32_e32 v85, v85, v85
	s_waitcnt lgkmcnt(0)
	v_dual_max_f32 v95, v95, v95 :: v_dual_max_f32 v84, v84, v84
	v_max_f32_e32 v116, v1, v85
	s_delay_alu instid0(VALU_DEP_2)
	v_max_f32_e32 v2, v2, v95
	ds_bpermute_b32 v95, v96, v3
	v_dual_max_f32 v115, v0, v84 :: v_dual_add_nc_u32 v84, 0x9800, v41
	v_add_co_u32 v0, vcc_lo, s4, v29
	ds_bpermute_b32 v96, v96, v2
	v_add_co_ci_u32_e32 v1, vcc_lo, s17, v30, vcc_lo
	v_add_co_u32 v0, vcc_lo, v0, v90
	ds_bpermute_b32 v117, v97, v116
	v_add_co_ci_u32_e32 v1, vcc_lo, 0, v1, vcc_lo
	s_or_b32 s4, s13, 16
	s_delay_alu instid0(SALU_CYCLE_1) | instskip(SKIP_1) | instid1(SALU_CYCLE_1)
	s_mul_hi_i32 s19, s4, s10
	s_mul_i32 s18, s4, s10
	s_lshl_b64 s[18:19], s[18:19], 2
	s_waitcnt lgkmcnt(2)
	v_max_f32_e32 v95, v95, v95
	s_add_u32 s4, s11, s18
	s_addc_u32 s17, s16, s19
	s_waitcnt lgkmcnt(1)
	v_max_f32_e32 v96, v96, v96
	s_delay_alu instid0(VALU_DEP_1)
	v_dual_max_f32 v2, v2, v96 :: v_dual_max_f32 v3, v3, v95
	ds_bpermute_b32 v95, v97, v115
	ds_bpermute_b32 v119, v97, v2
	;; [unrolled: 1-line block ×3, first 2 shown]
	s_waitcnt lgkmcnt(2)
	v_max_f32_e32 v121, v95, v95
	s_clause 0x1
	global_load_b128 v[95:98], v[0:1], off
	global_load_b128 v[99:102], v[0:1], off offset:512
	v_max_f32_e32 v1, v117, v117
	s_waitcnt vmcnt(3)
	ds_store_b128 v42, v[4:7]
	s_waitcnt vmcnt(2)
	ds_store_b128 v43, v[8:11]
	v_max_f32_e32 v1, v116, v1
	s_delay_alu instid0(VALU_DEP_1) | instskip(SKIP_3) | instid1(VALU_DEP_3)
	v_sub_f32_e32 v10, v94, v1
	s_waitcnt lgkmcnt(2)
	v_dual_max_f32 v117, v118, v118 :: v_dual_max_f32 v0, v115, v121
	v_dual_max_f32 v118, v119, v119 :: v_dual_add_nc_u32 v85, 0x9000, v41
	v_mul_f32_e32 v116, 0x3fb8aa3b, v10
	s_delay_alu instid0(VALU_DEP_3) | instskip(NEXT) | instid1(VALU_DEP_3)
	v_sub_f32_e32 v4, v91, v0
	v_max_f32_e32 v2, v2, v118
	v_dual_sub_f32 v6, v76, v0 :: v_dual_max_f32 v3, v3, v117
	v_sub_f32_e32 v8, v103, v0
	v_rndne_f32_e32 v147, v116
	s_delay_alu instid0(VALU_DEP_4) | instskip(NEXT) | instid1(VALU_DEP_4)
	v_sub_f32_e32 v80, v80, v2
	v_dual_sub_f32 v5, v104, v0 :: v_dual_sub_f32 v78, v78, v3
	v_dual_sub_f32 v9, v112, v0 :: v_dual_sub_f32 v104, v109, v3
	s_delay_alu instid0(VALU_DEP_3)
	v_dual_mul_f32 v109, 0x3fb8aa3b, v6 :: v_dual_mul_f32 v122, 0x3fb8aa3b, v80
	v_sub_f32_e32 v91, v93, v2
	v_dual_sub_f32 v93, v107, v2 :: v_dual_mul_f32 v112, 0x3fb8aa3b, v4
	v_sub_f32_e32 v94, v113, v2
	v_sub_f32_e32 v11, v105, v1
	;; [unrolled: 1-line block ×3, first 2 shown]
	v_dual_sub_f32 v106, v114, v3 :: v_dual_mul_f32 v107, 0x3fb8aa3b, v5
	v_mul_f32_e32 v118, 0x3fb8aa3b, v78
	v_fma_f32 v132, 0x3fb8aa3b, v6, -v109
	v_rndne_f32_e32 v133, v109
	v_dual_sub_f32 v7, v79, v1 :: v_dual_sub_f32 v92, v92, v3
	v_sub_f32_e32 v79, v111, v1
	v_dual_sub_f32 v103, v108, v2 :: v_dual_mul_f32 v114, 0x3fb8aa3b, v76
	v_dual_sub_f32 v105, v110, v3 :: v_dual_mul_f32 v110, 0x3fb8aa3b, v8
	v_dual_mul_f32 v111, 0x3fb8aa3b, v9 :: v_dual_mul_f32 v124, 0x3fb8aa3b, v104
	v_dual_mul_f32 v113, 0x3fb8aa3b, v11 :: v_dual_mul_f32 v126, 0x3fb8aa3b, v106
	v_fma_f32 v150, 0x3fb8aa3b, v78, -v118
	v_dual_fmac_f32 v132, 0x32a5705f, v6 :: v_dual_sub_f32 v109, v109, v133
	v_mul_f32_e32 v108, 0x3fb8aa3b, v7
	v_fma_f32 v128, 0x3fb8aa3b, v5, -v107
	v_rndne_f32_e32 v129, v107
	v_fma_f32 v134, 0x3fb8aa3b, v8, -v110
	v_fma_f32 v136, 0x3fb8aa3b, v9, -v111
	v_rndne_f32_e32 v137, v111
	v_rndne_f32_e32 v161, v124
	v_mul_f32_e32 v121, 0x3fb8aa3b, v103
	v_rndne_f32_e32 v165, v126
	v_mul_f32_e32 v123, 0x3fb8aa3b, v91
	v_dual_fmac_f32 v150, 0x32a5705f, v78 :: v_dual_add_f32 v109, v109, v132
	v_fma_f32 v130, 0x3fb8aa3b, v7, -v108
	v_rndne_f32_e32 v131, v108
	v_rndne_f32_e32 v135, v110
	v_mul_f32_e32 v119, 0x3fb8aa3b, v94
	v_fma_f32 v138, 0x3fb8aa3b, v4, -v112
	v_rndne_f32_e32 v139, v112
	v_mul_f32_e32 v125, 0x3fb8aa3b, v105
	v_fma_f32 v140, 0x3fb8aa3b, v11, -v113
	v_rndne_f32_e32 v141, v113
	v_rndne_f32_e32 v151, v118
	v_sub_f32_e32 v112, v112, v139
	v_rndne_f32_e32 v157, v122
	v_mul_f32_e32 v115, 0x3fb8aa3b, v79
	v_fma_f32 v160, 0x3fb8aa3b, v104, -v124
	v_fma_f32 v164, 0x3fb8aa3b, v106, -v126
	v_dual_sub_f32 v107, v107, v129 :: v_dual_fmac_f32 v130, 0x32a5705f, v7
	v_dual_fmac_f32 v134, 0x32a5705f, v8 :: v_dual_sub_f32 v111, v111, v137
	v_sub_f32_e32 v124, v124, v161
	v_rndne_f32_e32 v155, v121
	v_fmac_f32_e32 v128, 0x32a5705f, v5
	v_sub_f32_e32 v126, v126, v165
	v_rndne_f32_e32 v159, v123
	v_fmac_f32_e32 v136, 0x32a5705f, v9
	v_exp_f32_e32 v109, v109
	v_dual_mul_f32 v117, 0x3fb8aa3b, v93 :: v_dual_sub_f32 v108, v108, v131
	v_rndne_f32_e32 v143, v114
	v_mul_f32_e32 v127, 0x3fb8aa3b, v92
	v_fma_f32 v146, 0x3fb8aa3b, v10, -v116
	v_fma_f32 v154, 0x3fb8aa3b, v103, -v121
	;; [unrolled: 1-line block ×5, first 2 shown]
	v_rndne_f32_e32 v163, v125
	v_cvt_i32_f32_e32 v133, v133
	v_sub_f32_e32 v110, v110, v135
	v_fma_f32 v152, 0x3fb8aa3b, v94, -v119
	v_rndne_f32_e32 v153, v119
	v_dual_fmac_f32 v138, 0x32a5705f, v4 :: v_dual_sub_f32 v113, v113, v141
	v_sub_f32_e32 v121, v121, v155
	v_dual_sub_f32 v116, v116, v147 :: v_dual_add_f32 v107, v107, v128
	v_sub_f32_e32 v122, v122, v157
	v_fma_f32 v144, 0x3fb8aa3b, v79, -v115
	v_rndne_f32_e32 v145, v115
	v_fmac_f32_e32 v140, 0x32a5705f, v11
	v_sub_f32_e32 v123, v123, v159
	v_dual_sub_f32 v118, v118, v151 :: v_dual_add_f32 v111, v111, v136
	v_fma_f32 v142, 0x3fb8aa3b, v76, -v114
	v_sub_f32_e32 v114, v114, v143
	v_fma_f32 v166, 0x3fb8aa3b, v92, -v127
	v_dual_fmac_f32 v144, 0x32a5705f, v79 :: v_dual_sub_f32 v119, v119, v153
	v_dual_sub_f32 v115, v115, v145 :: v_dual_fmac_f32 v146, 0x32a5705f, v10
	v_dual_sub_f32 v125, v125, v163 :: v_dual_fmac_f32 v152, 0x32a5705f, v94
	v_dual_add_f32 v113, v113, v140 :: v_dual_fmac_f32 v162, 0x32a5705f, v105
	v_exp_f32_e32 v107, v107
	v_exp_f32_e32 v111, v111
	s_delay_alu instid0(VALU_DEP_2)
	v_add_f32_e32 v119, v119, v152
	v_ldexp_f32 v109, v109, v133
	v_add_f32_e32 v108, v108, v130
	v_fma_f32 v148, 0x3fb8aa3b, v93, -v117
	v_rndne_f32_e32 v167, v127
	v_cvt_i32_f32_e32 v129, v129
	v_cvt_i32_f32_e32 v137, v137
	v_dual_fmac_f32 v166, 0x32a5705f, v92 :: v_dual_add_f32 v125, v125, v162
	v_exp_f32_e32 v108, v108
	v_cvt_i32_f32_e32 v131, v131
	v_dual_fmac_f32 v148, 0x32a5705f, v93 :: v_dual_sub_f32 v127, v127, v167
	v_dual_fmac_f32 v154, 0x32a5705f, v103 :: v_dual_add_f32 v115, v115, v144
	v_fmac_f32_e32 v156, 0x32a5705f, v80
	v_exp_f32_e32 v113, v113
	v_exp_f32_e32 v125, v125
	s_delay_alu instid0(VALU_DEP_2)
	v_add_f32_e32 v121, v121, v154
	v_ldexp_f32 v107, v107, v129
	v_ldexp_f32 v111, v111, v137
	v_add_f32_e32 v110, v110, v134
	v_cmp_ngt_f32_e32 vcc_lo, 0xc2ce8ed0, v5
	v_rndne_f32_e32 v149, v117
	v_cvt_i32_f32_e32 v141, v141
	v_cvt_i32_f32_e32 v163, v163
	v_dual_fmac_f32 v164, 0x32a5705f, v106 :: v_dual_cndmask_b32 v107, 0, v107
	v_dual_add_f32 v122, v122, v156 :: v_dual_add_f32 v127, v127, v166
	v_exp_f32_e32 v110, v110
	v_ldexp_f32 v108, v108, v131
	v_cmp_ngt_f32_e32 vcc_lo, 0xc2ce8ed0, v7
	v_cvt_i32_f32_e32 v135, v135
	v_dual_fmac_f32 v142, 0x32a5705f, v76 :: v_dual_sub_f32 v117, v117, v149
	v_exp_f32_e32 v115, v115
	v_exp_f32_e32 v127, v127
	v_ldexp_f32 v113, v113, v141
	v_add_f32_e32 v112, v112, v138
	v_ldexp_f32 v125, v125, v163
	v_cndmask_b32_e32 v108, 0, v108, vcc_lo
	v_cmp_ngt_f32_e32 vcc_lo, 0xc2ce8ed0, v6
	v_cvt_i32_f32_e32 v145, v145
	v_dual_fmac_f32 v158, 0x32a5705f, v91 :: v_dual_add_f32 v117, v117, v148
	v_cvt_i32_f32_e32 v167, v167
	v_exp_f32_e32 v112, v112
	v_ldexp_f32 v110, v110, v135
	v_cndmask_b32_e32 v109, 0, v109, vcc_lo
	v_cmp_ngt_f32_e32 vcc_lo, 0xc2ce8ed0, v8
	v_cvt_i32_f32_e32 v139, v139
	v_exp_f32_e32 v117, v117
	v_ldexp_f32 v115, v115, v145
	v_add_f32_e32 v114, v114, v142
	v_ldexp_f32 v127, v127, v167
	v_cndmask_b32_e32 v110, 0, v110, vcc_lo
	v_cmp_ngt_f32_e32 vcc_lo, 0xc2ce8ed0, v9
	v_cvt_i32_f32_e32 v149, v149
	v_exp_f32_e32 v114, v114
	v_ldexp_f32 v112, v112, v139
	v_cvt_i32_f32_e32 v143, v143
	v_cndmask_b32_e32 v111, 0, v111, vcc_lo
	v_cmp_ngt_f32_e32 vcc_lo, 0xc2ce8ed0, v4
	v_exp_f32_e32 v119, v119
	v_ldexp_f32 v117, v117, v149
	v_add_f32_e32 v116, v116, v146
	v_cvt_i32_f32_e32 v153, v153
	v_cndmask_b32_e32 v112, 0, v112, vcc_lo
	v_cmp_ngt_f32_e32 vcc_lo, 0xc2ce8ed0, v11
	v_ldexp_f32 v114, v114, v143
	v_exp_f32_e32 v116, v116
	v_cvt_i32_f32_e32 v147, v147
	v_cvt_i32_f32_e32 v151, v151
	v_cndmask_b32_e32 v113, 0, v113, vcc_lo
	v_cmp_ngt_f32_e32 vcc_lo, 0xc2ce8ed0, v76
	v_ldexp_f32 v119, v119, v153
	v_add_f32_e32 v118, v118, v150
	v_exp_f32_e32 v121, v121
	v_cvt_i32_f32_e32 v155, v155
	v_cndmask_b32_e32 v114, 0, v114, vcc_lo
	v_cmp_ngt_f32_e32 vcc_lo, 0xc2ce8ed0, v79
	v_exp_f32_e32 v118, v118
	v_ldexp_f32 v116, v116, v147
	v_dual_fmac_f32 v160, 0x32a5705f, v104 :: v_dual_add_f32 v123, v123, v158
	v_cndmask_b32_e32 v115, 0, v115, vcc_lo
	v_cmp_ngt_f32_e32 vcc_lo, 0xc2ce8ed0, v10
	v_exp_f32_e32 v122, v122
	v_cvt_i32_f32_e32 v157, v157
	v_exp_f32_e32 v123, v123
	v_ldexp_f32 v121, v121, v155
	v_cndmask_b32_e32 v116, 0, v116, vcc_lo
	v_cmp_ngt_f32_e32 vcc_lo, 0xc2ce8ed0, v93
	v_ldexp_f32 v118, v118, v151
	v_cvt_i32_f32_e32 v159, v159
	v_cvt_i32_f32_e32 v161, v161
	;; [unrolled: 1-line block ×3, first 2 shown]
	v_cndmask_b32_e32 v117, 0, v117, vcc_lo
	v_cmp_ngt_f32_e32 vcc_lo, 0xc2ce8ed0, v78
	v_ldexp_f32 v122, v122, v157
	v_ldexp_f32 v123, v123, v159
	v_cndmask_b32_e32 v118, 0, v118, vcc_lo
	v_cmp_ngt_f32_e32 vcc_lo, 0xc2ce8ed0, v94
	v_cndmask_b32_e32 v119, 0, v119, vcc_lo
	v_cmp_ngt_f32_e32 vcc_lo, 0xc2ce8ed0, v103
	v_dual_add_f32 v124, v124, v160 :: v_dual_cndmask_b32 v121, 0, v121
	s_delay_alu instid0(VALU_DEP_1)
	v_exp_f32_e32 v124, v124
	v_cmp_ngt_f32_e32 vcc_lo, 0xc2ce8ed0, v80
	v_cndmask_b32_e32 v122, 0, v122, vcc_lo
	v_cmp_ngt_f32_e32 vcc_lo, 0xc2ce8ed0, v91
	v_add_f32_e32 v126, v126, v164
	s_waitcnt_depctr 0xfff
	v_ldexp_f32 v124, v124, v161
	v_cndmask_b32_e32 v123, 0, v123, vcc_lo
	v_exp_f32_e32 v126, v126
	v_cmp_ngt_f32_e32 vcc_lo, 0xc2ce8ed0, v104
	s_delay_alu instid0(VALU_DEP_3)
	v_cndmask_b32_e32 v124, 0, v124, vcc_lo
	v_cmp_ngt_f32_e32 vcc_lo, 0xc2ce8ed0, v105
	s_waitcnt_depctr 0xfff
	v_ldexp_f32 v126, v126, v165
	v_cndmask_b32_e32 v125, 0, v125, vcc_lo
	v_cmp_ngt_f32_e32 vcc_lo, 0xc2ce8ed0, v106
	s_delay_alu instid0(VALU_DEP_3)
	v_cndmask_b32_e32 v126, 0, v126, vcc_lo
	v_cmp_ngt_f32_e32 vcc_lo, 0xc2ce8ed0, v92
	v_cndmask_b32_e32 v127, 0, v127, vcc_lo
	v_cmp_nlt_f32_e32 vcc_lo, 0x42b17218, v5
	v_cndmask_b32_e32 v5, 0x7f800000, v107, vcc_lo
	v_cmp_nlt_f32_e32 vcc_lo, 0x42b17218, v7
	;; [unrolled: 2-line block ×7, first 2 shown]
	s_delay_alu instid0(VALU_DEP_2) | instskip(SKIP_2) | instid1(VALU_DEP_3)
	v_cvt_f16_f32_e32 v112, v108
	v_cndmask_b32_e32 v4, 0x7f800000, v113, vcc_lo
	v_cmp_nlt_f32_e32 vcc_lo, 0x42b17218, v76
	v_pk_mul_f16 v82, v112, v82 op_sel_hi:[0,1]
	s_delay_alu instid0(VALU_DEP_3)
	v_cvt_f16_f32_e32 v113, v4
	v_cndmask_b32_e32 v9, 0x7f800000, v114, vcc_lo
	v_cmp_nlt_f32_e32 vcc_lo, 0x42b17218, v79
	v_pk_mul_f16 v77, v112, v77 op_sel_hi:[0,1]
	v_pk_mul_f16 v83, v112, v83 op_sel_hi:[0,1]
	;; [unrolled: 1-line block ×4, first 2 shown]
	v_cndmask_b32_e32 v76, 0x7f800000, v115, vcc_lo
	v_cmp_nlt_f32_e32 vcc_lo, 0x42b17218, v10
	v_pk_mul_f16 v73, v112, v73 op_sel_hi:[0,1]
	v_pk_mul_f16 v74, v112, v74 op_sel_hi:[0,1]
	s_delay_alu instid0(VALU_DEP_4)
	v_cvt_f16_f32_e32 v115, v76
	v_cndmask_b32_e32 v109, 0x7f800000, v116, vcc_lo
	v_cmp_nlt_f32_e32 vcc_lo, 0x42b17218, v93
	v_cndmask_b32_e32 v10, 0x7f800000, v117, vcc_lo
	v_cmp_nlt_f32_e32 vcc_lo, 0x42b17218, v78
	;; [unrolled: 2-line block ×4, first 2 shown]
	v_cvt_f16_f32_e32 v103, v5
	v_cvt_f16_f32_e32 v119, v11
	v_cndmask_b32_e32 v79, 0x7f800000, v121, vcc_lo
	v_cmp_nlt_f32_e32 vcc_lo, 0x42b17218, v80
	v_cndmask_b32_e32 v93, 0x7f800000, v122, vcc_lo
	v_cmp_nlt_f32_e32 vcc_lo, 0x42b17218, v91
	;; [unrolled: 2-line block ×3, first 2 shown]
	v_cvt_f16_f32_e32 v104, v8
	s_delay_alu instid0(VALU_DEP_3) | instskip(SKIP_2) | instid1(VALU_DEP_3)
	v_cvt_f16_f32_e32 v118, v110
	v_cndmask_b32_e32 v80, 0x7f800000, v124, vcc_lo
	v_cmp_nlt_f32_e32 vcc_lo, 0x42b17218, v105
	v_pk_mul_f16 v130, v118, v60 op_sel_hi:[0,1]
	s_delay_alu instid0(VALU_DEP_3)
	v_add_f32_e32 v11, v11, v80
	v_cndmask_b32_e32 v91, 0x7f800000, v125, vcc_lo
	v_cmp_nlt_f32_e32 vcc_lo, 0x42b17218, v106
	v_cvt_f16_f32_e32 v80, v80
	v_pk_mul_f16 v131, v118, v59 op_sel_hi:[0,1]
	v_pk_mul_f16 v132, v118, v57 op_sel_hi:[0,1]
	v_pk_mul_f16 v133, v118, v58 op_sel_hi:[0,1]
	v_cndmask_b32_e32 v94, 0x7f800000, v126, vcc_lo
	v_cmp_nlt_f32_e32 vcc_lo, 0x42b17218, v92
	v_add_f32_e32 v92, v6, v5
	v_cvt_f16_f32_e32 v106, v7
	v_dual_add_f32 v5, v7, v4 :: v_dual_add_f32 v4, v78, v10
	v_cvt_f16_f32_e32 v7, v10
	s_delay_alu instid0(VALU_DEP_4)
	v_add_f32_e32 v92, v8, v92
	v_cvt_f16_f32_e32 v78, v78
	v_cvt_f16_f32_e32 v6, v6
	v_add_f32_e32 v129, v79, v4
	v_pack_b32_f16 v7, v7, v80
	v_add_f32_e32 v80, v107, v92
	v_add_f32_e32 v124, v9, v5
	v_pack_b32_f16 v5, v78, v119
	v_cvt_f16_f32_e32 v105, v107
	v_cvt_f16_f32_e32 v114, v9
	v_fmac_f32_e32 v80, v86, v108
	v_add_f32_e32 v78, v93, v129
	v_cvt_f16_f32_e32 v10, v79
	v_cvt_f16_f32_e32 v117, v93
	;; [unrolled: 1-line block ×4, first 2 shown]
	v_fmac_f32_e32 v78, v88, v110
	v_cvt_f16_f32_e32 v121, v91
	v_pack_b32_f16 v4, v6, v106
	v_pack_b32_f16 v6, v103, v113
	v_add_f32_e32 v91, v91, v11
	v_pack_b32_f16 v8, v104, v114
	v_pack_b32_f16 v9, v10, v121
	;; [unrolled: 1-line block ×4, first 2 shown]
	v_cndmask_b32_e32 v111, 0x7f800000, v127, vcc_lo
	v_pk_mul_f16 v125, v116, v68 op_sel_hi:[0,1]
	v_pk_mul_f16 v126, v116, v67 op_sel_hi:[0,1]
	;; [unrolled: 1-line block ×4, first 2 shown]
	ds_store_2addr_b64 v120, v[4:5], v[6:7] offset1:32
	ds_store_2addr_b64 v120, v[8:9], v[10:11] offset0:64 offset1:96
	s_waitcnt vmcnt(1)
	ds_store_b128 v44, v[95:98]
	s_waitcnt vmcnt(0)
	ds_store_b128 v45, v[99:102]
	s_waitcnt lgkmcnt(0)
	s_barrier
	buffer_gl0_inv
	ds_load_2addr_b64 v[57:60], v85 offset1:32
	ds_load_b128 v[65:68], v40
	v_cvt_f16_f32_e32 v123, v111
	v_dual_add_f32 v79, v76, v124 :: v_dual_add_f32 v76, v94, v91
	v_pk_mul_f16 v71, v116, v71 op_sel_hi:[0,1]
	v_pk_mul_f16 v70, v116, v70 op_sel_hi:[0,1]
	s_delay_alu instid0(VALU_DEP_4)
	v_pk_mul_f16 v134, v123, v53 op_sel_hi:[0,1]
	v_pk_mul_f16 v135, v123, v54 op_sel_hi:[0,1]
	;; [unrolled: 1-line block ×8, first 2 shown]
	ds_load_2addr_b64 v[47:50], v85 offset0:64 offset1:96
	ds_load_b128 v[51:54], v40 offset:16
	ds_load_b128 v[8:11], v40 offset:32
	;; [unrolled: 1-line block ×3, first 2 shown]
	ds_load_2addr_b64 v[91:94], v85 offset0:128 offset1:160
	ds_load_2addr_b64 v[95:98], v85 offset0:192 offset1:224
	ds_load_2addr_b64 v[99:102], v84 offset1:32
	ds_load_2addr_b64 v[103:106], v84 offset0:64 offset1:96
	v_pk_mul_f16 v69, v116, v69 op_sel_hi:[0,1]
	v_pk_mul_f16 v63, v118, v63 op_sel_hi:[0,1]
	v_pk_mul_f16 v62, v118, v62 op_sel_hi:[0,1]
	v_pk_mul_f16 v61, v118, v61 op_sel_hi:[0,1]
	v_fmac_f32_e32 v79, v87, v109
	s_waitcnt lgkmcnt(8)
	v_pk_mul_f16 v86, v57, v65 op_sel_hi:[1,0]
	v_pk_mul_f16 v87, v57, v65 op_sel:[0,1]
	v_pk_mul_f16 v88, v57, v66 op_sel_hi:[1,0]
	v_fmac_f32_e32 v76, v89, v111
	v_pk_fma_f16 v57, v57, v66, v134 op_sel:[0,1,0]
	v_pk_fma_f16 v82, v58, v65, v82 op_sel_hi:[1,0,1]
	v_pk_fma_f16 v71, v58, v65, v71 op_sel:[0,1,0]
	v_pk_fma_f16 v63, v58, v66, v63 op_sel_hi:[1,0,1]
	;; [unrolled: 2-line block ×6, first 2 shown]
	v_pk_fma_f16 v60, v60, v66, v114 op_sel:[0,1,0]
	s_waitcnt lgkmcnt(7)
	v_pk_fma_f16 v75, v47, v65, v75 op_sel_hi:[1,0,1]
	v_pk_fma_f16 v108, v47, v65, v126 op_sel:[0,1,0]
	v_pk_fma_f16 v109, v47, v66, v131 op_sel_hi:[1,0,1]
	v_pk_fma_f16 v47, v47, v66, v115 op_sel:[0,1,0]
	;; [unrolled: 2-line block ×8, first 2 shown]
	v_pk_fma_f16 v66, v112, v72, v86 op_sel_hi:[0,1,1]
	v_pk_fma_f16 v64, v116, v64, v87 op_sel_hi:[0,1,1]
	;; [unrolled: 1-line block ×3, first 2 shown]
	s_waitcnt lgkmcnt(3)
	v_pk_fma_f16 v72, v92, v67, v82 op_sel_hi:[1,0,1]
	v_pk_fma_f16 v71, v92, v67, v71 op_sel:[0,1,0]
	v_pk_fma_f16 v63, v92, v68, v63 op_sel_hi:[1,0,1]
	v_pk_fma_f16 v58, v92, v68, v58 op_sel:[0,1,0]
	v_pk_fma_f16 v82, v93, v67, v89 op_sel:[0,1,0]
	s_waitcnt lgkmcnt(2)
	v_pk_fma_f16 v75, v95, v67, v75 op_sel_hi:[1,0,1]
	v_pk_fma_f16 v87, v95, v67, v108 op_sel:[0,1,0]
	v_pk_fma_f16 v88, v95, v68, v109 op_sel_hi:[1,0,1]
	v_pk_fma_f16 v89, v95, v68, v47 op_sel:[0,1,0]
	v_pk_fma_f16 v92, v96, v68, v48 op_sel:[0,1,0]
	;; [unrolled: 1-line block ×3, first 2 shown]
	v_pk_fma_f16 v47, v91, v67, v66 op_sel_hi:[1,0,1]
	v_pk_fma_f16 v48, v91, v67, v64 op_sel:[0,1,0]
	v_pk_fma_f16 v49, v91, v68, v56 op_sel_hi:[1,0,1]
	v_pk_fma_f16 v57, v91, v68, v57 op_sel:[0,1,0]
	v_pk_fma_f16 v77, v93, v67, v77 op_sel_hi:[1,0,1]
	v_pk_fma_f16 v86, v93, v68, v107 op_sel_hi:[1,0,1]
	v_pk_fma_f16 v59, v93, v68, v59 op_sel:[0,1,0]
	v_pk_fma_f16 v83, v94, v67, v83 op_sel_hi:[1,0,1]
	v_pk_fma_f16 v70, v94, v67, v70 op_sel:[0,1,0]
	;; [unrolled: 2-line block ×4, first 2 shown]
	v_pk_fma_f16 v61, v96, v68, v61 op_sel_hi:[1,0,1]
	v_pk_fma_f16 v73, v97, v67, v73 op_sel_hi:[1,0,1]
	v_pk_fma_f16 v93, v97, v67, v110 op_sel:[0,1,0]
	v_pk_fma_f16 v94, v97, v68, v111 op_sel_hi:[1,0,1]
	v_pk_fma_f16 v74, v98, v67, v74 op_sel_hi:[1,0,1]
	v_pk_fma_f16 v65, v98, v67, v65 op_sel:[0,1,0]
	v_pk_fma_f16 v96, v98, v68, v113 op_sel_hi:[1,0,1]
	v_pk_fma_f16 v97, v98, v68, v50 op_sel:[0,1,0]
	s_waitcnt lgkmcnt(1)
	v_pk_fma_f16 v66, v100, v51, v72 op_sel_hi:[1,0,1]
	v_pk_fma_f16 v67, v100, v51, v71 op_sel:[0,1,0]
	v_pk_fma_f16 v68, v99, v51, v47 op_sel_hi:[1,0,1]
	v_pk_fma_f16 v71, v99, v51, v48 op_sel:[0,1,0]
	v_pk_fma_f16 v72, v99, v52, v49 op_sel_hi:[1,0,1]
	ds_load_2addr_b64 v[47:50], v84 offset0:128 offset1:160
	v_pk_fma_f16 v63, v100, v52, v63 op_sel_hi:[1,0,1]
	v_pk_fma_f16 v77, v101, v51, v77 op_sel_hi:[1,0,1]
	v_pk_fma_f16 v82, v101, v51, v82 op_sel:[0,1,0]
	v_pk_fma_f16 v83, v102, v51, v83 op_sel_hi:[1,0,1]
	v_pk_fma_f16 v70, v102, v51, v70 op_sel:[0,1,0]
	s_waitcnt lgkmcnt(1)
	v_pk_fma_f16 v75, v103, v51, v75 op_sel_hi:[1,0,1]
	v_pk_fma_f16 v87, v103, v51, v87 op_sel:[0,1,0]
	v_pk_fma_f16 v81, v104, v51, v81 op_sel_hi:[1,0,1]
	v_pk_fma_f16 v69, v104, v51, v69 op_sel:[0,1,0]
	;; [unrolled: 2-line block ×4, first 2 shown]
	v_add_nc_u32_e32 v51, 0xa000, v41
	v_pk_fma_f16 v64, v99, v52, v57 op_sel:[0,1,0]
	v_pk_fma_f16 v91, v100, v52, v58 op_sel:[0,1,0]
	;; [unrolled: 1-line block ×3, first 2 shown]
	ds_load_2addr_b64 v[56:59], v84 offset0:192 offset1:224
	v_pk_fma_f16 v86, v101, v52, v86 op_sel_hi:[1,0,1]
	v_pk_fma_f16 v99, v102, v52, v62 op_sel_hi:[1,0,1]
	v_pk_fma_f16 v100, v102, v52, v60 op_sel:[0,1,0]
	v_pk_fma_f16 v88, v103, v52, v88 op_sel_hi:[1,0,1]
	v_pk_fma_f16 v89, v103, v52, v89 op_sel:[0,1,0]
	;; [unrolled: 2-line block ×5, first 2 shown]
	s_waitcnt lgkmcnt(1)
	v_pk_fma_f16 v97, v48, v54, v63 op_sel_hi:[1,0,1]
	ds_load_2addr_b64 v[60:63], v51 offset1:32
	v_pk_fma_f16 v68, v47, v53, v68 op_sel_hi:[1,0,1]
	v_pk_fma_f16 v71, v47, v53, v71 op_sel:[0,1,0]
	v_pk_fma_f16 v72, v47, v54, v72 op_sel_hi:[1,0,1]
	v_pk_fma_f16 v64, v47, v54, v64 op_sel:[0,1,0]
	;; [unrolled: 2-line block ×3, first 2 shown]
	v_pk_fma_f16 v91, v48, v54, v91 op_sel:[0,1,0]
	v_pk_fma_f16 v77, v49, v53, v77 op_sel_hi:[1,0,1]
	v_pk_fma_f16 v82, v49, v53, v82 op_sel:[0,1,0]
	v_pk_fma_f16 v86, v49, v54, v86 op_sel_hi:[1,0,1]
	v_pk_fma_f16 v98, v49, v54, v98 op_sel:[0,1,0]
	v_pk_fma_f16 v83, v50, v53, v83 op_sel_hi:[1,0,1]
	v_pk_fma_f16 v70, v50, v53, v70 op_sel:[0,1,0]
	v_pk_fma_f16 v99, v50, v54, v99 op_sel_hi:[1,0,1]
	v_pk_fma_f16 v100, v50, v54, v100 op_sel:[0,1,0]
	ds_load_2addr_b64 v[47:50], v51 offset0:64 offset1:96
	s_waitcnt lgkmcnt(2)
	v_pk_fma_f16 v75, v56, v53, v75 op_sel_hi:[1,0,1]
	v_pk_fma_f16 v87, v56, v53, v87 op_sel:[0,1,0]
	v_pk_fma_f16 v88, v56, v54, v88 op_sel_hi:[1,0,1]
	v_pk_fma_f16 v89, v56, v54, v89 op_sel:[0,1,0]
	v_pk_fma_f16 v81, v57, v53, v81 op_sel_hi:[1,0,1]
	v_pk_fma_f16 v69, v57, v53, v69 op_sel:[0,1,0]
	v_pk_fma_f16 v101, v57, v54, v101 op_sel_hi:[1,0,1]
	v_pk_fma_f16 v92, v57, v54, v92 op_sel:[0,1,0]
	v_pk_fma_f16 v73, v58, v53, v73 op_sel_hi:[1,0,1]
	v_pk_fma_f16 v93, v58, v53, v93 op_sel:[0,1,0]
	v_pk_fma_f16 v94, v58, v54, v94 op_sel_hi:[1,0,1]
	v_pk_fma_f16 v95, v58, v54, v95 op_sel:[0,1,0]
	v_pk_fma_f16 v74, v59, v53, v74 op_sel_hi:[1,0,1]
	v_pk_fma_f16 v53, v59, v53, v65 op_sel:[0,1,0]
	v_pk_fma_f16 v65, v59, v54, v96 op_sel_hi:[1,0,1]
	v_pk_fma_f16 v52, v59, v54, v52 op_sel:[0,1,0]
	ds_load_2addr_b64 v[56:59], v51 offset0:128 offset1:160
	s_waitcnt lgkmcnt(2)
	v_pk_fma_f16 v54, v60, v8, v68 op_sel_hi:[1,0,1]
	v_pk_fma_f16 v68, v60, v8, v71 op_sel:[0,1,0]
	v_pk_fma_f16 v71, v60, v9, v72 op_sel_hi:[1,0,1]
	v_pk_fma_f16 v64, v60, v9, v64 op_sel:[0,1,0]
	v_pk_fma_f16 v66, v61, v8, v66 op_sel_hi:[1,0,1]
	v_pk_fma_f16 v67, v61, v8, v67 op_sel:[0,1,0]
	v_pk_fma_f16 v72, v61, v9, v97 op_sel_hi:[1,0,1]
	;; [unrolled: 18-line block ×3, first 2 shown]
	v_pk_fma_f16 v191, v50, v8, v53 op_sel:[0,1,0]
	v_add_co_u32 v8, vcc_lo, s4, v27
	v_pk_fma_f16 v88, v47, v9, v88 op_sel_hi:[1,0,1]
	v_pk_fma_f16 v47, v47, v9, v89 op_sel:[0,1,0]
	v_pk_fma_f16 v184, v48, v9, v101 op_sel_hi:[1,0,1]
	v_pk_fma_f16 v185, v48, v9, v92 op_sel:[0,1,0]
	v_pk_fma_f16 v188, v49, v9, v94 op_sel_hi:[1,0,1]
	v_pk_fma_f16 v189, v49, v9, v95 op_sel:[0,1,0]
	v_add_nc_u32_e32 v49, 0xb800, v41
	v_pk_fma_f16 v192, v50, v9, v65 op_sel_hi:[1,0,1]
	v_pk_fma_f16 v193, v50, v9, v52 op_sel:[0,1,0]
	v_add_co_ci_u32_e32 v9, vcc_lo, s17, v28, vcc_lo
	v_add_co_u32 v53, vcc_lo, s4, v29
	s_waitcnt lgkmcnt(1)
	v_pk_fma_f16 v194, v56, v10, v54 op_sel_hi:[1,0,1]
	v_add_co_ci_u32_e32 v54, vcc_lo, s17, v30, vcc_lo
	v_add_co_u32 v8, vcc_lo, v8, v90
	v_add_co_ci_u32_e32 v9, vcc_lo, 0, v9, vcc_lo
	s_waitcnt lgkmcnt(0)
	v_pk_fma_f16 v207, v60, v10, v75 op_sel_hi:[1,0,1]
	v_add_nc_u32_e32 v52, 0xa800, v41
	v_pk_fma_f16 v208, v60, v10, v87 op_sel:[0,1,0]
	v_pk_fma_f16 v209, v60, v11, v88 op_sel_hi:[1,0,1]
	v_pk_fma_f16 v60, v60, v11, v47 op_sel:[0,1,0]
	v_add_nc_u32_e32 v50, 0xb000, v41
	v_add_nc_u32_e32 v48, 0xc000, v41
	;; [unrolled: 1-line block ×3, first 2 shown]
	v_add_co_u32 v53, vcc_lo, v53, v90
	v_add_co_ci_u32_e32 v54, vcc_lo, 0, v54, vcc_lo
	v_pk_fma_f16 v195, v56, v10, v68 op_sel:[0,1,0]
	v_pk_fma_f16 v196, v56, v11, v71 op_sel_hi:[1,0,1]
	v_pk_fma_f16 v197, v56, v11, v64 op_sel:[0,1,0]
	v_pk_fma_f16 v198, v57, v10, v66 op_sel_hi:[1,0,1]
	;; [unrolled: 2-line block ×7, first 2 shown]
	v_pk_fma_f16 v206, v59, v11, v98 op_sel:[0,1,0]
	ds_load_2addr_b64 v[56:59], v52 offset1:32
	ds_load_2addr_b64 v[64:67], v52 offset0:64 offset1:96
	ds_load_2addr_b64 v[68:71], v52 offset0:128 offset1:160
	;; [unrolled: 1-line block ×3, first 2 shown]
	ds_load_2addr_b64 v[86:89], v50 offset1:32
	ds_load_2addr_b64 v[91:94], v50 offset0:64 offset1:96
	ds_load_2addr_b64 v[95:98], v50 offset0:128 offset1:160
	;; [unrolled: 1-line block ×3, first 2 shown]
	ds_load_2addr_b64 v[103:106], v49 offset1:32
	ds_load_2addr_b64 v[107:110], v49 offset0:64 offset1:96
	ds_load_b128 v[111:114], v40 offset:64
	ds_load_b128 v[115:118], v40 offset:80
	ds_load_2addr_b64 v[119:122], v49 offset0:128 offset1:160
	ds_load_2addr_b64 v[123:126], v49 offset0:192 offset1:224
	ds_load_2addr_b64 v[127:130], v48 offset1:32
	ds_load_2addr_b64 v[131:134], v48 offset0:64 offset1:96
	ds_load_2addr_b64 v[135:138], v48 offset0:128 offset1:160
	;; [unrolled: 1-line block ×3, first 2 shown]
	ds_load_2addr_b64 v[143:146], v47 offset1:32
	ds_load_2addr_b64 v[147:150], v47 offset0:64 offset1:96
	ds_load_b128 v[151:154], v40 offset:96
	ds_load_b128 v[155:158], v40 offset:112
	ds_load_2addr_b64 v[159:162], v47 offset0:128 offset1:160
	ds_load_2addr_b64 v[163:166], v47 offset0:192 offset1:224
	s_waitcnt lgkmcnt(0)
	s_barrier
	buffer_gl0_inv
	s_clause 0x3
	global_load_b128 v[167:170], v[8:9], off
	global_load_b128 v[171:174], v[8:9], off offset:512
	global_load_b128 v[175:178], v[53:54], off
	global_load_b128 v[179:182], v[53:54], off offset:512
	v_pk_fma_f16 v81, v61, v10, v81 op_sel_hi:[1,0,1]
	v_pk_fma_f16 v8, v61, v10, v183 op_sel:[0,1,0]
	v_pk_fma_f16 v9, v61, v11, v184 op_sel_hi:[1,0,1]
	v_pk_fma_f16 v53, v61, v11, v185 op_sel:[0,1,0]
	v_pk_fma_f16 v54, v62, v10, v186 op_sel_hi:[1,0,1]
	v_pk_fma_f16 v61, v62, v10, v187 op_sel:[0,1,0]
	v_pk_fma_f16 v183, v62, v11, v188 op_sel_hi:[1,0,1]
	v_pk_fma_f16 v62, v62, v11, v189 op_sel:[0,1,0]
	v_pk_fma_f16 v184, v63, v10, v190 op_sel_hi:[1,0,1]
	v_pk_fma_f16 v10, v63, v10, v191 op_sel:[0,1,0]
	v_pk_fma_f16 v185, v63, v11, v192 op_sel_hi:[1,0,1]
	v_pk_fma_f16 v11, v63, v11, v193 op_sel:[0,1,0]
	v_pk_fma_f16 v63, v56, v4, v194 op_sel_hi:[1,0,1]
	v_pk_fma_f16 v186, v56, v4, v195 op_sel:[0,1,0]
	v_pk_fma_f16 v187, v56, v5, v196 op_sel_hi:[1,0,1]
	v_pk_fma_f16 v56, v56, v5, v197 op_sel:[0,1,0]
	v_pk_fma_f16 v188, v57, v4, v198 op_sel_hi:[1,0,1]
	v_pk_fma_f16 v189, v57, v4, v199 op_sel:[0,1,0]
	v_pk_fma_f16 v190, v57, v5, v200 op_sel_hi:[1,0,1]
	v_pk_fma_f16 v57, v57, v5, v201 op_sel:[0,1,0]
	v_pk_fma_f16 v77, v58, v4, v77 op_sel_hi:[1,0,1]
	v_pk_fma_f16 v82, v58, v4, v82 op_sel:[0,1,0]
	v_pk_fma_f16 v191, v58, v5, v202 op_sel_hi:[1,0,1]
	v_pk_fma_f16 v58, v58, v5, v203 op_sel:[0,1,0]
	v_pk_fma_f16 v83, v59, v4, v83 op_sel_hi:[1,0,1]
	v_pk_fma_f16 v192, v59, v4, v204 op_sel:[0,1,0]
	v_pk_fma_f16 v193, v59, v5, v205 op_sel_hi:[1,0,1]
	v_pk_fma_f16 v59, v59, v5, v206 op_sel:[0,1,0]
	v_pk_fma_f16 v194, v64, v4, v207 op_sel_hi:[1,0,1]
	v_pk_fma_f16 v195, v64, v4, v208 op_sel:[0,1,0]
	v_pk_fma_f16 v196, v64, v5, v209 op_sel_hi:[1,0,1]
	v_pk_fma_f16 v60, v64, v5, v60 op_sel:[0,1,0]
	v_pk_fma_f16 v64, v65, v4, v81 op_sel_hi:[1,0,1]
	v_pk_fma_f16 v8, v65, v4, v8 op_sel:[0,1,0]
	v_pk_fma_f16 v9, v65, v5, v9 op_sel_hi:[1,0,1]
	v_pk_fma_f16 v53, v65, v5, v53 op_sel:[0,1,0]
	v_pk_fma_f16 v54, v66, v4, v54 op_sel_hi:[1,0,1]
	v_pk_fma_f16 v61, v66, v4, v61 op_sel:[0,1,0]
	v_pk_fma_f16 v65, v66, v5, v183 op_sel_hi:[1,0,1]
	v_pk_fma_f16 v62, v66, v5, v62 op_sel:[0,1,0]
	v_pk_fma_f16 v66, v67, v4, v184 op_sel_hi:[1,0,1]
	v_pk_fma_f16 v4, v67, v4, v10 op_sel:[0,1,0]
	v_pk_fma_f16 v10, v67, v5, v185 op_sel_hi:[1,0,1]
	v_pk_fma_f16 v5, v67, v5, v11 op_sel:[0,1,0]
	v_pk_fma_f16 v11, v68, v6, v63 op_sel_hi:[1,0,1]
	v_pk_fma_f16 v63, v68, v6, v186 op_sel:[0,1,0]
	v_pk_fma_f16 v67, v68, v7, v187 op_sel_hi:[1,0,1]
	v_pk_fma_f16 v56, v68, v7, v56 op_sel:[0,1,0]
	v_pk_fma_f16 v68, v69, v6, v188 op_sel_hi:[1,0,1]
	v_pk_fma_f16 v57, v69, v7, v57 op_sel:[0,1,0]
	v_pk_fma_f16 v58, v70, v7, v58 op_sel:[0,1,0]
	v_pk_fma_f16 v59, v71, v7, v59 op_sel:[0,1,0]
	;; [unrolled: 1-line block ×3, first 2 shown]
	v_pk_fma_f16 v183, v69, v7, v190 op_sel_hi:[1,0,1]
	v_pk_fma_f16 v69, v70, v6, v77 op_sel_hi:[1,0,1]
	v_pk_fma_f16 v77, v70, v6, v82 op_sel:[0,1,0]
	v_pk_fma_f16 v82, v70, v7, v191 op_sel_hi:[1,0,1]
	v_pk_fma_f16 v70, v71, v6, v83 op_sel_hi:[1,0,1]
	v_pk_fma_f16 v83, v71, v6, v192 op_sel:[0,1,0]
	;; [unrolled: 3-line block ×3, first 2 shown]
	v_pk_fma_f16 v60, v72, v7, v60 op_sel:[0,1,0]
	v_pk_fma_f16 v64, v73, v6, v64 op_sel_hi:[1,0,1]
	v_pk_fma_f16 v8, v73, v6, v8 op_sel:[0,1,0]
	v_pk_fma_f16 v54, v74, v6, v54 op_sel_hi:[1,0,1]
	v_pk_fma_f16 v61, v74, v6, v61 op_sel:[0,1,0]
	v_pk_fma_f16 v62, v74, v7, v62 op_sel:[0,1,0]
	v_pk_fma_f16 v66, v75, v6, v66 op_sel_hi:[1,0,1]
	v_pk_fma_f16 v4, v75, v6, v4 op_sel:[0,1,0]
	v_pk_fma_f16 v6, v75, v7, v10 op_sel_hi:[1,0,1]
	v_pk_fma_f16 v10, v86, v111, v63 op_sel:[0,1,0]
	v_pk_fma_f16 v56, v86, v112, v56 op_sel:[0,1,0]
	v_pk_fma_f16 v63, v87, v111, v68 op_sel_hi:[1,0,1]
	v_pk_fma_f16 v57, v87, v112, v57 op_sel:[0,1,0]
	v_pk_fma_f16 v58, v88, v112, v58 op_sel:[0,1,0]
	;; [unrolled: 1-line block ×7, first 2 shown]
	v_pk_fma_f16 v63, v96, v113, v63 op_sel_hi:[1,0,1]
	v_pk_fma_f16 v57, v96, v114, v57 op_sel:[0,1,0]
	v_pk_fma_f16 v58, v97, v114, v58 op_sel:[0,1,0]
	;; [unrolled: 1-line block ×7, first 2 shown]
	v_pk_fma_f16 v63, v104, v115, v63 op_sel_hi:[1,0,1]
	v_pk_fma_f16 v57, v104, v116, v57 op_sel:[0,1,0]
	v_pk_fma_f16 v58, v105, v116, v58 op_sel:[0,1,0]
	;; [unrolled: 1-line block ×3, first 2 shown]
	v_pk_fma_f16 v9, v73, v7, v9 op_sel_hi:[1,0,1]
	v_pk_fma_f16 v65, v74, v7, v65 op_sel_hi:[1,0,1]
	v_pk_fma_f16 v5, v75, v7, v5 op_sel:[0,1,0]
	v_pk_fma_f16 v186, v72, v7, v196 op_sel_hi:[1,0,1]
	v_pk_fma_f16 v53, v73, v7, v53 op_sel:[0,1,0]
	v_pk_fma_f16 v7, v86, v111, v11 op_sel_hi:[1,0,1]
	v_pk_fma_f16 v11, v86, v112, v67 op_sel_hi:[1,0,1]
	v_pk_fma_f16 v67, v87, v111, v81 op_sel:[0,1,0]
	v_pk_fma_f16 v68, v87, v112, v183 op_sel_hi:[1,0,1]
	;; [unrolled: 3-line block ×4, first 2 shown]
	v_pk_fma_f16 v60, v107, v116, v60 op_sel:[0,1,0]
	v_pk_fma_f16 v61, v109, v115, v61 op_sel:[0,1,0]
	;; [unrolled: 1-line block ×4, first 2 shown]
	v_pk_fma_f16 v63, v120, v117, v63 op_sel_hi:[1,0,1]
	v_pk_fma_f16 v57, v120, v118, v57 op_sel:[0,1,0]
	v_pk_fma_f16 v58, v121, v118, v58 op_sel:[0,1,0]
	;; [unrolled: 1-line block ×3, first 2 shown]
	v_pk_fma_f16 v71, v91, v111, v71 op_sel_hi:[1,0,1]
	v_pk_fma_f16 v64, v92, v111, v64 op_sel_hi:[1,0,1]
	v_pk_fma_f16 v8, v92, v111, v8 op_sel:[0,1,0]
	v_pk_fma_f16 v9, v92, v112, v9 op_sel_hi:[1,0,1]
	v_pk_fma_f16 v65, v93, v112, v65 op_sel_hi:[1,0,1]
	;; [unrolled: 1-line block ×3, first 2 shown]
	v_pk_fma_f16 v4, v94, v111, v4 op_sel:[0,1,0]
	v_pk_fma_f16 v6, v94, v112, v6 op_sel_hi:[1,0,1]
	v_pk_fma_f16 v5, v94, v112, v5 op_sel:[0,1,0]
	v_pk_fma_f16 v7, v95, v113, v7 op_sel_hi:[1,0,1]
	;; [unrolled: 2-line block ×4, first 2 shown]
	v_pk_fma_f16 v69, v97, v113, v69 op_sel_hi:[1,0,1]
	v_pk_fma_f16 v72, v97, v113, v72 op_sel:[0,1,0]
	v_pk_fma_f16 v73, v97, v114, v73 op_sel_hi:[1,0,1]
	v_pk_fma_f16 v70, v98, v113, v70 op_sel_hi:[1,0,1]
	v_pk_fma_f16 v74, v98, v113, v74 op_sel:[0,1,0]
	v_pk_fma_f16 v75, v98, v114, v75 op_sel_hi:[1,0,1]
	v_pk_fma_f16 v60, v123, v118, v60 op_sel:[0,1,0]
	v_pk_fma_f16 v61, v125, v117, v61 op_sel:[0,1,0]
	;; [unrolled: 1-line block ×4, first 2 shown]
	v_pk_fma_f16 v63, v128, v151, v63 op_sel_hi:[1,0,1]
	v_pk_fma_f16 v57, v128, v152, v57 op_sel:[0,1,0]
	v_pk_fma_f16 v58, v129, v152, v58 op_sel:[0,1,0]
	;; [unrolled: 1-line block ×3, first 2 shown]
	v_pk_fma_f16 v71, v99, v113, v71 op_sel_hi:[1,0,1]
	v_pk_fma_f16 v64, v100, v113, v64 op_sel_hi:[1,0,1]
	v_pk_fma_f16 v8, v100, v113, v8 op_sel:[0,1,0]
	v_pk_fma_f16 v9, v100, v114, v9 op_sel_hi:[1,0,1]
	v_pk_fma_f16 v65, v101, v114, v65 op_sel_hi:[1,0,1]
	;; [unrolled: 1-line block ×3, first 2 shown]
	v_pk_fma_f16 v4, v102, v113, v4 op_sel:[0,1,0]
	v_pk_fma_f16 v6, v102, v114, v6 op_sel_hi:[1,0,1]
	v_pk_fma_f16 v5, v102, v114, v5 op_sel:[0,1,0]
	v_pk_fma_f16 v7, v103, v115, v7 op_sel_hi:[1,0,1]
	v_pk_fma_f16 v10, v103, v115, v10 op_sel:[0,1,0]
	v_pk_fma_f16 v11, v103, v116, v11 op_sel_hi:[1,0,1]
	v_pk_fma_f16 v67, v104, v115, v67 op_sel:[0,1,0]
	v_pk_fma_f16 v68, v104, v116, v68 op_sel_hi:[1,0,1]
	v_pk_fma_f16 v69, v105, v115, v69 op_sel_hi:[1,0,1]
	v_pk_fma_f16 v72, v105, v115, v72 op_sel:[0,1,0]
	v_pk_fma_f16 v73, v105, v116, v73 op_sel_hi:[1,0,1]
	v_pk_fma_f16 v70, v106, v115, v70 op_sel_hi:[1,0,1]
	v_pk_fma_f16 v74, v106, v115, v74 op_sel:[0,1,0]
	v_pk_fma_f16 v75, v106, v116, v75 op_sel_hi:[1,0,1]
	v_pk_fma_f16 v60, v131, v152, v60 op_sel:[0,1,0]
	v_pk_fma_f16 v61, v133, v151, v61 op_sel:[0,1,0]
	;; [unrolled: 1-line block ×4, first 2 shown]
	v_pk_fma_f16 v63, v136, v153, v63 op_sel_hi:[1,0,1]
	v_pk_fma_f16 v57, v136, v154, v57 op_sel:[0,1,0]
	v_pk_fma_f16 v58, v137, v154, v58 op_sel:[0,1,0]
	;; [unrolled: 1-line block ×3, first 2 shown]
	v_pk_fma_f16 v71, v107, v115, v71 op_sel_hi:[1,0,1]
	v_pk_fma_f16 v64, v108, v115, v64 op_sel_hi:[1,0,1]
	v_pk_fma_f16 v8, v108, v115, v8 op_sel:[0,1,0]
	v_pk_fma_f16 v9, v108, v116, v9 op_sel_hi:[1,0,1]
	v_pk_fma_f16 v65, v109, v116, v65 op_sel_hi:[1,0,1]
	;; [unrolled: 1-line block ×3, first 2 shown]
	v_pk_fma_f16 v4, v110, v115, v4 op_sel:[0,1,0]
	v_pk_fma_f16 v6, v110, v116, v6 op_sel_hi:[1,0,1]
	v_pk_fma_f16 v5, v110, v116, v5 op_sel:[0,1,0]
	v_pk_fma_f16 v77, v91, v111, v185 op_sel:[0,1,0]
	v_pk_fma_f16 v81, v91, v112, v186 op_sel_hi:[1,0,1]
	v_pk_fma_f16 v53, v92, v112, v53 op_sel:[0,1,0]
	v_pk_fma_f16 v54, v93, v111, v54 op_sel_hi:[1,0,1]
	v_pk_fma_f16 v7, v119, v117, v7 op_sel_hi:[1,0,1]
	v_pk_fma_f16 v10, v119, v117, v10 op_sel:[0,1,0]
	v_pk_fma_f16 v11, v119, v118, v11 op_sel_hi:[1,0,1]
	v_pk_fma_f16 v67, v120, v117, v67 op_sel:[0,1,0]
	v_pk_fma_f16 v68, v120, v118, v68 op_sel_hi:[1,0,1]
	v_pk_fma_f16 v69, v121, v117, v69 op_sel_hi:[1,0,1]
	v_pk_fma_f16 v72, v121, v117, v72 op_sel:[0,1,0]
	v_pk_fma_f16 v73, v121, v118, v73 op_sel_hi:[1,0,1]
	;; [unrolled: 3-line block ×3, first 2 shown]
	v_pk_fma_f16 v60, v139, v154, v60 op_sel:[0,1,0]
	v_pk_fma_f16 v61, v141, v153, v61 op_sel:[0,1,0]
	;; [unrolled: 1-line block ×4, first 2 shown]
	v_pk_fma_f16 v63, v144, v155, v63 op_sel_hi:[1,0,1]
	v_pk_fma_f16 v57, v144, v156, v57 op_sel:[0,1,0]
	v_pk_fma_f16 v58, v145, v156, v58 op_sel:[0,1,0]
	;; [unrolled: 1-line block ×3, first 2 shown]
	v_pk_fma_f16 v71, v123, v117, v71 op_sel_hi:[1,0,1]
	v_pk_fma_f16 v64, v124, v117, v64 op_sel_hi:[1,0,1]
	v_pk_fma_f16 v8, v124, v117, v8 op_sel:[0,1,0]
	v_pk_fma_f16 v9, v124, v118, v9 op_sel_hi:[1,0,1]
	v_pk_fma_f16 v65, v125, v118, v65 op_sel_hi:[1,0,1]
	;; [unrolled: 1-line block ×3, first 2 shown]
	v_pk_fma_f16 v4, v126, v117, v4 op_sel:[0,1,0]
	v_pk_fma_f16 v6, v126, v118, v6 op_sel_hi:[1,0,1]
	v_pk_fma_f16 v5, v126, v118, v5 op_sel:[0,1,0]
	v_pk_fma_f16 v77, v99, v113, v77 op_sel:[0,1,0]
	v_pk_fma_f16 v81, v99, v114, v81 op_sel_hi:[1,0,1]
	v_pk_fma_f16 v53, v100, v114, v53 op_sel:[0,1,0]
	v_pk_fma_f16 v54, v101, v113, v54 op_sel_hi:[1,0,1]
	v_pk_fma_f16 v7, v127, v151, v7 op_sel_hi:[1,0,1]
	v_pk_fma_f16 v10, v127, v151, v10 op_sel:[0,1,0]
	v_pk_fma_f16 v11, v127, v152, v11 op_sel_hi:[1,0,1]
	v_pk_fma_f16 v67, v128, v151, v67 op_sel:[0,1,0]
	v_pk_fma_f16 v68, v128, v152, v68 op_sel_hi:[1,0,1]
	v_pk_fma_f16 v69, v129, v151, v69 op_sel_hi:[1,0,1]
	v_pk_fma_f16 v72, v129, v151, v72 op_sel:[0,1,0]
	v_pk_fma_f16 v73, v129, v152, v73 op_sel_hi:[1,0,1]
	;; [unrolled: 3-line block ×3, first 2 shown]
	v_pk_fma_f16 v82, v147, v156, v60 op_sel:[0,1,0]
	v_pk_fma_f16 v83, v149, v155, v61 op_sel:[0,1,0]
	;; [unrolled: 1-line block ×4, first 2 shown]
	v_pk_fma_f16 v92, v160, v157, v63 op_sel_hi:[1,0,1]
	v_pk_fma_f16 v95, v160, v158, v57 op_sel:[0,1,0]
	v_pk_fma_f16 v97, v161, v158, v58 op_sel:[0,1,0]
	;; [unrolled: 1-line block ×3, first 2 shown]
	s_waitcnt vmcnt(3)
	ds_store_b128 v42, v[167:170]
	s_waitcnt vmcnt(2)
	ds_store_b128 v43, v[171:174]
	;; [unrolled: 2-line block ×4, first 2 shown]
	s_waitcnt lgkmcnt(0)
	s_barrier
	buffer_gl0_inv
	ds_load_2addr_b64 v[56:59], v85 offset1:32
	ds_load_b128 v[60:63], v40 offset:128
	v_pk_fma_f16 v71, v131, v151, v71 op_sel_hi:[1,0,1]
	v_pk_fma_f16 v64, v132, v151, v64 op_sel_hi:[1,0,1]
	v_pk_fma_f16 v8, v132, v151, v8 op_sel:[0,1,0]
	v_pk_fma_f16 v9, v132, v152, v9 op_sel_hi:[1,0,1]
	v_pk_fma_f16 v65, v133, v152, v65 op_sel_hi:[1,0,1]
	v_pk_fma_f16 v66, v134, v151, v66 op_sel_hi:[1,0,1]
	v_pk_fma_f16 v4, v134, v151, v4 op_sel:[0,1,0]
	v_pk_fma_f16 v6, v134, v152, v6 op_sel_hi:[1,0,1]
	v_pk_fma_f16 v5, v134, v152, v5 op_sel:[0,1,0]
	v_pk_fma_f16 v77, v107, v115, v77 op_sel:[0,1,0]
	v_pk_fma_f16 v81, v107, v116, v81 op_sel_hi:[1,0,1]
	v_pk_fma_f16 v53, v108, v116, v53 op_sel:[0,1,0]
	v_pk_fma_f16 v54, v109, v115, v54 op_sel_hi:[1,0,1]
	v_pk_fma_f16 v7, v135, v153, v7 op_sel_hi:[1,0,1]
	v_pk_fma_f16 v10, v135, v153, v10 op_sel:[0,1,0]
	v_pk_fma_f16 v11, v135, v154, v11 op_sel_hi:[1,0,1]
	v_pk_fma_f16 v67, v136, v153, v67 op_sel:[0,1,0]
	v_pk_fma_f16 v68, v136, v154, v68 op_sel_hi:[1,0,1]
	v_pk_fma_f16 v69, v137, v153, v69 op_sel_hi:[1,0,1]
	v_pk_fma_f16 v72, v137, v153, v72 op_sel:[0,1,0]
	v_pk_fma_f16 v73, v137, v154, v73 op_sel_hi:[1,0,1]
	v_pk_fma_f16 v70, v138, v153, v70 op_sel_hi:[1,0,1]
	v_pk_fma_f16 v74, v138, v153, v74 op_sel:[0,1,0]
	v_pk_fma_f16 v75, v138, v154, v75 op_sel_hi:[1,0,1]
	v_pk_fma_f16 v71, v139, v153, v71 op_sel_hi:[1,0,1]
	v_pk_fma_f16 v64, v140, v153, v64 op_sel_hi:[1,0,1]
	v_pk_fma_f16 v8, v140, v153, v8 op_sel:[0,1,0]
	v_pk_fma_f16 v9, v140, v154, v9 op_sel_hi:[1,0,1]
	v_pk_fma_f16 v65, v141, v154, v65 op_sel_hi:[1,0,1]
	v_pk_fma_f16 v66, v142, v153, v66 op_sel_hi:[1,0,1]
	v_pk_fma_f16 v4, v142, v153, v4 op_sel:[0,1,0]
	v_pk_fma_f16 v6, v142, v154, v6 op_sel_hi:[1,0,1]
	v_pk_fma_f16 v5, v142, v154, v5 op_sel:[0,1,0]
	v_pk_fma_f16 v77, v123, v117, v77 op_sel:[0,1,0]
	v_pk_fma_f16 v81, v123, v118, v81 op_sel_hi:[1,0,1]
	v_pk_fma_f16 v53, v124, v118, v53 op_sel:[0,1,0]
	v_pk_fma_f16 v54, v125, v117, v54 op_sel_hi:[1,0,1]
	v_pk_fma_f16 v7, v143, v155, v7 op_sel_hi:[1,0,1]
	v_pk_fma_f16 v10, v143, v155, v10 op_sel:[0,1,0]
	v_pk_fma_f16 v11, v143, v156, v11 op_sel_hi:[1,0,1]
	v_pk_fma_f16 v67, v144, v155, v67 op_sel:[0,1,0]
	v_pk_fma_f16 v68, v144, v156, v68 op_sel_hi:[1,0,1]
	v_pk_fma_f16 v69, v145, v155, v69 op_sel_hi:[1,0,1]
	v_pk_fma_f16 v72, v145, v155, v72 op_sel:[0,1,0]
	v_pk_fma_f16 v73, v145, v156, v73 op_sel_hi:[1,0,1]
	v_pk_fma_f16 v70, v146, v155, v70 op_sel_hi:[1,0,1]
	v_pk_fma_f16 v74, v146, v155, v74 op_sel:[0,1,0]
	v_pk_fma_f16 v75, v146, v156, v75 op_sel_hi:[1,0,1]
	;; [unrolled: 24-line block ×3, first 2 shown]
	v_pk_fma_f16 v101, v163, v157, v71 op_sel_hi:[1,0,1]
	v_pk_fma_f16 v102, v164, v157, v64 op_sel_hi:[1,0,1]
	v_pk_fma_f16 v103, v164, v157, v8 op_sel:[0,1,0]
	v_pk_fma_f16 v104, v164, v158, v9 op_sel_hi:[1,0,1]
	v_pk_fma_f16 v105, v165, v158, v65 op_sel_hi:[1,0,1]
	v_pk_fma_f16 v106, v166, v157, v66 op_sel_hi:[1,0,1]
	v_pk_fma_f16 v107, v166, v157, v4 op_sel:[0,1,0]
	v_pk_fma_f16 v108, v166, v158, v6 op_sel_hi:[1,0,1]
	v_pk_fma_f16 v109, v166, v158, v5 op_sel:[0,1,0]
	ds_load_2addr_b64 v[64:67], v85 offset0:64 offset1:96
	ds_load_b128 v[68:71], v40 offset:144
	ds_load_b128 v[8:11], v40 offset:160
	;; [unrolled: 1-line block ×3, first 2 shown]
	v_pk_fma_f16 v77, v139, v153, v77 op_sel:[0,1,0]
	v_pk_fma_f16 v81, v139, v154, v81 op_sel_hi:[1,0,1]
	v_pk_fma_f16 v53, v140, v154, v53 op_sel:[0,1,0]
	v_pk_fma_f16 v54, v141, v153, v54 op_sel_hi:[1,0,1]
	s_waitcnt lgkmcnt(4)
	v_pk_fma_f16 v87, v56, v60, v87 op_sel_hi:[1,0,1]
	v_pk_fma_f16 v88, v56, v60, v88 op_sel:[0,1,0]
	v_pk_fma_f16 v89, v56, v61, v89 op_sel_hi:[1,0,1]
	v_pk_fma_f16 v91, v56, v61, v91 op_sel:[0,1,0]
	;; [unrolled: 2-line block ×7, first 2 shown]
	ds_load_2addr_b64 v[72:75], v85 offset0:128 offset1:160
	v_pk_fma_f16 v99, v59, v61, v99 op_sel_hi:[1,0,1]
	v_pk_fma_f16 v100, v59, v61, v100 op_sel:[0,1,0]
	ds_load_2addr_b64 v[56:59], v85 offset0:192 offset1:224
	v_pk_fma_f16 v77, v147, v155, v77 op_sel:[0,1,0]
	v_pk_fma_f16 v81, v147, v156, v81 op_sel_hi:[1,0,1]
	v_pk_fma_f16 v53, v148, v156, v53 op_sel:[0,1,0]
	v_pk_fma_f16 v54, v149, v155, v54 op_sel_hi:[1,0,1]
	v_pk_fma_f16 v82, v163, v158, v82 op_sel:[0,1,0]
	v_pk_fma_f16 v77, v163, v157, v77 op_sel:[0,1,0]
	v_pk_fma_f16 v81, v163, v158, v81 op_sel_hi:[1,0,1]
	v_pk_fma_f16 v53, v164, v158, v53 op_sel:[0,1,0]
	v_pk_fma_f16 v54, v165, v157, v54 op_sel_hi:[1,0,1]
	v_pk_fma_f16 v83, v165, v157, v83 op_sel:[0,1,0]
	v_pk_fma_f16 v86, v165, v158, v86 op_sel:[0,1,0]
	s_waitcnt lgkmcnt(5)
	v_pk_fma_f16 v101, v64, v60, v101 op_sel_hi:[1,0,1]
	v_pk_fma_f16 v77, v64, v60, v77 op_sel:[0,1,0]
	v_pk_fma_f16 v81, v64, v61, v81 op_sel_hi:[1,0,1]
	v_pk_fma_f16 v82, v64, v61, v82 op_sel:[0,1,0]
	;; [unrolled: 2-line block ×8, first 2 shown]
	ds_load_2addr_b64 v[64:67], v84 offset1:32
	s_waitcnt lgkmcnt(2)
	v_pk_fma_f16 v87, v72, v62, v87 op_sel_hi:[1,0,1]
	v_pk_fma_f16 v88, v72, v62, v88 op_sel:[0,1,0]
	v_pk_fma_f16 v89, v72, v63, v89 op_sel_hi:[1,0,1]
	v_pk_fma_f16 v91, v72, v63, v91 op_sel:[0,1,0]
	;; [unrolled: 2-line block ×8, first 2 shown]
	s_waitcnt lgkmcnt(1)
	v_pk_fma_f16 v101, v56, v62, v101 op_sel_hi:[1,0,1]
	v_pk_fma_f16 v77, v56, v62, v77 op_sel:[0,1,0]
	v_pk_fma_f16 v81, v56, v63, v81 op_sel_hi:[1,0,1]
	v_pk_fma_f16 v82, v56, v63, v82 op_sel:[0,1,0]
	;; [unrolled: 2-line block ×7, first 2 shown]
	ds_load_2addr_b64 v[72:75], v84 offset0:64 offset1:96
	v_pk_fma_f16 v107, v59, v63, v107 op_sel_hi:[1,0,1]
	v_pk_fma_f16 v111, v59, v63, v61 op_sel:[0,1,0]
	ds_load_2addr_b64 v[56:59], v84 offset0:128 offset1:160
	s_waitcnt lgkmcnt(2)
	v_pk_fma_f16 v87, v64, v68, v87 op_sel_hi:[1,0,1]
	v_pk_fma_f16 v88, v64, v68, v88 op_sel:[0,1,0]
	v_pk_fma_f16 v89, v64, v69, v89 op_sel_hi:[1,0,1]
	v_pk_fma_f16 v64, v64, v69, v91 op_sel:[0,1,0]
	;; [unrolled: 2-line block ×8, first 2 shown]
	s_waitcnt lgkmcnt(1)
	v_pk_fma_f16 v101, v72, v68, v101 op_sel_hi:[1,0,1]
	v_pk_fma_f16 v77, v72, v68, v77 op_sel:[0,1,0]
	v_pk_fma_f16 v81, v72, v69, v81 op_sel_hi:[1,0,1]
	v_pk_fma_f16 v72, v72, v69, v82 op_sel:[0,1,0]
	;; [unrolled: 2-line block ×7, first 2 shown]
	ds_load_2addr_b64 v[60:63], v84 offset0:192 offset1:224
	v_pk_fma_f16 v104, v75, v69, v107 op_sel_hi:[1,0,1]
	v_pk_fma_f16 v69, v75, v69, v111 op_sel:[0,1,0]
	s_waitcnt lgkmcnt(1)
	v_pk_fma_f16 v75, v56, v70, v87 op_sel_hi:[1,0,1]
	v_pk_fma_f16 v87, v56, v70, v88 op_sel:[0,1,0]
	v_pk_fma_f16 v88, v56, v71, v89 op_sel_hi:[1,0,1]
	v_pk_fma_f16 v89, v56, v71, v64 op_sel:[0,1,0]
	v_pk_fma_f16 v105, v57, v71, v65 op_sel:[0,1,0]
	;; [unrolled: 1-line block ×3, first 2 shown]
	ds_load_2addr_b64 v[64:67], v51 offset1:32
	v_pk_fma_f16 v91, v57, v70, v91 op_sel_hi:[1,0,1]
	v_pk_fma_f16 v92, v57, v70, v92 op_sel:[0,1,0]
	v_pk_fma_f16 v93, v57, v71, v93 op_sel_hi:[1,0,1]
	v_pk_fma_f16 v94, v58, v70, v94 op_sel_hi:[1,0,1]
	v_pk_fma_f16 v95, v58, v70, v95 op_sel:[0,1,0]
	v_pk_fma_f16 v96, v58, v71, v96 op_sel_hi:[1,0,1]
	;; [unrolled: 3-line block ×3, first 2 shown]
	v_pk_fma_f16 v100, v59, v71, v100 op_sel:[0,1,0]
	ds_load_2addr_b64 v[56:59], v51 offset0:64 offset1:96
	s_or_b32 s4, s13, 32
	s_waitcnt lgkmcnt(2)
	v_pk_fma_f16 v101, v60, v70, v101 op_sel_hi:[1,0,1]
	v_pk_fma_f16 v77, v60, v70, v77 op_sel:[0,1,0]
	v_pk_fma_f16 v81, v60, v71, v81 op_sel_hi:[1,0,1]
	v_pk_fma_f16 v72, v60, v71, v72 op_sel:[0,1,0]
	;; [unrolled: 2-line block ×8, first 2 shown]
	s_waitcnt lgkmcnt(1)
	v_pk_fma_f16 v71, v64, v8, v75 op_sel_hi:[1,0,1]
	v_pk_fma_f16 v75, v64, v8, v87 op_sel:[0,1,0]
	v_pk_fma_f16 v87, v64, v9, v88 op_sel_hi:[1,0,1]
	v_pk_fma_f16 v88, v64, v9, v89 op_sel:[0,1,0]
	;; [unrolled: 2-line block ×7, first 2 shown]
	ds_load_2addr_b64 v[60:63], v51 offset0:128 offset1:160
	v_pk_fma_f16 v99, v67, v9, v99 op_sel_hi:[1,0,1]
	v_pk_fma_f16 v100, v67, v9, v100 op_sel:[0,1,0]
	ds_load_2addr_b64 v[64:67], v51 offset0:192 offset1:224
	s_mul_hi_i32 s19, s4, s10
	s_mul_i32 s18, s4, s10
	s_waitcnt lgkmcnt(2)
	v_pk_fma_f16 v101, v56, v8, v101 op_sel_hi:[1,0,1]
	s_lshl_b64 s[18:19], s[18:19], 2
	v_pk_fma_f16 v77, v56, v8, v77 op_sel:[0,1,0]
	s_add_u32 s4, s11, s18
	v_pk_fma_f16 v81, v56, v9, v81 op_sel_hi:[1,0,1]
	v_pk_fma_f16 v56, v56, v9, v72 op_sel:[0,1,0]
	v_pk_fma_f16 v72, v57, v8, v82 op_sel_hi:[1,0,1]
	v_pk_fma_f16 v82, v57, v8, v102 op_sel:[0,1,0]
	;; [unrolled: 2-line block ×4, first 2 shown]
	s_addc_u32 s17, s16, s19
	v_add_co_u32 v8, vcc_lo, s4, v27
	v_pk_fma_f16 v183, v57, v9, v103 op_sel_hi:[1,0,1]
	v_pk_fma_f16 v184, v57, v9, v53 op_sel:[0,1,0]
	v_pk_fma_f16 v83, v58, v9, v83 op_sel_hi:[1,0,1]
	v_pk_fma_f16 v187, v58, v9, v74 op_sel:[0,1,0]
	;; [unrolled: 2-line block ×3, first 2 shown]
	v_add_co_ci_u32_e32 v9, vcc_lo, s17, v28, vcc_lo
	v_add_co_u32 v53, vcc_lo, s4, v29
	v_add_co_ci_u32_e32 v54, vcc_lo, s17, v30, vcc_lo
	v_add_co_u32 v8, vcc_lo, v8, v90
	s_delay_alu instid0(VALU_DEP_4) | instskip(NEXT) | instid1(VALU_DEP_4)
	v_add_co_ci_u32_e32 v9, vcc_lo, 0, v9, vcc_lo
	v_add_co_u32 v53, vcc_lo, v53, v90
	s_delay_alu instid0(VALU_DEP_4)
	v_add_co_ci_u32_e32 v54, vcc_lo, 0, v54, vcc_lo
	s_waitcnt lgkmcnt(1)
	v_pk_fma_f16 v192, v60, v10, v71 op_sel_hi:[1,0,1]
	v_pk_fma_f16 v193, v60, v10, v75 op_sel:[0,1,0]
	v_pk_fma_f16 v194, v60, v11, v87 op_sel_hi:[1,0,1]
	v_pk_fma_f16 v195, v60, v11, v88 op_sel:[0,1,0]
	;; [unrolled: 2-line block ×8, first 2 shown]
	s_waitcnt lgkmcnt(0)
	v_pk_fma_f16 v208, v64, v10, v101 op_sel_hi:[1,0,1]
	v_pk_fma_f16 v77, v64, v10, v77 op_sel:[0,1,0]
	v_pk_fma_f16 v81, v64, v11, v81 op_sel_hi:[1,0,1]
	v_pk_fma_f16 v64, v64, v11, v56 op_sel:[0,1,0]
	v_pk_fma_f16 v209, v65, v10, v72 op_sel_hi:[1,0,1]
	ds_load_2addr_b64 v[56:59], v52 offset1:32
	ds_load_2addr_b64 v[60:63], v52 offset0:64 offset1:96
	ds_load_2addr_b64 v[68:71], v52 offset0:128 offset1:160
	;; [unrolled: 1-line block ×3, first 2 shown]
	ds_load_2addr_b64 v[86:89], v50 offset1:32
	ds_load_2addr_b64 v[91:94], v50 offset0:64 offset1:96
	ds_load_2addr_b64 v[95:98], v50 offset0:128 offset1:160
	;; [unrolled: 1-line block ×3, first 2 shown]
	ds_load_2addr_b64 v[103:106], v49 offset1:32
	ds_load_2addr_b64 v[107:110], v49 offset0:64 offset1:96
	ds_load_b128 v[111:114], v40 offset:192
	ds_load_b128 v[115:118], v40 offset:208
	ds_load_2addr_b64 v[119:122], v49 offset0:128 offset1:160
	ds_load_2addr_b64 v[123:126], v49 offset0:192 offset1:224
	ds_load_2addr_b64 v[127:130], v48 offset1:32
	ds_load_2addr_b64 v[131:134], v48 offset0:64 offset1:96
	ds_load_2addr_b64 v[135:138], v48 offset0:128 offset1:160
	;; [unrolled: 1-line block ×3, first 2 shown]
	ds_load_2addr_b64 v[143:146], v47 offset1:32
	ds_load_2addr_b64 v[147:150], v47 offset0:64 offset1:96
	ds_load_b128 v[151:154], v40 offset:224
	ds_load_b128 v[155:158], v40 offset:240
	ds_load_2addr_b64 v[159:162], v47 offset0:128 offset1:160
	ds_load_2addr_b64 v[163:166], v47 offset0:192 offset1:224
	s_waitcnt lgkmcnt(0)
	s_barrier
	buffer_gl0_inv
	s_clause 0x3
	global_load_b128 v[167:170], v[8:9], off
	global_load_b128 v[171:174], v[8:9], off offset:512
	global_load_b128 v[175:178], v[53:54], off
	global_load_b128 v[179:182], v[53:54], off offset:512
	v_pk_fma_f16 v8, v65, v10, v82 op_sel:[0,1,0]
	v_pk_fma_f16 v9, v65, v11, v183 op_sel_hi:[1,0,1]
	v_pk_fma_f16 v53, v65, v11, v184 op_sel:[0,1,0]
	v_pk_fma_f16 v54, v66, v10, v185 op_sel_hi:[1,0,1]
	;; [unrolled: 2-line block ×24, first 2 shown]
	v_pk_fma_f16 v57, v69, v7, v57 op_sel:[0,1,0]
	v_pk_fma_f16 v58, v70, v7, v58 op_sel:[0,1,0]
	;; [unrolled: 1-line block ×4, first 2 shown]
	v_pk_fma_f16 v83, v69, v7, v188 op_sel_hi:[1,0,1]
	v_pk_fma_f16 v69, v70, v6, v189 op_sel_hi:[1,0,1]
	v_pk_fma_f16 v183, v70, v6, v190 op_sel:[0,1,0]
	v_pk_fma_f16 v184, v70, v7, v191 op_sel_hi:[1,0,1]
	v_pk_fma_f16 v70, v71, v6, v192 op_sel_hi:[1,0,1]
	v_pk_fma_f16 v185, v71, v6, v193 op_sel:[0,1,0]
	;; [unrolled: 3-line block ×3, first 2 shown]
	v_pk_fma_f16 v60, v72, v7, v60 op_sel:[0,1,0]
	v_pk_fma_f16 v64, v73, v6, v64 op_sel_hi:[1,0,1]
	v_pk_fma_f16 v8, v73, v6, v8 op_sel:[0,1,0]
	v_pk_fma_f16 v54, v74, v6, v54 op_sel_hi:[1,0,1]
	v_pk_fma_f16 v61, v74, v6, v61 op_sel:[0,1,0]
	v_pk_fma_f16 v62, v74, v7, v62 op_sel:[0,1,0]
	v_pk_fma_f16 v66, v75, v6, v66 op_sel_hi:[1,0,1]
	v_pk_fma_f16 v4, v75, v6, v4 op_sel:[0,1,0]
	v_pk_fma_f16 v6, v75, v7, v10 op_sel_hi:[1,0,1]
	v_pk_fma_f16 v10, v86, v111, v63 op_sel:[0,1,0]
	v_pk_fma_f16 v56, v86, v112, v56 op_sel:[0,1,0]
	v_pk_fma_f16 v63, v87, v111, v68 op_sel_hi:[1,0,1]
	v_pk_fma_f16 v57, v87, v112, v57 op_sel:[0,1,0]
	v_pk_fma_f16 v58, v88, v112, v58 op_sel:[0,1,0]
	;; [unrolled: 1-line block ×7, first 2 shown]
	v_pk_fma_f16 v63, v96, v113, v63 op_sel_hi:[1,0,1]
	v_pk_fma_f16 v57, v96, v114, v57 op_sel:[0,1,0]
	v_pk_fma_f16 v58, v97, v114, v58 op_sel:[0,1,0]
	v_pk_fma_f16 v59, v98, v114, v59 op_sel:[0,1,0]
	v_pk_fma_f16 v60, v99, v114, v60 op_sel:[0,1,0]
	v_pk_fma_f16 v61, v101, v113, v61 op_sel:[0,1,0]
	v_pk_fma_f16 v62, v101, v114, v62 op_sel:[0,1,0]
	v_pk_fma_f16 v56, v103, v116, v56 op_sel:[0,1,0]
	v_pk_fma_f16 v63, v104, v115, v63 op_sel_hi:[1,0,1]
	v_pk_fma_f16 v57, v104, v116, v57 op_sel:[0,1,0]
	v_pk_fma_f16 v58, v105, v116, v58 op_sel:[0,1,0]
	;; [unrolled: 1-line block ×3, first 2 shown]
	v_pk_fma_f16 v9, v73, v7, v9 op_sel_hi:[1,0,1]
	v_pk_fma_f16 v65, v74, v7, v65 op_sel_hi:[1,0,1]
	v_pk_fma_f16 v5, v75, v7, v5 op_sel:[0,1,0]
	v_pk_fma_f16 v81, v72, v7, v81 op_sel_hi:[1,0,1]
	v_pk_fma_f16 v53, v73, v7, v53 op_sel:[0,1,0]
	v_pk_fma_f16 v7, v86, v111, v11 op_sel_hi:[1,0,1]
	v_pk_fma_f16 v11, v86, v112, v67 op_sel_hi:[1,0,1]
	v_pk_fma_f16 v67, v87, v111, v82 op_sel:[0,1,0]
	v_pk_fma_f16 v68, v87, v112, v83 op_sel_hi:[1,0,1]
	;; [unrolled: 3-line block ×4, first 2 shown]
	v_pk_fma_f16 v60, v107, v116, v60 op_sel:[0,1,0]
	v_pk_fma_f16 v61, v109, v115, v61 op_sel:[0,1,0]
	;; [unrolled: 1-line block ×4, first 2 shown]
	v_pk_fma_f16 v63, v120, v117, v63 op_sel_hi:[1,0,1]
	v_pk_fma_f16 v57, v120, v118, v57 op_sel:[0,1,0]
	v_pk_fma_f16 v58, v121, v118, v58 op_sel:[0,1,0]
	;; [unrolled: 1-line block ×3, first 2 shown]
	v_pk_fma_f16 v71, v91, v111, v71 op_sel_hi:[1,0,1]
	v_pk_fma_f16 v64, v92, v111, v64 op_sel_hi:[1,0,1]
	v_pk_fma_f16 v8, v92, v111, v8 op_sel:[0,1,0]
	v_pk_fma_f16 v9, v92, v112, v9 op_sel_hi:[1,0,1]
	v_pk_fma_f16 v65, v93, v112, v65 op_sel_hi:[1,0,1]
	;; [unrolled: 1-line block ×3, first 2 shown]
	v_pk_fma_f16 v4, v94, v111, v4 op_sel:[0,1,0]
	v_pk_fma_f16 v6, v94, v112, v6 op_sel_hi:[1,0,1]
	v_pk_fma_f16 v5, v94, v112, v5 op_sel:[0,1,0]
	v_pk_fma_f16 v7, v95, v113, v7 op_sel_hi:[1,0,1]
	;; [unrolled: 2-line block ×4, first 2 shown]
	v_pk_fma_f16 v69, v97, v113, v69 op_sel_hi:[1,0,1]
	v_pk_fma_f16 v72, v97, v113, v72 op_sel:[0,1,0]
	v_pk_fma_f16 v73, v97, v114, v73 op_sel_hi:[1,0,1]
	v_pk_fma_f16 v70, v98, v113, v70 op_sel_hi:[1,0,1]
	v_pk_fma_f16 v74, v98, v113, v74 op_sel:[0,1,0]
	v_pk_fma_f16 v75, v98, v114, v75 op_sel_hi:[1,0,1]
	v_pk_fma_f16 v60, v123, v118, v60 op_sel:[0,1,0]
	v_pk_fma_f16 v61, v125, v117, v61 op_sel:[0,1,0]
	;; [unrolled: 1-line block ×4, first 2 shown]
	v_pk_fma_f16 v63, v128, v151, v63 op_sel_hi:[1,0,1]
	v_pk_fma_f16 v57, v128, v152, v57 op_sel:[0,1,0]
	v_pk_fma_f16 v58, v129, v152, v58 op_sel:[0,1,0]
	;; [unrolled: 1-line block ×3, first 2 shown]
	v_pk_fma_f16 v71, v99, v113, v71 op_sel_hi:[1,0,1]
	v_pk_fma_f16 v64, v100, v113, v64 op_sel_hi:[1,0,1]
	v_pk_fma_f16 v8, v100, v113, v8 op_sel:[0,1,0]
	v_pk_fma_f16 v9, v100, v114, v9 op_sel_hi:[1,0,1]
	v_pk_fma_f16 v65, v101, v114, v65 op_sel_hi:[1,0,1]
	;; [unrolled: 1-line block ×3, first 2 shown]
	v_pk_fma_f16 v4, v102, v113, v4 op_sel:[0,1,0]
	v_pk_fma_f16 v6, v102, v114, v6 op_sel_hi:[1,0,1]
	v_pk_fma_f16 v5, v102, v114, v5 op_sel:[0,1,0]
	v_pk_fma_f16 v7, v103, v115, v7 op_sel_hi:[1,0,1]
	;; [unrolled: 2-line block ×4, first 2 shown]
	v_pk_fma_f16 v69, v105, v115, v69 op_sel_hi:[1,0,1]
	v_pk_fma_f16 v72, v105, v115, v72 op_sel:[0,1,0]
	v_pk_fma_f16 v73, v105, v116, v73 op_sel_hi:[1,0,1]
	v_pk_fma_f16 v70, v106, v115, v70 op_sel_hi:[1,0,1]
	v_pk_fma_f16 v74, v106, v115, v74 op_sel:[0,1,0]
	v_pk_fma_f16 v75, v106, v116, v75 op_sel_hi:[1,0,1]
	v_pk_fma_f16 v60, v131, v152, v60 op_sel:[0,1,0]
	v_pk_fma_f16 v61, v133, v151, v61 op_sel:[0,1,0]
	v_pk_fma_f16 v62, v133, v152, v62 op_sel:[0,1,0]
	v_pk_fma_f16 v56, v135, v154, v56 op_sel:[0,1,0]
	v_pk_fma_f16 v63, v136, v153, v63 op_sel_hi:[1,0,1]
	v_pk_fma_f16 v57, v136, v154, v57 op_sel:[0,1,0]
	v_pk_fma_f16 v58, v137, v154, v58 op_sel:[0,1,0]
	;; [unrolled: 1-line block ×3, first 2 shown]
	v_pk_fma_f16 v71, v107, v115, v71 op_sel_hi:[1,0,1]
	v_pk_fma_f16 v64, v108, v115, v64 op_sel_hi:[1,0,1]
	v_pk_fma_f16 v8, v108, v115, v8 op_sel:[0,1,0]
	v_pk_fma_f16 v9, v108, v116, v9 op_sel_hi:[1,0,1]
	v_pk_fma_f16 v65, v109, v116, v65 op_sel_hi:[1,0,1]
	;; [unrolled: 1-line block ×3, first 2 shown]
	v_pk_fma_f16 v4, v110, v115, v4 op_sel:[0,1,0]
	v_pk_fma_f16 v6, v110, v116, v6 op_sel_hi:[1,0,1]
	v_pk_fma_f16 v5, v110, v116, v5 op_sel:[0,1,0]
	v_pk_fma_f16 v77, v91, v111, v77 op_sel:[0,1,0]
	v_pk_fma_f16 v81, v91, v112, v81 op_sel_hi:[1,0,1]
	v_pk_fma_f16 v53, v92, v112, v53 op_sel:[0,1,0]
	v_pk_fma_f16 v54, v93, v111, v54 op_sel_hi:[1,0,1]
	v_pk_fma_f16 v7, v119, v117, v7 op_sel_hi:[1,0,1]
	v_pk_fma_f16 v10, v119, v117, v10 op_sel:[0,1,0]
	v_pk_fma_f16 v11, v119, v118, v11 op_sel_hi:[1,0,1]
	v_pk_fma_f16 v67, v120, v117, v67 op_sel:[0,1,0]
	v_pk_fma_f16 v68, v120, v118, v68 op_sel_hi:[1,0,1]
	v_pk_fma_f16 v69, v121, v117, v69 op_sel_hi:[1,0,1]
	v_pk_fma_f16 v72, v121, v117, v72 op_sel:[0,1,0]
	v_pk_fma_f16 v73, v121, v118, v73 op_sel_hi:[1,0,1]
	;; [unrolled: 3-line block ×3, first 2 shown]
	v_pk_fma_f16 v60, v139, v154, v60 op_sel:[0,1,0]
	v_pk_fma_f16 v61, v141, v153, v61 op_sel:[0,1,0]
	;; [unrolled: 1-line block ×4, first 2 shown]
	v_pk_fma_f16 v63, v144, v155, v63 op_sel_hi:[1,0,1]
	v_pk_fma_f16 v57, v144, v156, v57 op_sel:[0,1,0]
	v_pk_fma_f16 v58, v145, v156, v58 op_sel:[0,1,0]
	;; [unrolled: 1-line block ×3, first 2 shown]
	v_pk_fma_f16 v71, v123, v117, v71 op_sel_hi:[1,0,1]
	v_pk_fma_f16 v64, v124, v117, v64 op_sel_hi:[1,0,1]
	v_pk_fma_f16 v8, v124, v117, v8 op_sel:[0,1,0]
	v_pk_fma_f16 v9, v124, v118, v9 op_sel_hi:[1,0,1]
	v_pk_fma_f16 v65, v125, v118, v65 op_sel_hi:[1,0,1]
	;; [unrolled: 1-line block ×3, first 2 shown]
	v_pk_fma_f16 v4, v126, v117, v4 op_sel:[0,1,0]
	v_pk_fma_f16 v6, v126, v118, v6 op_sel_hi:[1,0,1]
	v_pk_fma_f16 v5, v126, v118, v5 op_sel:[0,1,0]
	v_pk_fma_f16 v77, v99, v113, v77 op_sel:[0,1,0]
	v_pk_fma_f16 v81, v99, v114, v81 op_sel_hi:[1,0,1]
	v_pk_fma_f16 v53, v100, v114, v53 op_sel:[0,1,0]
	v_pk_fma_f16 v54, v101, v113, v54 op_sel_hi:[1,0,1]
	v_pk_fma_f16 v7, v127, v151, v7 op_sel_hi:[1,0,1]
	v_pk_fma_f16 v10, v127, v151, v10 op_sel:[0,1,0]
	v_pk_fma_f16 v11, v127, v152, v11 op_sel_hi:[1,0,1]
	v_pk_fma_f16 v67, v128, v151, v67 op_sel:[0,1,0]
	v_pk_fma_f16 v68, v128, v152, v68 op_sel_hi:[1,0,1]
	v_pk_fma_f16 v69, v129, v151, v69 op_sel_hi:[1,0,1]
	v_pk_fma_f16 v72, v129, v151, v72 op_sel:[0,1,0]
	v_pk_fma_f16 v73, v129, v152, v73 op_sel_hi:[1,0,1]
	;; [unrolled: 3-line block ×3, first 2 shown]
	v_pk_fma_f16 v82, v147, v156, v60 op_sel:[0,1,0]
	v_pk_fma_f16 v83, v149, v155, v61 op_sel:[0,1,0]
	v_pk_fma_f16 v86, v149, v156, v62 op_sel:[0,1,0]
	v_pk_fma_f16 v91, v159, v158, v56 op_sel:[0,1,0]
	v_pk_fma_f16 v92, v160, v157, v63 op_sel_hi:[1,0,1]
	v_pk_fma_f16 v95, v160, v158, v57 op_sel:[0,1,0]
	v_pk_fma_f16 v97, v161, v158, v58 op_sel:[0,1,0]
	;; [unrolled: 1-line block ×3, first 2 shown]
	s_waitcnt vmcnt(3)
	ds_store_b128 v42, v[167:170]
	s_waitcnt vmcnt(2)
	ds_store_b128 v43, v[171:174]
	;; [unrolled: 2-line block ×4, first 2 shown]
	s_waitcnt lgkmcnt(0)
	s_barrier
	buffer_gl0_inv
	ds_load_2addr_b64 v[56:59], v85 offset1:32
	ds_load_b128 v[60:63], v40 offset:256
	v_pk_fma_f16 v71, v131, v151, v71 op_sel_hi:[1,0,1]
	v_pk_fma_f16 v64, v132, v151, v64 op_sel_hi:[1,0,1]
	v_pk_fma_f16 v8, v132, v151, v8 op_sel:[0,1,0]
	v_pk_fma_f16 v9, v132, v152, v9 op_sel_hi:[1,0,1]
	v_pk_fma_f16 v65, v133, v152, v65 op_sel_hi:[1,0,1]
	v_pk_fma_f16 v66, v134, v151, v66 op_sel_hi:[1,0,1]
	v_pk_fma_f16 v4, v134, v151, v4 op_sel:[0,1,0]
	v_pk_fma_f16 v6, v134, v152, v6 op_sel_hi:[1,0,1]
	v_pk_fma_f16 v5, v134, v152, v5 op_sel:[0,1,0]
	v_pk_fma_f16 v77, v107, v115, v77 op_sel:[0,1,0]
	v_pk_fma_f16 v81, v107, v116, v81 op_sel_hi:[1,0,1]
	v_pk_fma_f16 v53, v108, v116, v53 op_sel:[0,1,0]
	v_pk_fma_f16 v54, v109, v115, v54 op_sel_hi:[1,0,1]
	v_pk_fma_f16 v7, v135, v153, v7 op_sel_hi:[1,0,1]
	v_pk_fma_f16 v10, v135, v153, v10 op_sel:[0,1,0]
	v_pk_fma_f16 v11, v135, v154, v11 op_sel_hi:[1,0,1]
	v_pk_fma_f16 v67, v136, v153, v67 op_sel:[0,1,0]
	v_pk_fma_f16 v68, v136, v154, v68 op_sel_hi:[1,0,1]
	v_pk_fma_f16 v69, v137, v153, v69 op_sel_hi:[1,0,1]
	v_pk_fma_f16 v72, v137, v153, v72 op_sel:[0,1,0]
	v_pk_fma_f16 v73, v137, v154, v73 op_sel_hi:[1,0,1]
	v_pk_fma_f16 v70, v138, v153, v70 op_sel_hi:[1,0,1]
	v_pk_fma_f16 v74, v138, v153, v74 op_sel:[0,1,0]
	v_pk_fma_f16 v75, v138, v154, v75 op_sel_hi:[1,0,1]
	v_pk_fma_f16 v71, v139, v153, v71 op_sel_hi:[1,0,1]
	v_pk_fma_f16 v64, v140, v153, v64 op_sel_hi:[1,0,1]
	v_pk_fma_f16 v8, v140, v153, v8 op_sel:[0,1,0]
	v_pk_fma_f16 v9, v140, v154, v9 op_sel_hi:[1,0,1]
	v_pk_fma_f16 v65, v141, v154, v65 op_sel_hi:[1,0,1]
	v_pk_fma_f16 v66, v142, v153, v66 op_sel_hi:[1,0,1]
	v_pk_fma_f16 v4, v142, v153, v4 op_sel:[0,1,0]
	v_pk_fma_f16 v6, v142, v154, v6 op_sel_hi:[1,0,1]
	v_pk_fma_f16 v5, v142, v154, v5 op_sel:[0,1,0]
	v_pk_fma_f16 v77, v123, v117, v77 op_sel:[0,1,0]
	v_pk_fma_f16 v81, v123, v118, v81 op_sel_hi:[1,0,1]
	v_pk_fma_f16 v53, v124, v118, v53 op_sel:[0,1,0]
	v_pk_fma_f16 v54, v125, v117, v54 op_sel_hi:[1,0,1]
	v_pk_fma_f16 v7, v143, v155, v7 op_sel_hi:[1,0,1]
	v_pk_fma_f16 v10, v143, v155, v10 op_sel:[0,1,0]
	v_pk_fma_f16 v11, v143, v156, v11 op_sel_hi:[1,0,1]
	v_pk_fma_f16 v67, v144, v155, v67 op_sel:[0,1,0]
	v_pk_fma_f16 v68, v144, v156, v68 op_sel_hi:[1,0,1]
	v_pk_fma_f16 v69, v145, v155, v69 op_sel_hi:[1,0,1]
	v_pk_fma_f16 v72, v145, v155, v72 op_sel:[0,1,0]
	v_pk_fma_f16 v73, v145, v156, v73 op_sel_hi:[1,0,1]
	v_pk_fma_f16 v70, v146, v155, v70 op_sel_hi:[1,0,1]
	v_pk_fma_f16 v74, v146, v155, v74 op_sel:[0,1,0]
	v_pk_fma_f16 v75, v146, v156, v75 op_sel_hi:[1,0,1]
	;; [unrolled: 24-line block ×3, first 2 shown]
	v_pk_fma_f16 v101, v163, v157, v71 op_sel_hi:[1,0,1]
	v_pk_fma_f16 v102, v164, v157, v64 op_sel_hi:[1,0,1]
	v_pk_fma_f16 v103, v164, v157, v8 op_sel:[0,1,0]
	v_pk_fma_f16 v104, v164, v158, v9 op_sel_hi:[1,0,1]
	v_pk_fma_f16 v105, v165, v158, v65 op_sel_hi:[1,0,1]
	;; [unrolled: 1-line block ×3, first 2 shown]
	v_pk_fma_f16 v107, v166, v157, v4 op_sel:[0,1,0]
	v_pk_fma_f16 v108, v166, v158, v6 op_sel_hi:[1,0,1]
	v_pk_fma_f16 v109, v166, v158, v5 op_sel:[0,1,0]
	ds_load_2addr_b64 v[64:67], v85 offset0:64 offset1:96
	ds_load_b128 v[68:71], v40 offset:272
	ds_load_b128 v[8:11], v40 offset:288
	;; [unrolled: 1-line block ×3, first 2 shown]
	v_pk_fma_f16 v77, v139, v153, v77 op_sel:[0,1,0]
	v_pk_fma_f16 v81, v139, v154, v81 op_sel_hi:[1,0,1]
	v_pk_fma_f16 v53, v140, v154, v53 op_sel:[0,1,0]
	v_pk_fma_f16 v54, v141, v153, v54 op_sel_hi:[1,0,1]
	s_waitcnt lgkmcnt(4)
	v_pk_fma_f16 v87, v56, v60, v87 op_sel_hi:[1,0,1]
	v_pk_fma_f16 v88, v56, v60, v88 op_sel:[0,1,0]
	v_pk_fma_f16 v89, v56, v61, v89 op_sel_hi:[1,0,1]
	v_pk_fma_f16 v91, v56, v61, v91 op_sel:[0,1,0]
	;; [unrolled: 2-line block ×7, first 2 shown]
	ds_load_2addr_b64 v[72:75], v85 offset0:128 offset1:160
	v_pk_fma_f16 v99, v59, v61, v99 op_sel_hi:[1,0,1]
	v_pk_fma_f16 v100, v59, v61, v100 op_sel:[0,1,0]
	ds_load_2addr_b64 v[56:59], v85 offset0:192 offset1:224
	v_pk_fma_f16 v77, v147, v155, v77 op_sel:[0,1,0]
	v_pk_fma_f16 v81, v147, v156, v81 op_sel_hi:[1,0,1]
	v_pk_fma_f16 v53, v148, v156, v53 op_sel:[0,1,0]
	v_pk_fma_f16 v54, v149, v155, v54 op_sel_hi:[1,0,1]
	v_pk_fma_f16 v82, v163, v158, v82 op_sel:[0,1,0]
	v_pk_fma_f16 v77, v163, v157, v77 op_sel:[0,1,0]
	v_pk_fma_f16 v81, v163, v158, v81 op_sel_hi:[1,0,1]
	v_pk_fma_f16 v53, v164, v158, v53 op_sel:[0,1,0]
	v_pk_fma_f16 v54, v165, v157, v54 op_sel_hi:[1,0,1]
	v_pk_fma_f16 v83, v165, v157, v83 op_sel:[0,1,0]
	v_pk_fma_f16 v86, v165, v158, v86 op_sel:[0,1,0]
	s_waitcnt lgkmcnt(5)
	v_pk_fma_f16 v101, v64, v60, v101 op_sel_hi:[1,0,1]
	v_pk_fma_f16 v77, v64, v60, v77 op_sel:[0,1,0]
	v_pk_fma_f16 v81, v64, v61, v81 op_sel_hi:[1,0,1]
	v_pk_fma_f16 v82, v64, v61, v82 op_sel:[0,1,0]
	;; [unrolled: 2-line block ×8, first 2 shown]
	ds_load_2addr_b64 v[64:67], v84 offset1:32
	s_waitcnt lgkmcnt(2)
	v_pk_fma_f16 v87, v72, v62, v87 op_sel_hi:[1,0,1]
	v_pk_fma_f16 v88, v72, v62, v88 op_sel:[0,1,0]
	v_pk_fma_f16 v89, v72, v63, v89 op_sel_hi:[1,0,1]
	v_pk_fma_f16 v91, v72, v63, v91 op_sel:[0,1,0]
	;; [unrolled: 2-line block ×8, first 2 shown]
	s_waitcnt lgkmcnt(1)
	v_pk_fma_f16 v101, v56, v62, v101 op_sel_hi:[1,0,1]
	v_pk_fma_f16 v77, v56, v62, v77 op_sel:[0,1,0]
	v_pk_fma_f16 v81, v56, v63, v81 op_sel_hi:[1,0,1]
	v_pk_fma_f16 v82, v56, v63, v82 op_sel:[0,1,0]
	;; [unrolled: 2-line block ×7, first 2 shown]
	ds_load_2addr_b64 v[72:75], v84 offset0:64 offset1:96
	v_pk_fma_f16 v107, v59, v63, v107 op_sel_hi:[1,0,1]
	v_pk_fma_f16 v111, v59, v63, v61 op_sel:[0,1,0]
	ds_load_2addr_b64 v[56:59], v84 offset0:128 offset1:160
	s_waitcnt lgkmcnt(2)
	v_pk_fma_f16 v87, v64, v68, v87 op_sel_hi:[1,0,1]
	v_pk_fma_f16 v88, v64, v68, v88 op_sel:[0,1,0]
	v_pk_fma_f16 v89, v64, v69, v89 op_sel_hi:[1,0,1]
	v_pk_fma_f16 v64, v64, v69, v91 op_sel:[0,1,0]
	;; [unrolled: 2-line block ×8, first 2 shown]
	s_waitcnt lgkmcnt(1)
	v_pk_fma_f16 v101, v72, v68, v101 op_sel_hi:[1,0,1]
	v_pk_fma_f16 v77, v72, v68, v77 op_sel:[0,1,0]
	v_pk_fma_f16 v81, v72, v69, v81 op_sel_hi:[1,0,1]
	v_pk_fma_f16 v72, v72, v69, v82 op_sel:[0,1,0]
	;; [unrolled: 2-line block ×7, first 2 shown]
	ds_load_2addr_b64 v[60:63], v84 offset0:192 offset1:224
	v_pk_fma_f16 v104, v75, v69, v107 op_sel_hi:[1,0,1]
	v_pk_fma_f16 v69, v75, v69, v111 op_sel:[0,1,0]
	s_waitcnt lgkmcnt(1)
	v_pk_fma_f16 v75, v56, v70, v87 op_sel_hi:[1,0,1]
	v_pk_fma_f16 v87, v56, v70, v88 op_sel:[0,1,0]
	v_pk_fma_f16 v88, v56, v71, v89 op_sel_hi:[1,0,1]
	v_pk_fma_f16 v89, v56, v71, v64 op_sel:[0,1,0]
	v_pk_fma_f16 v105, v57, v71, v65 op_sel:[0,1,0]
	;; [unrolled: 1-line block ×3, first 2 shown]
	ds_load_2addr_b64 v[64:67], v51 offset1:32
	v_pk_fma_f16 v91, v57, v70, v91 op_sel_hi:[1,0,1]
	v_pk_fma_f16 v92, v57, v70, v92 op_sel:[0,1,0]
	v_pk_fma_f16 v93, v57, v71, v93 op_sel_hi:[1,0,1]
	v_pk_fma_f16 v94, v58, v70, v94 op_sel_hi:[1,0,1]
	v_pk_fma_f16 v95, v58, v70, v95 op_sel:[0,1,0]
	v_pk_fma_f16 v96, v58, v71, v96 op_sel_hi:[1,0,1]
	;; [unrolled: 3-line block ×3, first 2 shown]
	v_pk_fma_f16 v100, v59, v71, v100 op_sel:[0,1,0]
	ds_load_2addr_b64 v[56:59], v51 offset0:64 offset1:96
	s_or_b32 s4, s13, 48
	s_waitcnt lgkmcnt(2)
	v_pk_fma_f16 v101, v60, v70, v101 op_sel_hi:[1,0,1]
	v_pk_fma_f16 v77, v60, v70, v77 op_sel:[0,1,0]
	v_pk_fma_f16 v81, v60, v71, v81 op_sel_hi:[1,0,1]
	v_pk_fma_f16 v72, v60, v71, v72 op_sel:[0,1,0]
	;; [unrolled: 2-line block ×8, first 2 shown]
	s_waitcnt lgkmcnt(1)
	v_pk_fma_f16 v71, v64, v8, v75 op_sel_hi:[1,0,1]
	v_pk_fma_f16 v75, v64, v8, v87 op_sel:[0,1,0]
	v_pk_fma_f16 v87, v64, v9, v88 op_sel_hi:[1,0,1]
	v_pk_fma_f16 v88, v64, v9, v89 op_sel:[0,1,0]
	;; [unrolled: 2-line block ×7, first 2 shown]
	ds_load_2addr_b64 v[60:63], v51 offset0:128 offset1:160
	v_pk_fma_f16 v99, v67, v9, v99 op_sel_hi:[1,0,1]
	v_pk_fma_f16 v100, v67, v9, v100 op_sel:[0,1,0]
	ds_load_2addr_b64 v[64:67], v51 offset0:192 offset1:224
	s_mul_hi_i32 s19, s4, s10
	s_mul_i32 s18, s4, s10
	s_waitcnt lgkmcnt(2)
	v_pk_fma_f16 v101, v56, v8, v101 op_sel_hi:[1,0,1]
	s_lshl_b64 s[18:19], s[18:19], 2
	v_pk_fma_f16 v77, v56, v8, v77 op_sel:[0,1,0]
	s_add_u32 s4, s11, s18
	v_pk_fma_f16 v81, v56, v9, v81 op_sel_hi:[1,0,1]
	v_pk_fma_f16 v56, v56, v9, v72 op_sel:[0,1,0]
	v_pk_fma_f16 v72, v57, v8, v82 op_sel_hi:[1,0,1]
	v_pk_fma_f16 v82, v57, v8, v102 op_sel:[0,1,0]
	;; [unrolled: 2-line block ×4, first 2 shown]
	s_addc_u32 s17, s16, s19
	v_add_co_u32 v8, vcc_lo, s4, v27
	v_pk_fma_f16 v183, v57, v9, v103 op_sel_hi:[1,0,1]
	v_pk_fma_f16 v184, v57, v9, v53 op_sel:[0,1,0]
	v_pk_fma_f16 v83, v58, v9, v83 op_sel_hi:[1,0,1]
	v_pk_fma_f16 v187, v58, v9, v74 op_sel:[0,1,0]
	;; [unrolled: 2-line block ×3, first 2 shown]
	v_add_co_ci_u32_e32 v9, vcc_lo, s17, v28, vcc_lo
	v_add_co_u32 v53, vcc_lo, s4, v29
	v_add_co_ci_u32_e32 v54, vcc_lo, s17, v30, vcc_lo
	v_add_co_u32 v8, vcc_lo, v8, v90
	s_delay_alu instid0(VALU_DEP_4) | instskip(NEXT) | instid1(VALU_DEP_4)
	v_add_co_ci_u32_e32 v9, vcc_lo, 0, v9, vcc_lo
	v_add_co_u32 v53, vcc_lo, v53, v90
	s_delay_alu instid0(VALU_DEP_4)
	v_add_co_ci_u32_e32 v54, vcc_lo, 0, v54, vcc_lo
	s_waitcnt lgkmcnt(1)
	v_pk_fma_f16 v192, v60, v10, v71 op_sel_hi:[1,0,1]
	v_pk_fma_f16 v193, v60, v10, v75 op_sel:[0,1,0]
	v_pk_fma_f16 v194, v60, v11, v87 op_sel_hi:[1,0,1]
	v_pk_fma_f16 v195, v60, v11, v88 op_sel:[0,1,0]
	;; [unrolled: 2-line block ×8, first 2 shown]
	s_waitcnt lgkmcnt(0)
	v_pk_fma_f16 v208, v64, v10, v101 op_sel_hi:[1,0,1]
	v_pk_fma_f16 v77, v64, v10, v77 op_sel:[0,1,0]
	v_pk_fma_f16 v81, v64, v11, v81 op_sel_hi:[1,0,1]
	v_pk_fma_f16 v64, v64, v11, v56 op_sel:[0,1,0]
	v_pk_fma_f16 v209, v65, v10, v72 op_sel_hi:[1,0,1]
	ds_load_2addr_b64 v[56:59], v52 offset1:32
	ds_load_2addr_b64 v[60:63], v52 offset0:64 offset1:96
	ds_load_2addr_b64 v[68:71], v52 offset0:128 offset1:160
	;; [unrolled: 1-line block ×3, first 2 shown]
	ds_load_2addr_b64 v[86:89], v50 offset1:32
	ds_load_2addr_b64 v[91:94], v50 offset0:64 offset1:96
	ds_load_2addr_b64 v[95:98], v50 offset0:128 offset1:160
	;; [unrolled: 1-line block ×3, first 2 shown]
	ds_load_2addr_b64 v[103:106], v49 offset1:32
	ds_load_2addr_b64 v[107:110], v49 offset0:64 offset1:96
	ds_load_b128 v[111:114], v40 offset:320
	ds_load_b128 v[115:118], v40 offset:336
	ds_load_2addr_b64 v[119:122], v49 offset0:128 offset1:160
	ds_load_2addr_b64 v[123:126], v49 offset0:192 offset1:224
	ds_load_2addr_b64 v[127:130], v48 offset1:32
	ds_load_2addr_b64 v[131:134], v48 offset0:64 offset1:96
	ds_load_2addr_b64 v[135:138], v48 offset0:128 offset1:160
	;; [unrolled: 1-line block ×3, first 2 shown]
	ds_load_2addr_b64 v[143:146], v47 offset1:32
	ds_load_2addr_b64 v[147:150], v47 offset0:64 offset1:96
	ds_load_b128 v[151:154], v40 offset:352
	ds_load_b128 v[155:158], v40 offset:368
	ds_load_2addr_b64 v[159:162], v47 offset0:128 offset1:160
	ds_load_2addr_b64 v[163:166], v47 offset0:192 offset1:224
	s_waitcnt lgkmcnt(0)
	s_barrier
	buffer_gl0_inv
	s_clause 0x3
	global_load_b128 v[167:170], v[8:9], off
	global_load_b128 v[171:174], v[8:9], off offset:512
	global_load_b128 v[175:178], v[53:54], off
	global_load_b128 v[179:182], v[53:54], off offset:512
	v_pk_fma_f16 v8, v65, v10, v82 op_sel:[0,1,0]
	v_pk_fma_f16 v9, v65, v11, v183 op_sel_hi:[1,0,1]
	v_pk_fma_f16 v53, v65, v11, v184 op_sel:[0,1,0]
	v_pk_fma_f16 v54, v66, v10, v185 op_sel_hi:[1,0,1]
	;; [unrolled: 2-line block ×24, first 2 shown]
	v_pk_fma_f16 v57, v69, v7, v57 op_sel:[0,1,0]
	v_pk_fma_f16 v58, v70, v7, v58 op_sel:[0,1,0]
	;; [unrolled: 1-line block ×4, first 2 shown]
	v_pk_fma_f16 v83, v69, v7, v188 op_sel_hi:[1,0,1]
	v_pk_fma_f16 v69, v70, v6, v189 op_sel_hi:[1,0,1]
	v_pk_fma_f16 v183, v70, v6, v190 op_sel:[0,1,0]
	v_pk_fma_f16 v184, v70, v7, v191 op_sel_hi:[1,0,1]
	v_pk_fma_f16 v70, v71, v6, v192 op_sel_hi:[1,0,1]
	v_pk_fma_f16 v185, v71, v6, v193 op_sel:[0,1,0]
	;; [unrolled: 3-line block ×3, first 2 shown]
	v_pk_fma_f16 v60, v72, v7, v60 op_sel:[0,1,0]
	v_pk_fma_f16 v64, v73, v6, v64 op_sel_hi:[1,0,1]
	v_pk_fma_f16 v8, v73, v6, v8 op_sel:[0,1,0]
	v_pk_fma_f16 v54, v74, v6, v54 op_sel_hi:[1,0,1]
	v_pk_fma_f16 v61, v74, v6, v61 op_sel:[0,1,0]
	v_pk_fma_f16 v62, v74, v7, v62 op_sel:[0,1,0]
	v_pk_fma_f16 v66, v75, v6, v66 op_sel_hi:[1,0,1]
	v_pk_fma_f16 v4, v75, v6, v4 op_sel:[0,1,0]
	v_pk_fma_f16 v6, v75, v7, v10 op_sel_hi:[1,0,1]
	v_pk_fma_f16 v10, v86, v111, v63 op_sel:[0,1,0]
	v_pk_fma_f16 v56, v86, v112, v56 op_sel:[0,1,0]
	v_pk_fma_f16 v63, v87, v111, v68 op_sel_hi:[1,0,1]
	v_pk_fma_f16 v57, v87, v112, v57 op_sel:[0,1,0]
	v_pk_fma_f16 v58, v88, v112, v58 op_sel:[0,1,0]
	v_pk_fma_f16 v59, v89, v112, v59 op_sel:[0,1,0]
	v_pk_fma_f16 v60, v91, v112, v60 op_sel:[0,1,0]
	v_pk_fma_f16 v61, v93, v111, v61 op_sel:[0,1,0]
	v_pk_fma_f16 v62, v93, v112, v62 op_sel:[0,1,0]
	v_pk_fma_f16 v56, v95, v114, v56 op_sel:[0,1,0]
	v_pk_fma_f16 v63, v96, v113, v63 op_sel_hi:[1,0,1]
	v_pk_fma_f16 v57, v96, v114, v57 op_sel:[0,1,0]
	v_pk_fma_f16 v58, v97, v114, v58 op_sel:[0,1,0]
	;; [unrolled: 1-line block ×7, first 2 shown]
	v_pk_fma_f16 v63, v104, v115, v63 op_sel_hi:[1,0,1]
	v_pk_fma_f16 v57, v104, v116, v57 op_sel:[0,1,0]
	v_pk_fma_f16 v58, v105, v116, v58 op_sel:[0,1,0]
	;; [unrolled: 1-line block ×3, first 2 shown]
	v_pk_fma_f16 v9, v73, v7, v9 op_sel_hi:[1,0,1]
	v_pk_fma_f16 v65, v74, v7, v65 op_sel_hi:[1,0,1]
	v_pk_fma_f16 v5, v75, v7, v5 op_sel:[0,1,0]
	v_pk_fma_f16 v81, v72, v7, v81 op_sel_hi:[1,0,1]
	v_pk_fma_f16 v53, v73, v7, v53 op_sel:[0,1,0]
	v_pk_fma_f16 v7, v86, v111, v11 op_sel_hi:[1,0,1]
	v_pk_fma_f16 v11, v86, v112, v67 op_sel_hi:[1,0,1]
	v_pk_fma_f16 v67, v87, v111, v82 op_sel:[0,1,0]
	v_pk_fma_f16 v68, v87, v112, v83 op_sel_hi:[1,0,1]
	;; [unrolled: 3-line block ×4, first 2 shown]
	v_pk_fma_f16 v60, v107, v116, v60 op_sel:[0,1,0]
	v_pk_fma_f16 v61, v109, v115, v61 op_sel:[0,1,0]
	;; [unrolled: 1-line block ×4, first 2 shown]
	v_pk_fma_f16 v63, v120, v117, v63 op_sel_hi:[1,0,1]
	v_pk_fma_f16 v57, v120, v118, v57 op_sel:[0,1,0]
	v_pk_fma_f16 v58, v121, v118, v58 op_sel:[0,1,0]
	;; [unrolled: 1-line block ×3, first 2 shown]
	v_pk_fma_f16 v71, v91, v111, v71 op_sel_hi:[1,0,1]
	v_pk_fma_f16 v64, v92, v111, v64 op_sel_hi:[1,0,1]
	v_pk_fma_f16 v8, v92, v111, v8 op_sel:[0,1,0]
	v_pk_fma_f16 v9, v92, v112, v9 op_sel_hi:[1,0,1]
	v_pk_fma_f16 v65, v93, v112, v65 op_sel_hi:[1,0,1]
	v_pk_fma_f16 v66, v94, v111, v66 op_sel_hi:[1,0,1]
	v_pk_fma_f16 v4, v94, v111, v4 op_sel:[0,1,0]
	v_pk_fma_f16 v6, v94, v112, v6 op_sel_hi:[1,0,1]
	v_pk_fma_f16 v5, v94, v112, v5 op_sel:[0,1,0]
	v_pk_fma_f16 v7, v95, v113, v7 op_sel_hi:[1,0,1]
	v_pk_fma_f16 v10, v95, v113, v10 op_sel:[0,1,0]
	v_pk_fma_f16 v11, v95, v114, v11 op_sel_hi:[1,0,1]
	v_pk_fma_f16 v67, v96, v113, v67 op_sel:[0,1,0]
	v_pk_fma_f16 v68, v96, v114, v68 op_sel_hi:[1,0,1]
	v_pk_fma_f16 v69, v97, v113, v69 op_sel_hi:[1,0,1]
	v_pk_fma_f16 v72, v97, v113, v72 op_sel:[0,1,0]
	v_pk_fma_f16 v73, v97, v114, v73 op_sel_hi:[1,0,1]
	v_pk_fma_f16 v70, v98, v113, v70 op_sel_hi:[1,0,1]
	v_pk_fma_f16 v74, v98, v113, v74 op_sel:[0,1,0]
	v_pk_fma_f16 v75, v98, v114, v75 op_sel_hi:[1,0,1]
	v_pk_fma_f16 v60, v123, v118, v60 op_sel:[0,1,0]
	v_pk_fma_f16 v61, v125, v117, v61 op_sel:[0,1,0]
	;; [unrolled: 1-line block ×4, first 2 shown]
	v_pk_fma_f16 v63, v128, v151, v63 op_sel_hi:[1,0,1]
	v_pk_fma_f16 v57, v128, v152, v57 op_sel:[0,1,0]
	v_pk_fma_f16 v58, v129, v152, v58 op_sel:[0,1,0]
	;; [unrolled: 1-line block ×3, first 2 shown]
	v_pk_fma_f16 v71, v99, v113, v71 op_sel_hi:[1,0,1]
	v_pk_fma_f16 v64, v100, v113, v64 op_sel_hi:[1,0,1]
	v_pk_fma_f16 v8, v100, v113, v8 op_sel:[0,1,0]
	v_pk_fma_f16 v9, v100, v114, v9 op_sel_hi:[1,0,1]
	v_pk_fma_f16 v65, v101, v114, v65 op_sel_hi:[1,0,1]
	v_pk_fma_f16 v66, v102, v113, v66 op_sel_hi:[1,0,1]
	v_pk_fma_f16 v4, v102, v113, v4 op_sel:[0,1,0]
	v_pk_fma_f16 v6, v102, v114, v6 op_sel_hi:[1,0,1]
	v_pk_fma_f16 v5, v102, v114, v5 op_sel:[0,1,0]
	v_pk_fma_f16 v7, v103, v115, v7 op_sel_hi:[1,0,1]
	;; [unrolled: 2-line block ×4, first 2 shown]
	v_pk_fma_f16 v69, v105, v115, v69 op_sel_hi:[1,0,1]
	v_pk_fma_f16 v72, v105, v115, v72 op_sel:[0,1,0]
	v_pk_fma_f16 v73, v105, v116, v73 op_sel_hi:[1,0,1]
	v_pk_fma_f16 v70, v106, v115, v70 op_sel_hi:[1,0,1]
	v_pk_fma_f16 v74, v106, v115, v74 op_sel:[0,1,0]
	v_pk_fma_f16 v75, v106, v116, v75 op_sel_hi:[1,0,1]
	v_pk_fma_f16 v60, v131, v152, v60 op_sel:[0,1,0]
	v_pk_fma_f16 v61, v133, v151, v61 op_sel:[0,1,0]
	;; [unrolled: 1-line block ×4, first 2 shown]
	v_pk_fma_f16 v63, v136, v153, v63 op_sel_hi:[1,0,1]
	v_pk_fma_f16 v57, v136, v154, v57 op_sel:[0,1,0]
	v_pk_fma_f16 v58, v137, v154, v58 op_sel:[0,1,0]
	;; [unrolled: 1-line block ×3, first 2 shown]
	v_pk_fma_f16 v71, v107, v115, v71 op_sel_hi:[1,0,1]
	v_pk_fma_f16 v64, v108, v115, v64 op_sel_hi:[1,0,1]
	v_pk_fma_f16 v8, v108, v115, v8 op_sel:[0,1,0]
	v_pk_fma_f16 v9, v108, v116, v9 op_sel_hi:[1,0,1]
	v_pk_fma_f16 v65, v109, v116, v65 op_sel_hi:[1,0,1]
	;; [unrolled: 1-line block ×3, first 2 shown]
	v_pk_fma_f16 v4, v110, v115, v4 op_sel:[0,1,0]
	v_pk_fma_f16 v6, v110, v116, v6 op_sel_hi:[1,0,1]
	v_pk_fma_f16 v5, v110, v116, v5 op_sel:[0,1,0]
	v_pk_fma_f16 v77, v91, v111, v77 op_sel:[0,1,0]
	v_pk_fma_f16 v81, v91, v112, v81 op_sel_hi:[1,0,1]
	v_pk_fma_f16 v53, v92, v112, v53 op_sel:[0,1,0]
	v_pk_fma_f16 v54, v93, v111, v54 op_sel_hi:[1,0,1]
	v_pk_fma_f16 v7, v119, v117, v7 op_sel_hi:[1,0,1]
	v_pk_fma_f16 v10, v119, v117, v10 op_sel:[0,1,0]
	v_pk_fma_f16 v11, v119, v118, v11 op_sel_hi:[1,0,1]
	v_pk_fma_f16 v67, v120, v117, v67 op_sel:[0,1,0]
	v_pk_fma_f16 v68, v120, v118, v68 op_sel_hi:[1,0,1]
	v_pk_fma_f16 v69, v121, v117, v69 op_sel_hi:[1,0,1]
	v_pk_fma_f16 v72, v121, v117, v72 op_sel:[0,1,0]
	v_pk_fma_f16 v73, v121, v118, v73 op_sel_hi:[1,0,1]
	;; [unrolled: 3-line block ×3, first 2 shown]
	v_pk_fma_f16 v60, v139, v154, v60 op_sel:[0,1,0]
	v_pk_fma_f16 v61, v141, v153, v61 op_sel:[0,1,0]
	;; [unrolled: 1-line block ×4, first 2 shown]
	v_pk_fma_f16 v63, v144, v155, v63 op_sel_hi:[1,0,1]
	v_pk_fma_f16 v57, v144, v156, v57 op_sel:[0,1,0]
	v_pk_fma_f16 v58, v145, v156, v58 op_sel:[0,1,0]
	;; [unrolled: 1-line block ×3, first 2 shown]
	v_pk_fma_f16 v71, v123, v117, v71 op_sel_hi:[1,0,1]
	v_pk_fma_f16 v64, v124, v117, v64 op_sel_hi:[1,0,1]
	v_pk_fma_f16 v8, v124, v117, v8 op_sel:[0,1,0]
	v_pk_fma_f16 v9, v124, v118, v9 op_sel_hi:[1,0,1]
	v_pk_fma_f16 v65, v125, v118, v65 op_sel_hi:[1,0,1]
	;; [unrolled: 1-line block ×3, first 2 shown]
	v_pk_fma_f16 v4, v126, v117, v4 op_sel:[0,1,0]
	v_pk_fma_f16 v6, v126, v118, v6 op_sel_hi:[1,0,1]
	v_pk_fma_f16 v5, v126, v118, v5 op_sel:[0,1,0]
	v_pk_fma_f16 v77, v99, v113, v77 op_sel:[0,1,0]
	v_pk_fma_f16 v81, v99, v114, v81 op_sel_hi:[1,0,1]
	v_pk_fma_f16 v53, v100, v114, v53 op_sel:[0,1,0]
	v_pk_fma_f16 v54, v101, v113, v54 op_sel_hi:[1,0,1]
	v_pk_fma_f16 v7, v127, v151, v7 op_sel_hi:[1,0,1]
	v_pk_fma_f16 v10, v127, v151, v10 op_sel:[0,1,0]
	v_pk_fma_f16 v11, v127, v152, v11 op_sel_hi:[1,0,1]
	v_pk_fma_f16 v67, v128, v151, v67 op_sel:[0,1,0]
	v_pk_fma_f16 v68, v128, v152, v68 op_sel_hi:[1,0,1]
	v_pk_fma_f16 v69, v129, v151, v69 op_sel_hi:[1,0,1]
	v_pk_fma_f16 v72, v129, v151, v72 op_sel:[0,1,0]
	v_pk_fma_f16 v73, v129, v152, v73 op_sel_hi:[1,0,1]
	;; [unrolled: 3-line block ×3, first 2 shown]
	v_pk_fma_f16 v82, v147, v156, v60 op_sel:[0,1,0]
	v_pk_fma_f16 v83, v149, v155, v61 op_sel:[0,1,0]
	;; [unrolled: 1-line block ×4, first 2 shown]
	v_pk_fma_f16 v92, v160, v157, v63 op_sel_hi:[1,0,1]
	v_pk_fma_f16 v95, v160, v158, v57 op_sel:[0,1,0]
	v_pk_fma_f16 v97, v161, v158, v58 op_sel:[0,1,0]
	;; [unrolled: 1-line block ×3, first 2 shown]
	s_waitcnt vmcnt(3)
	ds_store_b128 v42, v[167:170]
	s_waitcnt vmcnt(2)
	ds_store_b128 v43, v[171:174]
	;; [unrolled: 2-line block ×4, first 2 shown]
	s_waitcnt lgkmcnt(0)
	s_barrier
	buffer_gl0_inv
	ds_load_2addr_b64 v[56:59], v85 offset1:32
	ds_load_b128 v[60:63], v40 offset:384
	v_pk_fma_f16 v71, v131, v151, v71 op_sel_hi:[1,0,1]
	v_pk_fma_f16 v64, v132, v151, v64 op_sel_hi:[1,0,1]
	v_pk_fma_f16 v8, v132, v151, v8 op_sel:[0,1,0]
	v_pk_fma_f16 v9, v132, v152, v9 op_sel_hi:[1,0,1]
	v_pk_fma_f16 v65, v133, v152, v65 op_sel_hi:[1,0,1]
	v_pk_fma_f16 v66, v134, v151, v66 op_sel_hi:[1,0,1]
	v_pk_fma_f16 v4, v134, v151, v4 op_sel:[0,1,0]
	v_pk_fma_f16 v6, v134, v152, v6 op_sel_hi:[1,0,1]
	v_pk_fma_f16 v5, v134, v152, v5 op_sel:[0,1,0]
	v_pk_fma_f16 v77, v107, v115, v77 op_sel:[0,1,0]
	v_pk_fma_f16 v81, v107, v116, v81 op_sel_hi:[1,0,1]
	v_pk_fma_f16 v53, v108, v116, v53 op_sel:[0,1,0]
	v_pk_fma_f16 v54, v109, v115, v54 op_sel_hi:[1,0,1]
	v_pk_fma_f16 v7, v135, v153, v7 op_sel_hi:[1,0,1]
	v_pk_fma_f16 v10, v135, v153, v10 op_sel:[0,1,0]
	v_pk_fma_f16 v11, v135, v154, v11 op_sel_hi:[1,0,1]
	v_pk_fma_f16 v67, v136, v153, v67 op_sel:[0,1,0]
	v_pk_fma_f16 v68, v136, v154, v68 op_sel_hi:[1,0,1]
	v_pk_fma_f16 v69, v137, v153, v69 op_sel_hi:[1,0,1]
	v_pk_fma_f16 v72, v137, v153, v72 op_sel:[0,1,0]
	v_pk_fma_f16 v73, v137, v154, v73 op_sel_hi:[1,0,1]
	v_pk_fma_f16 v70, v138, v153, v70 op_sel_hi:[1,0,1]
	v_pk_fma_f16 v74, v138, v153, v74 op_sel:[0,1,0]
	v_pk_fma_f16 v75, v138, v154, v75 op_sel_hi:[1,0,1]
	v_pk_fma_f16 v71, v139, v153, v71 op_sel_hi:[1,0,1]
	v_pk_fma_f16 v64, v140, v153, v64 op_sel_hi:[1,0,1]
	v_pk_fma_f16 v8, v140, v153, v8 op_sel:[0,1,0]
	v_pk_fma_f16 v9, v140, v154, v9 op_sel_hi:[1,0,1]
	v_pk_fma_f16 v65, v141, v154, v65 op_sel_hi:[1,0,1]
	v_pk_fma_f16 v66, v142, v153, v66 op_sel_hi:[1,0,1]
	v_pk_fma_f16 v4, v142, v153, v4 op_sel:[0,1,0]
	v_pk_fma_f16 v6, v142, v154, v6 op_sel_hi:[1,0,1]
	v_pk_fma_f16 v5, v142, v154, v5 op_sel:[0,1,0]
	v_pk_fma_f16 v77, v123, v117, v77 op_sel:[0,1,0]
	v_pk_fma_f16 v81, v123, v118, v81 op_sel_hi:[1,0,1]
	v_pk_fma_f16 v53, v124, v118, v53 op_sel:[0,1,0]
	v_pk_fma_f16 v54, v125, v117, v54 op_sel_hi:[1,0,1]
	v_pk_fma_f16 v7, v143, v155, v7 op_sel_hi:[1,0,1]
	v_pk_fma_f16 v10, v143, v155, v10 op_sel:[0,1,0]
	v_pk_fma_f16 v11, v143, v156, v11 op_sel_hi:[1,0,1]
	v_pk_fma_f16 v67, v144, v155, v67 op_sel:[0,1,0]
	v_pk_fma_f16 v68, v144, v156, v68 op_sel_hi:[1,0,1]
	v_pk_fma_f16 v69, v145, v155, v69 op_sel_hi:[1,0,1]
	v_pk_fma_f16 v72, v145, v155, v72 op_sel:[0,1,0]
	v_pk_fma_f16 v73, v145, v156, v73 op_sel_hi:[1,0,1]
	v_pk_fma_f16 v70, v146, v155, v70 op_sel_hi:[1,0,1]
	v_pk_fma_f16 v74, v146, v155, v74 op_sel:[0,1,0]
	v_pk_fma_f16 v75, v146, v156, v75 op_sel_hi:[1,0,1]
	;; [unrolled: 24-line block ×3, first 2 shown]
	v_pk_fma_f16 v101, v163, v157, v71 op_sel_hi:[1,0,1]
	v_pk_fma_f16 v102, v164, v157, v64 op_sel_hi:[1,0,1]
	v_pk_fma_f16 v103, v164, v157, v8 op_sel:[0,1,0]
	v_pk_fma_f16 v104, v164, v158, v9 op_sel_hi:[1,0,1]
	v_pk_fma_f16 v105, v165, v158, v65 op_sel_hi:[1,0,1]
	v_pk_fma_f16 v106, v166, v157, v66 op_sel_hi:[1,0,1]
	v_pk_fma_f16 v107, v166, v157, v4 op_sel:[0,1,0]
	v_pk_fma_f16 v108, v166, v158, v6 op_sel_hi:[1,0,1]
	v_pk_fma_f16 v109, v166, v158, v5 op_sel:[0,1,0]
	ds_load_2addr_b64 v[64:67], v85 offset0:64 offset1:96
	ds_load_b128 v[68:71], v40 offset:400
	ds_load_b128 v[8:11], v40 offset:416
	;; [unrolled: 1-line block ×3, first 2 shown]
	v_pk_fma_f16 v77, v139, v153, v77 op_sel:[0,1,0]
	v_pk_fma_f16 v81, v139, v154, v81 op_sel_hi:[1,0,1]
	v_pk_fma_f16 v53, v140, v154, v53 op_sel:[0,1,0]
	v_pk_fma_f16 v54, v141, v153, v54 op_sel_hi:[1,0,1]
	s_waitcnt lgkmcnt(4)
	v_pk_fma_f16 v87, v56, v60, v87 op_sel_hi:[1,0,1]
	v_pk_fma_f16 v88, v56, v60, v88 op_sel:[0,1,0]
	v_pk_fma_f16 v89, v56, v61, v89 op_sel_hi:[1,0,1]
	v_pk_fma_f16 v91, v56, v61, v91 op_sel:[0,1,0]
	;; [unrolled: 2-line block ×7, first 2 shown]
	ds_load_2addr_b64 v[72:75], v85 offset0:128 offset1:160
	v_pk_fma_f16 v99, v59, v61, v99 op_sel_hi:[1,0,1]
	v_pk_fma_f16 v100, v59, v61, v100 op_sel:[0,1,0]
	ds_load_2addr_b64 v[56:59], v85 offset0:192 offset1:224
	v_pk_fma_f16 v77, v147, v155, v77 op_sel:[0,1,0]
	v_pk_fma_f16 v81, v147, v156, v81 op_sel_hi:[1,0,1]
	v_pk_fma_f16 v53, v148, v156, v53 op_sel:[0,1,0]
	v_pk_fma_f16 v54, v149, v155, v54 op_sel_hi:[1,0,1]
	v_pk_fma_f16 v82, v163, v158, v82 op_sel:[0,1,0]
	v_pk_fma_f16 v77, v163, v157, v77 op_sel:[0,1,0]
	v_pk_fma_f16 v81, v163, v158, v81 op_sel_hi:[1,0,1]
	v_pk_fma_f16 v53, v164, v158, v53 op_sel:[0,1,0]
	v_pk_fma_f16 v54, v165, v157, v54 op_sel_hi:[1,0,1]
	v_pk_fma_f16 v83, v165, v157, v83 op_sel:[0,1,0]
	v_pk_fma_f16 v86, v165, v158, v86 op_sel:[0,1,0]
	s_waitcnt lgkmcnt(5)
	v_pk_fma_f16 v101, v64, v60, v101 op_sel_hi:[1,0,1]
	v_pk_fma_f16 v77, v64, v60, v77 op_sel:[0,1,0]
	v_pk_fma_f16 v81, v64, v61, v81 op_sel_hi:[1,0,1]
	v_pk_fma_f16 v82, v64, v61, v82 op_sel:[0,1,0]
	;; [unrolled: 2-line block ×8, first 2 shown]
	ds_load_2addr_b64 v[64:67], v84 offset1:32
	s_waitcnt lgkmcnt(2)
	v_pk_fma_f16 v87, v72, v62, v87 op_sel_hi:[1,0,1]
	v_pk_fma_f16 v88, v72, v62, v88 op_sel:[0,1,0]
	v_pk_fma_f16 v89, v72, v63, v89 op_sel_hi:[1,0,1]
	v_pk_fma_f16 v91, v72, v63, v91 op_sel:[0,1,0]
	;; [unrolled: 2-line block ×8, first 2 shown]
	s_waitcnt lgkmcnt(1)
	v_pk_fma_f16 v101, v56, v62, v101 op_sel_hi:[1,0,1]
	v_pk_fma_f16 v77, v56, v62, v77 op_sel:[0,1,0]
	v_pk_fma_f16 v81, v56, v63, v81 op_sel_hi:[1,0,1]
	v_pk_fma_f16 v82, v56, v63, v82 op_sel:[0,1,0]
	v_pk_fma_f16 v102, v57, v62, v102 op_sel_hi:[1,0,1]
	v_pk_fma_f16 v103, v57, v62, v103 op_sel:[0,1,0]
	v_pk_fma_f16 v104, v57, v63, v104 op_sel_hi:[1,0,1]
	v_pk_fma_f16 v53, v57, v63, v53 op_sel:[0,1,0]
	v_pk_fma_f16 v54, v58, v62, v54 op_sel_hi:[1,0,1]
	v_pk_fma_f16 v83, v58, v62, v83 op_sel:[0,1,0]
	v_pk_fma_f16 v105, v58, v63, v105 op_sel_hi:[1,0,1]
	v_pk_fma_f16 v86, v58, v63, v86 op_sel:[0,1,0]
	v_pk_fma_f16 v106, v59, v62, v106 op_sel_hi:[1,0,1]
	v_pk_fma_f16 v60, v59, v62, v60 op_sel:[0,1,0]
	ds_load_2addr_b64 v[72:75], v84 offset0:64 offset1:96
	v_pk_fma_f16 v107, v59, v63, v107 op_sel_hi:[1,0,1]
	v_pk_fma_f16 v111, v59, v63, v61 op_sel:[0,1,0]
	ds_load_2addr_b64 v[56:59], v84 offset0:128 offset1:160
	s_waitcnt lgkmcnt(2)
	v_pk_fma_f16 v87, v64, v68, v87 op_sel_hi:[1,0,1]
	v_pk_fma_f16 v88, v64, v68, v88 op_sel:[0,1,0]
	v_pk_fma_f16 v89, v64, v69, v89 op_sel_hi:[1,0,1]
	v_pk_fma_f16 v64, v64, v69, v91 op_sel:[0,1,0]
	;; [unrolled: 2-line block ×8, first 2 shown]
	s_waitcnt lgkmcnt(1)
	v_pk_fma_f16 v101, v72, v68, v101 op_sel_hi:[1,0,1]
	v_pk_fma_f16 v77, v72, v68, v77 op_sel:[0,1,0]
	v_pk_fma_f16 v81, v72, v69, v81 op_sel_hi:[1,0,1]
	v_pk_fma_f16 v72, v72, v69, v82 op_sel:[0,1,0]
	;; [unrolled: 2-line block ×7, first 2 shown]
	ds_load_2addr_b64 v[60:63], v84 offset0:192 offset1:224
	v_pk_fma_f16 v104, v75, v69, v107 op_sel_hi:[1,0,1]
	v_pk_fma_f16 v69, v75, v69, v111 op_sel:[0,1,0]
	s_waitcnt lgkmcnt(1)
	v_pk_fma_f16 v75, v56, v70, v87 op_sel_hi:[1,0,1]
	v_pk_fma_f16 v87, v56, v70, v88 op_sel:[0,1,0]
	v_pk_fma_f16 v88, v56, v71, v89 op_sel_hi:[1,0,1]
	v_pk_fma_f16 v89, v56, v71, v64 op_sel:[0,1,0]
	v_pk_fma_f16 v105, v57, v71, v65 op_sel:[0,1,0]
	;; [unrolled: 1-line block ×3, first 2 shown]
	ds_load_2addr_b64 v[64:67], v51 offset1:32
	v_pk_fma_f16 v91, v57, v70, v91 op_sel_hi:[1,0,1]
	v_pk_fma_f16 v92, v57, v70, v92 op_sel:[0,1,0]
	v_pk_fma_f16 v93, v57, v71, v93 op_sel_hi:[1,0,1]
	v_pk_fma_f16 v94, v58, v70, v94 op_sel_hi:[1,0,1]
	v_pk_fma_f16 v95, v58, v70, v95 op_sel:[0,1,0]
	v_pk_fma_f16 v96, v58, v71, v96 op_sel_hi:[1,0,1]
	;; [unrolled: 3-line block ×3, first 2 shown]
	v_pk_fma_f16 v100, v59, v71, v100 op_sel:[0,1,0]
	ds_load_2addr_b64 v[56:59], v51 offset0:64 offset1:96
	s_or_b32 s4, s13, 64
	s_waitcnt lgkmcnt(2)
	v_pk_fma_f16 v101, v60, v70, v101 op_sel_hi:[1,0,1]
	v_pk_fma_f16 v77, v60, v70, v77 op_sel:[0,1,0]
	v_pk_fma_f16 v81, v60, v71, v81 op_sel_hi:[1,0,1]
	v_pk_fma_f16 v72, v60, v71, v72 op_sel:[0,1,0]
	v_pk_fma_f16 v82, v61, v70, v82 op_sel_hi:[1,0,1]
	v_pk_fma_f16 v102, v61, v70, v102 op_sel:[0,1,0]
	v_pk_fma_f16 v103, v61, v71, v103 op_sel_hi:[1,0,1]
	v_pk_fma_f16 v53, v61, v71, v53 op_sel:[0,1,0]
	v_pk_fma_f16 v54, v62, v70, v54 op_sel_hi:[1,0,1]
	v_pk_fma_f16 v73, v62, v70, v73 op_sel:[0,1,0]
	v_pk_fma_f16 v83, v62, v71, v83 op_sel_hi:[1,0,1]
	v_pk_fma_f16 v74, v62, v71, v74 op_sel:[0,1,0]
	v_pk_fma_f16 v86, v63, v70, v86 op_sel_hi:[1,0,1]
	v_pk_fma_f16 v68, v63, v70, v68 op_sel:[0,1,0]
	v_pk_fma_f16 v70, v63, v71, v104 op_sel_hi:[1,0,1]
	v_pk_fma_f16 v69, v63, v71, v69 op_sel:[0,1,0]
	s_waitcnt lgkmcnt(1)
	v_pk_fma_f16 v71, v64, v8, v75 op_sel_hi:[1,0,1]
	v_pk_fma_f16 v75, v64, v8, v87 op_sel:[0,1,0]
	v_pk_fma_f16 v87, v64, v9, v88 op_sel_hi:[1,0,1]
	v_pk_fma_f16 v88, v64, v9, v89 op_sel:[0,1,0]
	;; [unrolled: 2-line block ×7, first 2 shown]
	ds_load_2addr_b64 v[60:63], v51 offset0:128 offset1:160
	v_pk_fma_f16 v99, v67, v9, v99 op_sel_hi:[1,0,1]
	v_pk_fma_f16 v100, v67, v9, v100 op_sel:[0,1,0]
	ds_load_2addr_b64 v[64:67], v51 offset0:192 offset1:224
	s_mul_hi_i32 s19, s4, s10
	s_mul_i32 s18, s4, s10
	s_waitcnt lgkmcnt(2)
	v_pk_fma_f16 v101, v56, v8, v101 op_sel_hi:[1,0,1]
	s_lshl_b64 s[18:19], s[18:19], 2
	v_pk_fma_f16 v77, v56, v8, v77 op_sel:[0,1,0]
	s_add_u32 s4, s11, s18
	v_pk_fma_f16 v81, v56, v9, v81 op_sel_hi:[1,0,1]
	v_pk_fma_f16 v56, v56, v9, v72 op_sel:[0,1,0]
	v_pk_fma_f16 v72, v57, v8, v82 op_sel_hi:[1,0,1]
	v_pk_fma_f16 v82, v57, v8, v102 op_sel:[0,1,0]
	;; [unrolled: 2-line block ×4, first 2 shown]
	s_addc_u32 s17, s16, s19
	v_add_co_u32 v8, vcc_lo, s4, v27
	v_pk_fma_f16 v183, v57, v9, v103 op_sel_hi:[1,0,1]
	v_pk_fma_f16 v184, v57, v9, v53 op_sel:[0,1,0]
	v_pk_fma_f16 v83, v58, v9, v83 op_sel_hi:[1,0,1]
	v_pk_fma_f16 v187, v58, v9, v74 op_sel:[0,1,0]
	;; [unrolled: 2-line block ×3, first 2 shown]
	v_add_co_ci_u32_e32 v9, vcc_lo, s17, v28, vcc_lo
	v_add_co_u32 v53, vcc_lo, s4, v29
	v_add_co_ci_u32_e32 v54, vcc_lo, s17, v30, vcc_lo
	v_add_co_u32 v8, vcc_lo, v8, v90
	s_delay_alu instid0(VALU_DEP_4) | instskip(NEXT) | instid1(VALU_DEP_4)
	v_add_co_ci_u32_e32 v9, vcc_lo, 0, v9, vcc_lo
	v_add_co_u32 v53, vcc_lo, v53, v90
	s_delay_alu instid0(VALU_DEP_4)
	v_add_co_ci_u32_e32 v54, vcc_lo, 0, v54, vcc_lo
	s_waitcnt lgkmcnt(1)
	v_pk_fma_f16 v192, v60, v10, v71 op_sel_hi:[1,0,1]
	v_pk_fma_f16 v193, v60, v10, v75 op_sel:[0,1,0]
	v_pk_fma_f16 v194, v60, v11, v87 op_sel_hi:[1,0,1]
	v_pk_fma_f16 v195, v60, v11, v88 op_sel:[0,1,0]
	v_pk_fma_f16 v196, v61, v10, v89 op_sel_hi:[1,0,1]
	v_pk_fma_f16 v197, v61, v10, v91 op_sel:[0,1,0]
	v_pk_fma_f16 v198, v61, v11, v92 op_sel_hi:[1,0,1]
	v_pk_fma_f16 v199, v61, v11, v93 op_sel:[0,1,0]
	v_pk_fma_f16 v200, v62, v10, v94 op_sel_hi:[1,0,1]
	v_pk_fma_f16 v201, v62, v10, v95 op_sel:[0,1,0]
	v_pk_fma_f16 v202, v62, v11, v96 op_sel_hi:[1,0,1]
	v_pk_fma_f16 v203, v62, v11, v104 op_sel:[0,1,0]
	v_pk_fma_f16 v204, v63, v10, v97 op_sel_hi:[1,0,1]
	v_pk_fma_f16 v205, v63, v10, v98 op_sel:[0,1,0]
	v_pk_fma_f16 v206, v63, v11, v99 op_sel_hi:[1,0,1]
	v_pk_fma_f16 v207, v63, v11, v100 op_sel:[0,1,0]
	s_waitcnt lgkmcnt(0)
	v_pk_fma_f16 v208, v64, v10, v101 op_sel_hi:[1,0,1]
	v_pk_fma_f16 v77, v64, v10, v77 op_sel:[0,1,0]
	v_pk_fma_f16 v81, v64, v11, v81 op_sel_hi:[1,0,1]
	v_pk_fma_f16 v64, v64, v11, v56 op_sel:[0,1,0]
	v_pk_fma_f16 v209, v65, v10, v72 op_sel_hi:[1,0,1]
	ds_load_2addr_b64 v[56:59], v52 offset1:32
	ds_load_2addr_b64 v[60:63], v52 offset0:64 offset1:96
	ds_load_2addr_b64 v[68:71], v52 offset0:128 offset1:160
	;; [unrolled: 1-line block ×3, first 2 shown]
	ds_load_2addr_b64 v[86:89], v50 offset1:32
	ds_load_2addr_b64 v[91:94], v50 offset0:64 offset1:96
	ds_load_2addr_b64 v[95:98], v50 offset0:128 offset1:160
	;; [unrolled: 1-line block ×3, first 2 shown]
	ds_load_2addr_b64 v[103:106], v49 offset1:32
	ds_load_2addr_b64 v[107:110], v49 offset0:64 offset1:96
	ds_load_b128 v[111:114], v40 offset:448
	ds_load_b128 v[115:118], v40 offset:464
	ds_load_2addr_b64 v[119:122], v49 offset0:128 offset1:160
	ds_load_2addr_b64 v[123:126], v49 offset0:192 offset1:224
	ds_load_2addr_b64 v[127:130], v48 offset1:32
	ds_load_2addr_b64 v[131:134], v48 offset0:64 offset1:96
	ds_load_2addr_b64 v[135:138], v48 offset0:128 offset1:160
	;; [unrolled: 1-line block ×3, first 2 shown]
	ds_load_2addr_b64 v[143:146], v47 offset1:32
	ds_load_2addr_b64 v[147:150], v47 offset0:64 offset1:96
	ds_load_b128 v[151:154], v40 offset:480
	ds_load_b128 v[155:158], v40 offset:496
	ds_load_2addr_b64 v[159:162], v47 offset0:128 offset1:160
	ds_load_2addr_b64 v[163:166], v47 offset0:192 offset1:224
	s_waitcnt lgkmcnt(0)
	s_barrier
	buffer_gl0_inv
	s_clause 0x3
	global_load_b128 v[167:170], v[8:9], off
	global_load_b128 v[171:174], v[8:9], off offset:512
	global_load_b128 v[175:178], v[53:54], off
	global_load_b128 v[179:182], v[53:54], off offset:512
	v_pk_fma_f16 v8, v65, v10, v82 op_sel:[0,1,0]
	v_pk_fma_f16 v9, v65, v11, v183 op_sel_hi:[1,0,1]
	v_pk_fma_f16 v53, v65, v11, v184 op_sel:[0,1,0]
	v_pk_fma_f16 v54, v66, v10, v185 op_sel_hi:[1,0,1]
	;; [unrolled: 2-line block ×24, first 2 shown]
	v_pk_fma_f16 v57, v69, v7, v57 op_sel:[0,1,0]
	v_pk_fma_f16 v58, v70, v7, v58 op_sel:[0,1,0]
	;; [unrolled: 1-line block ×4, first 2 shown]
	v_pk_fma_f16 v83, v69, v7, v188 op_sel_hi:[1,0,1]
	v_pk_fma_f16 v69, v70, v6, v189 op_sel_hi:[1,0,1]
	v_pk_fma_f16 v183, v70, v6, v190 op_sel:[0,1,0]
	v_pk_fma_f16 v184, v70, v7, v191 op_sel_hi:[1,0,1]
	v_pk_fma_f16 v70, v71, v6, v192 op_sel_hi:[1,0,1]
	v_pk_fma_f16 v185, v71, v6, v193 op_sel:[0,1,0]
	;; [unrolled: 3-line block ×3, first 2 shown]
	v_pk_fma_f16 v60, v72, v7, v60 op_sel:[0,1,0]
	v_pk_fma_f16 v64, v73, v6, v64 op_sel_hi:[1,0,1]
	v_pk_fma_f16 v8, v73, v6, v8 op_sel:[0,1,0]
	v_pk_fma_f16 v54, v74, v6, v54 op_sel_hi:[1,0,1]
	v_pk_fma_f16 v61, v74, v6, v61 op_sel:[0,1,0]
	v_pk_fma_f16 v62, v74, v7, v62 op_sel:[0,1,0]
	v_pk_fma_f16 v66, v75, v6, v66 op_sel_hi:[1,0,1]
	v_pk_fma_f16 v4, v75, v6, v4 op_sel:[0,1,0]
	v_pk_fma_f16 v6, v75, v7, v10 op_sel_hi:[1,0,1]
	v_pk_fma_f16 v10, v86, v111, v63 op_sel:[0,1,0]
	v_pk_fma_f16 v56, v86, v112, v56 op_sel:[0,1,0]
	v_pk_fma_f16 v63, v87, v111, v68 op_sel_hi:[1,0,1]
	v_pk_fma_f16 v57, v87, v112, v57 op_sel:[0,1,0]
	v_pk_fma_f16 v58, v88, v112, v58 op_sel:[0,1,0]
	;; [unrolled: 1-line block ×7, first 2 shown]
	v_pk_fma_f16 v63, v96, v113, v63 op_sel_hi:[1,0,1]
	v_pk_fma_f16 v57, v96, v114, v57 op_sel:[0,1,0]
	v_pk_fma_f16 v58, v97, v114, v58 op_sel:[0,1,0]
	;; [unrolled: 1-line block ×7, first 2 shown]
	v_pk_fma_f16 v63, v104, v115, v63 op_sel_hi:[1,0,1]
	v_pk_fma_f16 v57, v104, v116, v57 op_sel:[0,1,0]
	v_pk_fma_f16 v58, v105, v116, v58 op_sel:[0,1,0]
	;; [unrolled: 1-line block ×3, first 2 shown]
	v_pk_fma_f16 v9, v73, v7, v9 op_sel_hi:[1,0,1]
	v_pk_fma_f16 v65, v74, v7, v65 op_sel_hi:[1,0,1]
	v_pk_fma_f16 v5, v75, v7, v5 op_sel:[0,1,0]
	v_pk_fma_f16 v81, v72, v7, v81 op_sel_hi:[1,0,1]
	v_pk_fma_f16 v53, v73, v7, v53 op_sel:[0,1,0]
	v_pk_fma_f16 v7, v86, v111, v11 op_sel_hi:[1,0,1]
	v_pk_fma_f16 v11, v86, v112, v67 op_sel_hi:[1,0,1]
	v_pk_fma_f16 v67, v87, v111, v82 op_sel:[0,1,0]
	v_pk_fma_f16 v68, v87, v112, v83 op_sel_hi:[1,0,1]
	v_pk_fma_f16 v69, v88, v111, v69 op_sel_hi:[1,0,1]
	v_pk_fma_f16 v72, v88, v111, v183 op_sel:[0,1,0]
	v_pk_fma_f16 v73, v88, v112, v184 op_sel_hi:[1,0,1]
	v_pk_fma_f16 v70, v89, v111, v70 op_sel_hi:[1,0,1]
	v_pk_fma_f16 v74, v89, v111, v185 op_sel:[0,1,0]
	v_pk_fma_f16 v75, v89, v112, v186 op_sel_hi:[1,0,1]
	v_pk_fma_f16 v60, v107, v116, v60 op_sel:[0,1,0]
	v_pk_fma_f16 v61, v109, v115, v61 op_sel:[0,1,0]
	;; [unrolled: 1-line block ×4, first 2 shown]
	v_pk_fma_f16 v63, v120, v117, v63 op_sel_hi:[1,0,1]
	v_pk_fma_f16 v57, v120, v118, v57 op_sel:[0,1,0]
	v_pk_fma_f16 v58, v121, v118, v58 op_sel:[0,1,0]
	;; [unrolled: 1-line block ×3, first 2 shown]
	v_pk_fma_f16 v71, v91, v111, v71 op_sel_hi:[1,0,1]
	v_pk_fma_f16 v64, v92, v111, v64 op_sel_hi:[1,0,1]
	v_pk_fma_f16 v8, v92, v111, v8 op_sel:[0,1,0]
	v_pk_fma_f16 v9, v92, v112, v9 op_sel_hi:[1,0,1]
	v_pk_fma_f16 v65, v93, v112, v65 op_sel_hi:[1,0,1]
	v_pk_fma_f16 v66, v94, v111, v66 op_sel_hi:[1,0,1]
	v_pk_fma_f16 v4, v94, v111, v4 op_sel:[0,1,0]
	v_pk_fma_f16 v6, v94, v112, v6 op_sel_hi:[1,0,1]
	v_pk_fma_f16 v5, v94, v112, v5 op_sel:[0,1,0]
	v_pk_fma_f16 v7, v95, v113, v7 op_sel_hi:[1,0,1]
	;; [unrolled: 2-line block ×4, first 2 shown]
	v_pk_fma_f16 v69, v97, v113, v69 op_sel_hi:[1,0,1]
	v_pk_fma_f16 v72, v97, v113, v72 op_sel:[0,1,0]
	v_pk_fma_f16 v73, v97, v114, v73 op_sel_hi:[1,0,1]
	v_pk_fma_f16 v70, v98, v113, v70 op_sel_hi:[1,0,1]
	v_pk_fma_f16 v74, v98, v113, v74 op_sel:[0,1,0]
	v_pk_fma_f16 v75, v98, v114, v75 op_sel_hi:[1,0,1]
	v_pk_fma_f16 v60, v123, v118, v60 op_sel:[0,1,0]
	v_pk_fma_f16 v61, v125, v117, v61 op_sel:[0,1,0]
	v_pk_fma_f16 v62, v125, v118, v62 op_sel:[0,1,0]
	v_pk_fma_f16 v56, v127, v152, v56 op_sel:[0,1,0]
	v_pk_fma_f16 v63, v128, v151, v63 op_sel_hi:[1,0,1]
	v_pk_fma_f16 v57, v128, v152, v57 op_sel:[0,1,0]
	v_pk_fma_f16 v58, v129, v152, v58 op_sel:[0,1,0]
	;; [unrolled: 1-line block ×3, first 2 shown]
	v_pk_fma_f16 v71, v99, v113, v71 op_sel_hi:[1,0,1]
	v_pk_fma_f16 v64, v100, v113, v64 op_sel_hi:[1,0,1]
	v_pk_fma_f16 v8, v100, v113, v8 op_sel:[0,1,0]
	v_pk_fma_f16 v9, v100, v114, v9 op_sel_hi:[1,0,1]
	v_pk_fma_f16 v65, v101, v114, v65 op_sel_hi:[1,0,1]
	;; [unrolled: 1-line block ×3, first 2 shown]
	v_pk_fma_f16 v4, v102, v113, v4 op_sel:[0,1,0]
	v_pk_fma_f16 v6, v102, v114, v6 op_sel_hi:[1,0,1]
	v_pk_fma_f16 v5, v102, v114, v5 op_sel:[0,1,0]
	v_pk_fma_f16 v7, v103, v115, v7 op_sel_hi:[1,0,1]
	;; [unrolled: 2-line block ×4, first 2 shown]
	v_pk_fma_f16 v69, v105, v115, v69 op_sel_hi:[1,0,1]
	v_pk_fma_f16 v72, v105, v115, v72 op_sel:[0,1,0]
	v_pk_fma_f16 v73, v105, v116, v73 op_sel_hi:[1,0,1]
	v_pk_fma_f16 v70, v106, v115, v70 op_sel_hi:[1,0,1]
	v_pk_fma_f16 v74, v106, v115, v74 op_sel:[0,1,0]
	v_pk_fma_f16 v75, v106, v116, v75 op_sel_hi:[1,0,1]
	v_pk_fma_f16 v60, v131, v152, v60 op_sel:[0,1,0]
	v_pk_fma_f16 v61, v133, v151, v61 op_sel:[0,1,0]
	;; [unrolled: 1-line block ×4, first 2 shown]
	v_pk_fma_f16 v63, v136, v153, v63 op_sel_hi:[1,0,1]
	v_pk_fma_f16 v57, v136, v154, v57 op_sel:[0,1,0]
	v_pk_fma_f16 v58, v137, v154, v58 op_sel:[0,1,0]
	;; [unrolled: 1-line block ×3, first 2 shown]
	v_pk_fma_f16 v71, v107, v115, v71 op_sel_hi:[1,0,1]
	v_pk_fma_f16 v64, v108, v115, v64 op_sel_hi:[1,0,1]
	v_pk_fma_f16 v8, v108, v115, v8 op_sel:[0,1,0]
	v_pk_fma_f16 v9, v108, v116, v9 op_sel_hi:[1,0,1]
	v_pk_fma_f16 v65, v109, v116, v65 op_sel_hi:[1,0,1]
	;; [unrolled: 1-line block ×3, first 2 shown]
	v_pk_fma_f16 v4, v110, v115, v4 op_sel:[0,1,0]
	v_pk_fma_f16 v6, v110, v116, v6 op_sel_hi:[1,0,1]
	v_pk_fma_f16 v5, v110, v116, v5 op_sel:[0,1,0]
	v_pk_fma_f16 v77, v91, v111, v77 op_sel:[0,1,0]
	v_pk_fma_f16 v81, v91, v112, v81 op_sel_hi:[1,0,1]
	v_pk_fma_f16 v53, v92, v112, v53 op_sel:[0,1,0]
	v_pk_fma_f16 v54, v93, v111, v54 op_sel_hi:[1,0,1]
	v_pk_fma_f16 v7, v119, v117, v7 op_sel_hi:[1,0,1]
	v_pk_fma_f16 v10, v119, v117, v10 op_sel:[0,1,0]
	v_pk_fma_f16 v11, v119, v118, v11 op_sel_hi:[1,0,1]
	v_pk_fma_f16 v67, v120, v117, v67 op_sel:[0,1,0]
	v_pk_fma_f16 v68, v120, v118, v68 op_sel_hi:[1,0,1]
	v_pk_fma_f16 v69, v121, v117, v69 op_sel_hi:[1,0,1]
	v_pk_fma_f16 v72, v121, v117, v72 op_sel:[0,1,0]
	v_pk_fma_f16 v73, v121, v118, v73 op_sel_hi:[1,0,1]
	;; [unrolled: 3-line block ×3, first 2 shown]
	v_pk_fma_f16 v60, v139, v154, v60 op_sel:[0,1,0]
	v_pk_fma_f16 v61, v141, v153, v61 op_sel:[0,1,0]
	;; [unrolled: 1-line block ×4, first 2 shown]
	v_pk_fma_f16 v63, v144, v155, v63 op_sel_hi:[1,0,1]
	v_pk_fma_f16 v57, v144, v156, v57 op_sel:[0,1,0]
	v_pk_fma_f16 v58, v145, v156, v58 op_sel:[0,1,0]
	;; [unrolled: 1-line block ×3, first 2 shown]
	v_pk_fma_f16 v71, v123, v117, v71 op_sel_hi:[1,0,1]
	v_pk_fma_f16 v64, v124, v117, v64 op_sel_hi:[1,0,1]
	v_pk_fma_f16 v8, v124, v117, v8 op_sel:[0,1,0]
	v_pk_fma_f16 v9, v124, v118, v9 op_sel_hi:[1,0,1]
	v_pk_fma_f16 v65, v125, v118, v65 op_sel_hi:[1,0,1]
	;; [unrolled: 1-line block ×3, first 2 shown]
	v_pk_fma_f16 v4, v126, v117, v4 op_sel:[0,1,0]
	v_pk_fma_f16 v6, v126, v118, v6 op_sel_hi:[1,0,1]
	v_pk_fma_f16 v5, v126, v118, v5 op_sel:[0,1,0]
	v_pk_fma_f16 v77, v99, v113, v77 op_sel:[0,1,0]
	v_pk_fma_f16 v81, v99, v114, v81 op_sel_hi:[1,0,1]
	v_pk_fma_f16 v53, v100, v114, v53 op_sel:[0,1,0]
	v_pk_fma_f16 v54, v101, v113, v54 op_sel_hi:[1,0,1]
	v_pk_fma_f16 v7, v127, v151, v7 op_sel_hi:[1,0,1]
	v_pk_fma_f16 v10, v127, v151, v10 op_sel:[0,1,0]
	v_pk_fma_f16 v11, v127, v152, v11 op_sel_hi:[1,0,1]
	v_pk_fma_f16 v67, v128, v151, v67 op_sel:[0,1,0]
	v_pk_fma_f16 v68, v128, v152, v68 op_sel_hi:[1,0,1]
	v_pk_fma_f16 v69, v129, v151, v69 op_sel_hi:[1,0,1]
	v_pk_fma_f16 v72, v129, v151, v72 op_sel:[0,1,0]
	v_pk_fma_f16 v73, v129, v152, v73 op_sel_hi:[1,0,1]
	;; [unrolled: 3-line block ×3, first 2 shown]
	v_pk_fma_f16 v82, v147, v156, v60 op_sel:[0,1,0]
	v_pk_fma_f16 v83, v149, v155, v61 op_sel:[0,1,0]
	;; [unrolled: 1-line block ×4, first 2 shown]
	v_pk_fma_f16 v92, v160, v157, v63 op_sel_hi:[1,0,1]
	v_pk_fma_f16 v95, v160, v158, v57 op_sel:[0,1,0]
	v_pk_fma_f16 v97, v161, v158, v58 op_sel:[0,1,0]
	;; [unrolled: 1-line block ×3, first 2 shown]
	s_waitcnt vmcnt(3)
	ds_store_b128 v42, v[167:170]
	s_waitcnt vmcnt(2)
	ds_store_b128 v43, v[171:174]
	;; [unrolled: 2-line block ×4, first 2 shown]
	s_waitcnt lgkmcnt(0)
	s_barrier
	buffer_gl0_inv
	ds_load_2addr_b64 v[56:59], v85 offset1:32
	ds_load_b128 v[60:63], v40 offset:512
	v_pk_fma_f16 v71, v131, v151, v71 op_sel_hi:[1,0,1]
	v_pk_fma_f16 v64, v132, v151, v64 op_sel_hi:[1,0,1]
	v_pk_fma_f16 v8, v132, v151, v8 op_sel:[0,1,0]
	v_pk_fma_f16 v9, v132, v152, v9 op_sel_hi:[1,0,1]
	v_pk_fma_f16 v65, v133, v152, v65 op_sel_hi:[1,0,1]
	v_pk_fma_f16 v66, v134, v151, v66 op_sel_hi:[1,0,1]
	v_pk_fma_f16 v4, v134, v151, v4 op_sel:[0,1,0]
	v_pk_fma_f16 v6, v134, v152, v6 op_sel_hi:[1,0,1]
	v_pk_fma_f16 v5, v134, v152, v5 op_sel:[0,1,0]
	v_pk_fma_f16 v77, v107, v115, v77 op_sel:[0,1,0]
	v_pk_fma_f16 v81, v107, v116, v81 op_sel_hi:[1,0,1]
	v_pk_fma_f16 v53, v108, v116, v53 op_sel:[0,1,0]
	v_pk_fma_f16 v54, v109, v115, v54 op_sel_hi:[1,0,1]
	v_pk_fma_f16 v7, v135, v153, v7 op_sel_hi:[1,0,1]
	v_pk_fma_f16 v10, v135, v153, v10 op_sel:[0,1,0]
	v_pk_fma_f16 v11, v135, v154, v11 op_sel_hi:[1,0,1]
	v_pk_fma_f16 v67, v136, v153, v67 op_sel:[0,1,0]
	v_pk_fma_f16 v68, v136, v154, v68 op_sel_hi:[1,0,1]
	v_pk_fma_f16 v69, v137, v153, v69 op_sel_hi:[1,0,1]
	v_pk_fma_f16 v72, v137, v153, v72 op_sel:[0,1,0]
	v_pk_fma_f16 v73, v137, v154, v73 op_sel_hi:[1,0,1]
	v_pk_fma_f16 v70, v138, v153, v70 op_sel_hi:[1,0,1]
	v_pk_fma_f16 v74, v138, v153, v74 op_sel:[0,1,0]
	v_pk_fma_f16 v75, v138, v154, v75 op_sel_hi:[1,0,1]
	v_pk_fma_f16 v71, v139, v153, v71 op_sel_hi:[1,0,1]
	v_pk_fma_f16 v64, v140, v153, v64 op_sel_hi:[1,0,1]
	v_pk_fma_f16 v8, v140, v153, v8 op_sel:[0,1,0]
	v_pk_fma_f16 v9, v140, v154, v9 op_sel_hi:[1,0,1]
	v_pk_fma_f16 v65, v141, v154, v65 op_sel_hi:[1,0,1]
	v_pk_fma_f16 v66, v142, v153, v66 op_sel_hi:[1,0,1]
	v_pk_fma_f16 v4, v142, v153, v4 op_sel:[0,1,0]
	v_pk_fma_f16 v6, v142, v154, v6 op_sel_hi:[1,0,1]
	v_pk_fma_f16 v5, v142, v154, v5 op_sel:[0,1,0]
	v_pk_fma_f16 v77, v123, v117, v77 op_sel:[0,1,0]
	v_pk_fma_f16 v81, v123, v118, v81 op_sel_hi:[1,0,1]
	v_pk_fma_f16 v53, v124, v118, v53 op_sel:[0,1,0]
	v_pk_fma_f16 v54, v125, v117, v54 op_sel_hi:[1,0,1]
	v_pk_fma_f16 v7, v143, v155, v7 op_sel_hi:[1,0,1]
	v_pk_fma_f16 v10, v143, v155, v10 op_sel:[0,1,0]
	v_pk_fma_f16 v11, v143, v156, v11 op_sel_hi:[1,0,1]
	v_pk_fma_f16 v67, v144, v155, v67 op_sel:[0,1,0]
	v_pk_fma_f16 v68, v144, v156, v68 op_sel_hi:[1,0,1]
	v_pk_fma_f16 v69, v145, v155, v69 op_sel_hi:[1,0,1]
	v_pk_fma_f16 v72, v145, v155, v72 op_sel:[0,1,0]
	v_pk_fma_f16 v73, v145, v156, v73 op_sel_hi:[1,0,1]
	v_pk_fma_f16 v70, v146, v155, v70 op_sel_hi:[1,0,1]
	v_pk_fma_f16 v74, v146, v155, v74 op_sel:[0,1,0]
	v_pk_fma_f16 v75, v146, v156, v75 op_sel_hi:[1,0,1]
	;; [unrolled: 24-line block ×3, first 2 shown]
	v_pk_fma_f16 v101, v163, v157, v71 op_sel_hi:[1,0,1]
	v_pk_fma_f16 v102, v164, v157, v64 op_sel_hi:[1,0,1]
	v_pk_fma_f16 v103, v164, v157, v8 op_sel:[0,1,0]
	v_pk_fma_f16 v104, v164, v158, v9 op_sel_hi:[1,0,1]
	v_pk_fma_f16 v105, v165, v158, v65 op_sel_hi:[1,0,1]
	;; [unrolled: 1-line block ×3, first 2 shown]
	v_pk_fma_f16 v107, v166, v157, v4 op_sel:[0,1,0]
	v_pk_fma_f16 v108, v166, v158, v6 op_sel_hi:[1,0,1]
	v_pk_fma_f16 v109, v166, v158, v5 op_sel:[0,1,0]
	ds_load_2addr_b64 v[64:67], v85 offset0:64 offset1:96
	ds_load_b128 v[68:71], v40 offset:528
	ds_load_b128 v[8:11], v40 offset:544
	;; [unrolled: 1-line block ×3, first 2 shown]
	v_pk_fma_f16 v77, v139, v153, v77 op_sel:[0,1,0]
	v_pk_fma_f16 v81, v139, v154, v81 op_sel_hi:[1,0,1]
	v_pk_fma_f16 v53, v140, v154, v53 op_sel:[0,1,0]
	v_pk_fma_f16 v54, v141, v153, v54 op_sel_hi:[1,0,1]
	s_waitcnt lgkmcnt(4)
	v_pk_fma_f16 v87, v56, v60, v87 op_sel_hi:[1,0,1]
	v_pk_fma_f16 v88, v56, v60, v88 op_sel:[0,1,0]
	v_pk_fma_f16 v89, v56, v61, v89 op_sel_hi:[1,0,1]
	v_pk_fma_f16 v91, v56, v61, v91 op_sel:[0,1,0]
	;; [unrolled: 2-line block ×7, first 2 shown]
	ds_load_2addr_b64 v[72:75], v85 offset0:128 offset1:160
	v_pk_fma_f16 v99, v59, v61, v99 op_sel_hi:[1,0,1]
	v_pk_fma_f16 v100, v59, v61, v100 op_sel:[0,1,0]
	ds_load_2addr_b64 v[56:59], v85 offset0:192 offset1:224
	v_pk_fma_f16 v77, v147, v155, v77 op_sel:[0,1,0]
	v_pk_fma_f16 v81, v147, v156, v81 op_sel_hi:[1,0,1]
	v_pk_fma_f16 v53, v148, v156, v53 op_sel:[0,1,0]
	v_pk_fma_f16 v54, v149, v155, v54 op_sel_hi:[1,0,1]
	v_pk_fma_f16 v82, v163, v158, v82 op_sel:[0,1,0]
	v_pk_fma_f16 v77, v163, v157, v77 op_sel:[0,1,0]
	v_pk_fma_f16 v81, v163, v158, v81 op_sel_hi:[1,0,1]
	v_pk_fma_f16 v53, v164, v158, v53 op_sel:[0,1,0]
	v_pk_fma_f16 v54, v165, v157, v54 op_sel_hi:[1,0,1]
	v_pk_fma_f16 v83, v165, v157, v83 op_sel:[0,1,0]
	v_pk_fma_f16 v86, v165, v158, v86 op_sel:[0,1,0]
	s_waitcnt lgkmcnt(5)
	v_pk_fma_f16 v101, v64, v60, v101 op_sel_hi:[1,0,1]
	v_pk_fma_f16 v77, v64, v60, v77 op_sel:[0,1,0]
	v_pk_fma_f16 v81, v64, v61, v81 op_sel_hi:[1,0,1]
	v_pk_fma_f16 v82, v64, v61, v82 op_sel:[0,1,0]
	;; [unrolled: 2-line block ×8, first 2 shown]
	ds_load_2addr_b64 v[64:67], v84 offset1:32
	s_waitcnt lgkmcnt(2)
	v_pk_fma_f16 v87, v72, v62, v87 op_sel_hi:[1,0,1]
	v_pk_fma_f16 v88, v72, v62, v88 op_sel:[0,1,0]
	v_pk_fma_f16 v89, v72, v63, v89 op_sel_hi:[1,0,1]
	v_pk_fma_f16 v91, v72, v63, v91 op_sel:[0,1,0]
	;; [unrolled: 2-line block ×8, first 2 shown]
	s_waitcnt lgkmcnt(1)
	v_pk_fma_f16 v101, v56, v62, v101 op_sel_hi:[1,0,1]
	v_pk_fma_f16 v77, v56, v62, v77 op_sel:[0,1,0]
	v_pk_fma_f16 v81, v56, v63, v81 op_sel_hi:[1,0,1]
	v_pk_fma_f16 v82, v56, v63, v82 op_sel:[0,1,0]
	;; [unrolled: 2-line block ×7, first 2 shown]
	ds_load_2addr_b64 v[72:75], v84 offset0:64 offset1:96
	v_pk_fma_f16 v107, v59, v63, v107 op_sel_hi:[1,0,1]
	v_pk_fma_f16 v111, v59, v63, v61 op_sel:[0,1,0]
	ds_load_2addr_b64 v[56:59], v84 offset0:128 offset1:160
	s_waitcnt lgkmcnt(2)
	v_pk_fma_f16 v87, v64, v68, v87 op_sel_hi:[1,0,1]
	v_pk_fma_f16 v88, v64, v68, v88 op_sel:[0,1,0]
	v_pk_fma_f16 v89, v64, v69, v89 op_sel_hi:[1,0,1]
	v_pk_fma_f16 v64, v64, v69, v91 op_sel:[0,1,0]
	;; [unrolled: 2-line block ×8, first 2 shown]
	s_waitcnt lgkmcnt(1)
	v_pk_fma_f16 v101, v72, v68, v101 op_sel_hi:[1,0,1]
	v_pk_fma_f16 v77, v72, v68, v77 op_sel:[0,1,0]
	v_pk_fma_f16 v81, v72, v69, v81 op_sel_hi:[1,0,1]
	v_pk_fma_f16 v72, v72, v69, v82 op_sel:[0,1,0]
	;; [unrolled: 2-line block ×7, first 2 shown]
	ds_load_2addr_b64 v[60:63], v84 offset0:192 offset1:224
	v_pk_fma_f16 v104, v75, v69, v107 op_sel_hi:[1,0,1]
	v_pk_fma_f16 v69, v75, v69, v111 op_sel:[0,1,0]
	s_waitcnt lgkmcnt(1)
	v_pk_fma_f16 v75, v56, v70, v87 op_sel_hi:[1,0,1]
	v_pk_fma_f16 v87, v56, v70, v88 op_sel:[0,1,0]
	v_pk_fma_f16 v88, v56, v71, v89 op_sel_hi:[1,0,1]
	v_pk_fma_f16 v89, v56, v71, v64 op_sel:[0,1,0]
	v_pk_fma_f16 v105, v57, v71, v65 op_sel:[0,1,0]
	;; [unrolled: 1-line block ×3, first 2 shown]
	ds_load_2addr_b64 v[64:67], v51 offset1:32
	v_pk_fma_f16 v91, v57, v70, v91 op_sel_hi:[1,0,1]
	v_pk_fma_f16 v92, v57, v70, v92 op_sel:[0,1,0]
	v_pk_fma_f16 v93, v57, v71, v93 op_sel_hi:[1,0,1]
	v_pk_fma_f16 v94, v58, v70, v94 op_sel_hi:[1,0,1]
	v_pk_fma_f16 v95, v58, v70, v95 op_sel:[0,1,0]
	v_pk_fma_f16 v96, v58, v71, v96 op_sel_hi:[1,0,1]
	;; [unrolled: 3-line block ×3, first 2 shown]
	v_pk_fma_f16 v100, v59, v71, v100 op_sel:[0,1,0]
	ds_load_2addr_b64 v[56:59], v51 offset0:64 offset1:96
	s_or_b32 s4, s13, 0x50
	s_waitcnt lgkmcnt(2)
	v_pk_fma_f16 v101, v60, v70, v101 op_sel_hi:[1,0,1]
	v_pk_fma_f16 v77, v60, v70, v77 op_sel:[0,1,0]
	v_pk_fma_f16 v81, v60, v71, v81 op_sel_hi:[1,0,1]
	v_pk_fma_f16 v72, v60, v71, v72 op_sel:[0,1,0]
	;; [unrolled: 2-line block ×8, first 2 shown]
	s_waitcnt lgkmcnt(1)
	v_pk_fma_f16 v71, v64, v8, v75 op_sel_hi:[1,0,1]
	v_pk_fma_f16 v75, v64, v8, v87 op_sel:[0,1,0]
	v_pk_fma_f16 v87, v64, v9, v88 op_sel_hi:[1,0,1]
	v_pk_fma_f16 v88, v64, v9, v89 op_sel:[0,1,0]
	;; [unrolled: 2-line block ×7, first 2 shown]
	ds_load_2addr_b64 v[60:63], v51 offset0:128 offset1:160
	v_pk_fma_f16 v99, v67, v9, v99 op_sel_hi:[1,0,1]
	v_pk_fma_f16 v100, v67, v9, v100 op_sel:[0,1,0]
	ds_load_2addr_b64 v[64:67], v51 offset0:192 offset1:224
	s_mul_hi_i32 s19, s4, s10
	s_mul_i32 s18, s4, s10
	s_waitcnt lgkmcnt(2)
	v_pk_fma_f16 v101, v56, v8, v101 op_sel_hi:[1,0,1]
	s_lshl_b64 s[18:19], s[18:19], 2
	v_pk_fma_f16 v77, v56, v8, v77 op_sel:[0,1,0]
	s_add_u32 s4, s11, s18
	v_pk_fma_f16 v81, v56, v9, v81 op_sel_hi:[1,0,1]
	v_pk_fma_f16 v56, v56, v9, v72 op_sel:[0,1,0]
	v_pk_fma_f16 v72, v57, v8, v82 op_sel_hi:[1,0,1]
	v_pk_fma_f16 v82, v57, v8, v102 op_sel:[0,1,0]
	;; [unrolled: 2-line block ×4, first 2 shown]
	s_addc_u32 s17, s16, s19
	v_add_co_u32 v8, vcc_lo, s4, v27
	v_pk_fma_f16 v183, v57, v9, v103 op_sel_hi:[1,0,1]
	v_pk_fma_f16 v184, v57, v9, v53 op_sel:[0,1,0]
	v_pk_fma_f16 v83, v58, v9, v83 op_sel_hi:[1,0,1]
	v_pk_fma_f16 v187, v58, v9, v74 op_sel:[0,1,0]
	;; [unrolled: 2-line block ×3, first 2 shown]
	v_add_co_ci_u32_e32 v9, vcc_lo, s17, v28, vcc_lo
	v_add_co_u32 v53, vcc_lo, s4, v29
	v_add_co_ci_u32_e32 v54, vcc_lo, s17, v30, vcc_lo
	v_add_co_u32 v8, vcc_lo, v8, v90
	s_delay_alu instid0(VALU_DEP_4) | instskip(NEXT) | instid1(VALU_DEP_4)
	v_add_co_ci_u32_e32 v9, vcc_lo, 0, v9, vcc_lo
	v_add_co_u32 v53, vcc_lo, v53, v90
	s_delay_alu instid0(VALU_DEP_4)
	v_add_co_ci_u32_e32 v54, vcc_lo, 0, v54, vcc_lo
	s_waitcnt lgkmcnt(1)
	v_pk_fma_f16 v192, v60, v10, v71 op_sel_hi:[1,0,1]
	v_pk_fma_f16 v193, v60, v10, v75 op_sel:[0,1,0]
	v_pk_fma_f16 v194, v60, v11, v87 op_sel_hi:[1,0,1]
	v_pk_fma_f16 v195, v60, v11, v88 op_sel:[0,1,0]
	;; [unrolled: 2-line block ×8, first 2 shown]
	s_waitcnt lgkmcnt(0)
	v_pk_fma_f16 v208, v64, v10, v101 op_sel_hi:[1,0,1]
	v_pk_fma_f16 v77, v64, v10, v77 op_sel:[0,1,0]
	v_pk_fma_f16 v81, v64, v11, v81 op_sel_hi:[1,0,1]
	v_pk_fma_f16 v64, v64, v11, v56 op_sel:[0,1,0]
	v_pk_fma_f16 v209, v65, v10, v72 op_sel_hi:[1,0,1]
	ds_load_2addr_b64 v[56:59], v52 offset1:32
	ds_load_2addr_b64 v[60:63], v52 offset0:64 offset1:96
	ds_load_2addr_b64 v[68:71], v52 offset0:128 offset1:160
	ds_load_2addr_b64 v[72:75], v52 offset0:192 offset1:224
	ds_load_2addr_b64 v[86:89], v50 offset1:32
	ds_load_2addr_b64 v[91:94], v50 offset0:64 offset1:96
	ds_load_2addr_b64 v[95:98], v50 offset0:128 offset1:160
	ds_load_2addr_b64 v[99:102], v50 offset0:192 offset1:224
	ds_load_2addr_b64 v[103:106], v49 offset1:32
	ds_load_2addr_b64 v[107:110], v49 offset0:64 offset1:96
	ds_load_b128 v[111:114], v40 offset:576
	ds_load_b128 v[115:118], v40 offset:592
	ds_load_2addr_b64 v[119:122], v49 offset0:128 offset1:160
	ds_load_2addr_b64 v[123:126], v49 offset0:192 offset1:224
	ds_load_2addr_b64 v[127:130], v48 offset1:32
	ds_load_2addr_b64 v[131:134], v48 offset0:64 offset1:96
	ds_load_2addr_b64 v[135:138], v48 offset0:128 offset1:160
	ds_load_2addr_b64 v[139:142], v48 offset0:192 offset1:224
	ds_load_2addr_b64 v[143:146], v47 offset1:32
	ds_load_2addr_b64 v[147:150], v47 offset0:64 offset1:96
	ds_load_b128 v[151:154], v40 offset:608
	ds_load_b128 v[155:158], v40 offset:624
	ds_load_2addr_b64 v[159:162], v47 offset0:128 offset1:160
	ds_load_2addr_b64 v[163:166], v47 offset0:192 offset1:224
	s_waitcnt lgkmcnt(0)
	s_barrier
	buffer_gl0_inv
	s_clause 0x3
	global_load_b128 v[167:170], v[8:9], off
	global_load_b128 v[171:174], v[8:9], off offset:512
	global_load_b128 v[175:178], v[53:54], off
	global_load_b128 v[179:182], v[53:54], off offset:512
	v_pk_fma_f16 v8, v65, v10, v82 op_sel:[0,1,0]
	v_pk_fma_f16 v9, v65, v11, v183 op_sel_hi:[1,0,1]
	v_pk_fma_f16 v53, v65, v11, v184 op_sel:[0,1,0]
	v_pk_fma_f16 v54, v66, v10, v185 op_sel_hi:[1,0,1]
	;; [unrolled: 2-line block ×24, first 2 shown]
	v_pk_fma_f16 v57, v69, v7, v57 op_sel:[0,1,0]
	v_pk_fma_f16 v58, v70, v7, v58 op_sel:[0,1,0]
	;; [unrolled: 1-line block ×4, first 2 shown]
	v_pk_fma_f16 v83, v69, v7, v188 op_sel_hi:[1,0,1]
	v_pk_fma_f16 v69, v70, v6, v189 op_sel_hi:[1,0,1]
	v_pk_fma_f16 v183, v70, v6, v190 op_sel:[0,1,0]
	v_pk_fma_f16 v184, v70, v7, v191 op_sel_hi:[1,0,1]
	v_pk_fma_f16 v70, v71, v6, v192 op_sel_hi:[1,0,1]
	v_pk_fma_f16 v185, v71, v6, v193 op_sel:[0,1,0]
	;; [unrolled: 3-line block ×3, first 2 shown]
	v_pk_fma_f16 v60, v72, v7, v60 op_sel:[0,1,0]
	v_pk_fma_f16 v64, v73, v6, v64 op_sel_hi:[1,0,1]
	v_pk_fma_f16 v8, v73, v6, v8 op_sel:[0,1,0]
	v_pk_fma_f16 v54, v74, v6, v54 op_sel_hi:[1,0,1]
	v_pk_fma_f16 v61, v74, v6, v61 op_sel:[0,1,0]
	v_pk_fma_f16 v62, v74, v7, v62 op_sel:[0,1,0]
	v_pk_fma_f16 v66, v75, v6, v66 op_sel_hi:[1,0,1]
	v_pk_fma_f16 v4, v75, v6, v4 op_sel:[0,1,0]
	v_pk_fma_f16 v6, v75, v7, v10 op_sel_hi:[1,0,1]
	v_pk_fma_f16 v10, v86, v111, v63 op_sel:[0,1,0]
	v_pk_fma_f16 v56, v86, v112, v56 op_sel:[0,1,0]
	v_pk_fma_f16 v63, v87, v111, v68 op_sel_hi:[1,0,1]
	v_pk_fma_f16 v57, v87, v112, v57 op_sel:[0,1,0]
	v_pk_fma_f16 v58, v88, v112, v58 op_sel:[0,1,0]
	;; [unrolled: 1-line block ×7, first 2 shown]
	v_pk_fma_f16 v63, v96, v113, v63 op_sel_hi:[1,0,1]
	v_pk_fma_f16 v57, v96, v114, v57 op_sel:[0,1,0]
	v_pk_fma_f16 v58, v97, v114, v58 op_sel:[0,1,0]
	;; [unrolled: 1-line block ×7, first 2 shown]
	v_pk_fma_f16 v63, v104, v115, v63 op_sel_hi:[1,0,1]
	v_pk_fma_f16 v57, v104, v116, v57 op_sel:[0,1,0]
	v_pk_fma_f16 v58, v105, v116, v58 op_sel:[0,1,0]
	;; [unrolled: 1-line block ×3, first 2 shown]
	v_pk_fma_f16 v9, v73, v7, v9 op_sel_hi:[1,0,1]
	v_pk_fma_f16 v65, v74, v7, v65 op_sel_hi:[1,0,1]
	v_pk_fma_f16 v5, v75, v7, v5 op_sel:[0,1,0]
	v_pk_fma_f16 v81, v72, v7, v81 op_sel_hi:[1,0,1]
	v_pk_fma_f16 v53, v73, v7, v53 op_sel:[0,1,0]
	v_pk_fma_f16 v7, v86, v111, v11 op_sel_hi:[1,0,1]
	v_pk_fma_f16 v11, v86, v112, v67 op_sel_hi:[1,0,1]
	v_pk_fma_f16 v67, v87, v111, v82 op_sel:[0,1,0]
	v_pk_fma_f16 v68, v87, v112, v83 op_sel_hi:[1,0,1]
	;; [unrolled: 3-line block ×4, first 2 shown]
	v_pk_fma_f16 v60, v107, v116, v60 op_sel:[0,1,0]
	v_pk_fma_f16 v61, v109, v115, v61 op_sel:[0,1,0]
	;; [unrolled: 1-line block ×4, first 2 shown]
	v_pk_fma_f16 v63, v120, v117, v63 op_sel_hi:[1,0,1]
	v_pk_fma_f16 v57, v120, v118, v57 op_sel:[0,1,0]
	v_pk_fma_f16 v58, v121, v118, v58 op_sel:[0,1,0]
	v_pk_fma_f16 v59, v122, v118, v59 op_sel:[0,1,0]
	v_pk_fma_f16 v71, v91, v111, v71 op_sel_hi:[1,0,1]
	v_pk_fma_f16 v64, v92, v111, v64 op_sel_hi:[1,0,1]
	v_pk_fma_f16 v8, v92, v111, v8 op_sel:[0,1,0]
	v_pk_fma_f16 v9, v92, v112, v9 op_sel_hi:[1,0,1]
	v_pk_fma_f16 v65, v93, v112, v65 op_sel_hi:[1,0,1]
	;; [unrolled: 1-line block ×3, first 2 shown]
	v_pk_fma_f16 v4, v94, v111, v4 op_sel:[0,1,0]
	v_pk_fma_f16 v6, v94, v112, v6 op_sel_hi:[1,0,1]
	v_pk_fma_f16 v5, v94, v112, v5 op_sel:[0,1,0]
	v_pk_fma_f16 v7, v95, v113, v7 op_sel_hi:[1,0,1]
	;; [unrolled: 2-line block ×4, first 2 shown]
	v_pk_fma_f16 v69, v97, v113, v69 op_sel_hi:[1,0,1]
	v_pk_fma_f16 v72, v97, v113, v72 op_sel:[0,1,0]
	v_pk_fma_f16 v73, v97, v114, v73 op_sel_hi:[1,0,1]
	v_pk_fma_f16 v70, v98, v113, v70 op_sel_hi:[1,0,1]
	v_pk_fma_f16 v74, v98, v113, v74 op_sel:[0,1,0]
	v_pk_fma_f16 v75, v98, v114, v75 op_sel_hi:[1,0,1]
	v_pk_fma_f16 v60, v123, v118, v60 op_sel:[0,1,0]
	v_pk_fma_f16 v61, v125, v117, v61 op_sel:[0,1,0]
	;; [unrolled: 1-line block ×4, first 2 shown]
	v_pk_fma_f16 v63, v128, v151, v63 op_sel_hi:[1,0,1]
	v_pk_fma_f16 v57, v128, v152, v57 op_sel:[0,1,0]
	v_pk_fma_f16 v58, v129, v152, v58 op_sel:[0,1,0]
	;; [unrolled: 1-line block ×3, first 2 shown]
	v_pk_fma_f16 v71, v99, v113, v71 op_sel_hi:[1,0,1]
	v_pk_fma_f16 v64, v100, v113, v64 op_sel_hi:[1,0,1]
	v_pk_fma_f16 v8, v100, v113, v8 op_sel:[0,1,0]
	v_pk_fma_f16 v9, v100, v114, v9 op_sel_hi:[1,0,1]
	v_pk_fma_f16 v65, v101, v114, v65 op_sel_hi:[1,0,1]
	;; [unrolled: 1-line block ×3, first 2 shown]
	v_pk_fma_f16 v4, v102, v113, v4 op_sel:[0,1,0]
	v_pk_fma_f16 v6, v102, v114, v6 op_sel_hi:[1,0,1]
	v_pk_fma_f16 v5, v102, v114, v5 op_sel:[0,1,0]
	v_pk_fma_f16 v7, v103, v115, v7 op_sel_hi:[1,0,1]
	;; [unrolled: 2-line block ×4, first 2 shown]
	v_pk_fma_f16 v69, v105, v115, v69 op_sel_hi:[1,0,1]
	v_pk_fma_f16 v72, v105, v115, v72 op_sel:[0,1,0]
	v_pk_fma_f16 v73, v105, v116, v73 op_sel_hi:[1,0,1]
	v_pk_fma_f16 v70, v106, v115, v70 op_sel_hi:[1,0,1]
	v_pk_fma_f16 v74, v106, v115, v74 op_sel:[0,1,0]
	v_pk_fma_f16 v75, v106, v116, v75 op_sel_hi:[1,0,1]
	v_pk_fma_f16 v60, v131, v152, v60 op_sel:[0,1,0]
	v_pk_fma_f16 v61, v133, v151, v61 op_sel:[0,1,0]
	;; [unrolled: 1-line block ×4, first 2 shown]
	v_pk_fma_f16 v63, v136, v153, v63 op_sel_hi:[1,0,1]
	v_pk_fma_f16 v57, v136, v154, v57 op_sel:[0,1,0]
	v_pk_fma_f16 v58, v137, v154, v58 op_sel:[0,1,0]
	v_pk_fma_f16 v59, v138, v154, v59 op_sel:[0,1,0]
	v_pk_fma_f16 v71, v107, v115, v71 op_sel_hi:[1,0,1]
	v_pk_fma_f16 v64, v108, v115, v64 op_sel_hi:[1,0,1]
	v_pk_fma_f16 v8, v108, v115, v8 op_sel:[0,1,0]
	v_pk_fma_f16 v9, v108, v116, v9 op_sel_hi:[1,0,1]
	v_pk_fma_f16 v65, v109, v116, v65 op_sel_hi:[1,0,1]
	;; [unrolled: 1-line block ×3, first 2 shown]
	v_pk_fma_f16 v4, v110, v115, v4 op_sel:[0,1,0]
	v_pk_fma_f16 v6, v110, v116, v6 op_sel_hi:[1,0,1]
	v_pk_fma_f16 v5, v110, v116, v5 op_sel:[0,1,0]
	v_pk_fma_f16 v77, v91, v111, v77 op_sel:[0,1,0]
	v_pk_fma_f16 v81, v91, v112, v81 op_sel_hi:[1,0,1]
	v_pk_fma_f16 v53, v92, v112, v53 op_sel:[0,1,0]
	v_pk_fma_f16 v54, v93, v111, v54 op_sel_hi:[1,0,1]
	v_pk_fma_f16 v7, v119, v117, v7 op_sel_hi:[1,0,1]
	v_pk_fma_f16 v10, v119, v117, v10 op_sel:[0,1,0]
	v_pk_fma_f16 v11, v119, v118, v11 op_sel_hi:[1,0,1]
	v_pk_fma_f16 v67, v120, v117, v67 op_sel:[0,1,0]
	v_pk_fma_f16 v68, v120, v118, v68 op_sel_hi:[1,0,1]
	v_pk_fma_f16 v69, v121, v117, v69 op_sel_hi:[1,0,1]
	v_pk_fma_f16 v72, v121, v117, v72 op_sel:[0,1,0]
	v_pk_fma_f16 v73, v121, v118, v73 op_sel_hi:[1,0,1]
	;; [unrolled: 3-line block ×3, first 2 shown]
	v_pk_fma_f16 v60, v139, v154, v60 op_sel:[0,1,0]
	v_pk_fma_f16 v61, v141, v153, v61 op_sel:[0,1,0]
	;; [unrolled: 1-line block ×4, first 2 shown]
	v_pk_fma_f16 v63, v144, v155, v63 op_sel_hi:[1,0,1]
	v_pk_fma_f16 v57, v144, v156, v57 op_sel:[0,1,0]
	v_pk_fma_f16 v58, v145, v156, v58 op_sel:[0,1,0]
	;; [unrolled: 1-line block ×3, first 2 shown]
	v_pk_fma_f16 v71, v123, v117, v71 op_sel_hi:[1,0,1]
	v_pk_fma_f16 v64, v124, v117, v64 op_sel_hi:[1,0,1]
	v_pk_fma_f16 v8, v124, v117, v8 op_sel:[0,1,0]
	v_pk_fma_f16 v9, v124, v118, v9 op_sel_hi:[1,0,1]
	v_pk_fma_f16 v65, v125, v118, v65 op_sel_hi:[1,0,1]
	;; [unrolled: 1-line block ×3, first 2 shown]
	v_pk_fma_f16 v4, v126, v117, v4 op_sel:[0,1,0]
	v_pk_fma_f16 v6, v126, v118, v6 op_sel_hi:[1,0,1]
	v_pk_fma_f16 v5, v126, v118, v5 op_sel:[0,1,0]
	v_pk_fma_f16 v77, v99, v113, v77 op_sel:[0,1,0]
	v_pk_fma_f16 v81, v99, v114, v81 op_sel_hi:[1,0,1]
	v_pk_fma_f16 v53, v100, v114, v53 op_sel:[0,1,0]
	v_pk_fma_f16 v54, v101, v113, v54 op_sel_hi:[1,0,1]
	v_pk_fma_f16 v7, v127, v151, v7 op_sel_hi:[1,0,1]
	v_pk_fma_f16 v10, v127, v151, v10 op_sel:[0,1,0]
	v_pk_fma_f16 v11, v127, v152, v11 op_sel_hi:[1,0,1]
	v_pk_fma_f16 v67, v128, v151, v67 op_sel:[0,1,0]
	v_pk_fma_f16 v68, v128, v152, v68 op_sel_hi:[1,0,1]
	v_pk_fma_f16 v69, v129, v151, v69 op_sel_hi:[1,0,1]
	v_pk_fma_f16 v72, v129, v151, v72 op_sel:[0,1,0]
	v_pk_fma_f16 v73, v129, v152, v73 op_sel_hi:[1,0,1]
	;; [unrolled: 3-line block ×3, first 2 shown]
	v_pk_fma_f16 v82, v147, v156, v60 op_sel:[0,1,0]
	v_pk_fma_f16 v83, v149, v155, v61 op_sel:[0,1,0]
	;; [unrolled: 1-line block ×4, first 2 shown]
	v_pk_fma_f16 v92, v160, v157, v63 op_sel_hi:[1,0,1]
	v_pk_fma_f16 v95, v160, v158, v57 op_sel:[0,1,0]
	v_pk_fma_f16 v97, v161, v158, v58 op_sel:[0,1,0]
	;; [unrolled: 1-line block ×3, first 2 shown]
	s_waitcnt vmcnt(3)
	ds_store_b128 v42, v[167:170]
	s_waitcnt vmcnt(2)
	ds_store_b128 v43, v[171:174]
	;; [unrolled: 2-line block ×4, first 2 shown]
	s_waitcnt lgkmcnt(0)
	s_barrier
	buffer_gl0_inv
	ds_load_2addr_b64 v[56:59], v85 offset1:32
	ds_load_b128 v[60:63], v40 offset:640
	v_pk_fma_f16 v71, v131, v151, v71 op_sel_hi:[1,0,1]
	v_pk_fma_f16 v64, v132, v151, v64 op_sel_hi:[1,0,1]
	v_pk_fma_f16 v8, v132, v151, v8 op_sel:[0,1,0]
	v_pk_fma_f16 v9, v132, v152, v9 op_sel_hi:[1,0,1]
	v_pk_fma_f16 v65, v133, v152, v65 op_sel_hi:[1,0,1]
	v_pk_fma_f16 v66, v134, v151, v66 op_sel_hi:[1,0,1]
	v_pk_fma_f16 v4, v134, v151, v4 op_sel:[0,1,0]
	v_pk_fma_f16 v6, v134, v152, v6 op_sel_hi:[1,0,1]
	v_pk_fma_f16 v5, v134, v152, v5 op_sel:[0,1,0]
	v_pk_fma_f16 v77, v107, v115, v77 op_sel:[0,1,0]
	v_pk_fma_f16 v81, v107, v116, v81 op_sel_hi:[1,0,1]
	v_pk_fma_f16 v53, v108, v116, v53 op_sel:[0,1,0]
	v_pk_fma_f16 v54, v109, v115, v54 op_sel_hi:[1,0,1]
	v_pk_fma_f16 v7, v135, v153, v7 op_sel_hi:[1,0,1]
	v_pk_fma_f16 v10, v135, v153, v10 op_sel:[0,1,0]
	v_pk_fma_f16 v11, v135, v154, v11 op_sel_hi:[1,0,1]
	v_pk_fma_f16 v67, v136, v153, v67 op_sel:[0,1,0]
	v_pk_fma_f16 v68, v136, v154, v68 op_sel_hi:[1,0,1]
	v_pk_fma_f16 v69, v137, v153, v69 op_sel_hi:[1,0,1]
	v_pk_fma_f16 v72, v137, v153, v72 op_sel:[0,1,0]
	v_pk_fma_f16 v73, v137, v154, v73 op_sel_hi:[1,0,1]
	v_pk_fma_f16 v70, v138, v153, v70 op_sel_hi:[1,0,1]
	v_pk_fma_f16 v74, v138, v153, v74 op_sel:[0,1,0]
	v_pk_fma_f16 v75, v138, v154, v75 op_sel_hi:[1,0,1]
	v_pk_fma_f16 v71, v139, v153, v71 op_sel_hi:[1,0,1]
	v_pk_fma_f16 v64, v140, v153, v64 op_sel_hi:[1,0,1]
	v_pk_fma_f16 v8, v140, v153, v8 op_sel:[0,1,0]
	v_pk_fma_f16 v9, v140, v154, v9 op_sel_hi:[1,0,1]
	v_pk_fma_f16 v65, v141, v154, v65 op_sel_hi:[1,0,1]
	v_pk_fma_f16 v66, v142, v153, v66 op_sel_hi:[1,0,1]
	v_pk_fma_f16 v4, v142, v153, v4 op_sel:[0,1,0]
	v_pk_fma_f16 v6, v142, v154, v6 op_sel_hi:[1,0,1]
	v_pk_fma_f16 v5, v142, v154, v5 op_sel:[0,1,0]
	v_pk_fma_f16 v77, v123, v117, v77 op_sel:[0,1,0]
	v_pk_fma_f16 v81, v123, v118, v81 op_sel_hi:[1,0,1]
	v_pk_fma_f16 v53, v124, v118, v53 op_sel:[0,1,0]
	v_pk_fma_f16 v54, v125, v117, v54 op_sel_hi:[1,0,1]
	v_pk_fma_f16 v7, v143, v155, v7 op_sel_hi:[1,0,1]
	v_pk_fma_f16 v10, v143, v155, v10 op_sel:[0,1,0]
	v_pk_fma_f16 v11, v143, v156, v11 op_sel_hi:[1,0,1]
	v_pk_fma_f16 v67, v144, v155, v67 op_sel:[0,1,0]
	v_pk_fma_f16 v68, v144, v156, v68 op_sel_hi:[1,0,1]
	v_pk_fma_f16 v69, v145, v155, v69 op_sel_hi:[1,0,1]
	v_pk_fma_f16 v72, v145, v155, v72 op_sel:[0,1,0]
	v_pk_fma_f16 v73, v145, v156, v73 op_sel_hi:[1,0,1]
	v_pk_fma_f16 v70, v146, v155, v70 op_sel_hi:[1,0,1]
	v_pk_fma_f16 v74, v146, v155, v74 op_sel:[0,1,0]
	v_pk_fma_f16 v75, v146, v156, v75 op_sel_hi:[1,0,1]
	;; [unrolled: 24-line block ×3, first 2 shown]
	v_pk_fma_f16 v101, v163, v157, v71 op_sel_hi:[1,0,1]
	v_pk_fma_f16 v102, v164, v157, v64 op_sel_hi:[1,0,1]
	v_pk_fma_f16 v103, v164, v157, v8 op_sel:[0,1,0]
	v_pk_fma_f16 v104, v164, v158, v9 op_sel_hi:[1,0,1]
	v_pk_fma_f16 v105, v165, v158, v65 op_sel_hi:[1,0,1]
	;; [unrolled: 1-line block ×3, first 2 shown]
	v_pk_fma_f16 v107, v166, v157, v4 op_sel:[0,1,0]
	v_pk_fma_f16 v108, v166, v158, v6 op_sel_hi:[1,0,1]
	v_pk_fma_f16 v109, v166, v158, v5 op_sel:[0,1,0]
	ds_load_2addr_b64 v[64:67], v85 offset0:64 offset1:96
	ds_load_b128 v[68:71], v40 offset:656
	ds_load_b128 v[8:11], v40 offset:672
	;; [unrolled: 1-line block ×3, first 2 shown]
	v_pk_fma_f16 v77, v139, v153, v77 op_sel:[0,1,0]
	v_pk_fma_f16 v81, v139, v154, v81 op_sel_hi:[1,0,1]
	v_pk_fma_f16 v53, v140, v154, v53 op_sel:[0,1,0]
	v_pk_fma_f16 v54, v141, v153, v54 op_sel_hi:[1,0,1]
	s_waitcnt lgkmcnt(4)
	v_pk_fma_f16 v87, v56, v60, v87 op_sel_hi:[1,0,1]
	v_pk_fma_f16 v88, v56, v60, v88 op_sel:[0,1,0]
	v_pk_fma_f16 v89, v56, v61, v89 op_sel_hi:[1,0,1]
	v_pk_fma_f16 v91, v56, v61, v91 op_sel:[0,1,0]
	;; [unrolled: 2-line block ×7, first 2 shown]
	ds_load_2addr_b64 v[72:75], v85 offset0:128 offset1:160
	v_pk_fma_f16 v99, v59, v61, v99 op_sel_hi:[1,0,1]
	v_pk_fma_f16 v100, v59, v61, v100 op_sel:[0,1,0]
	ds_load_2addr_b64 v[56:59], v85 offset0:192 offset1:224
	v_pk_fma_f16 v77, v147, v155, v77 op_sel:[0,1,0]
	v_pk_fma_f16 v81, v147, v156, v81 op_sel_hi:[1,0,1]
	v_pk_fma_f16 v53, v148, v156, v53 op_sel:[0,1,0]
	v_pk_fma_f16 v54, v149, v155, v54 op_sel_hi:[1,0,1]
	v_pk_fma_f16 v82, v163, v158, v82 op_sel:[0,1,0]
	v_pk_fma_f16 v77, v163, v157, v77 op_sel:[0,1,0]
	v_pk_fma_f16 v81, v163, v158, v81 op_sel_hi:[1,0,1]
	v_pk_fma_f16 v53, v164, v158, v53 op_sel:[0,1,0]
	v_pk_fma_f16 v54, v165, v157, v54 op_sel_hi:[1,0,1]
	v_pk_fma_f16 v83, v165, v157, v83 op_sel:[0,1,0]
	v_pk_fma_f16 v86, v165, v158, v86 op_sel:[0,1,0]
	s_waitcnt lgkmcnt(5)
	v_pk_fma_f16 v101, v64, v60, v101 op_sel_hi:[1,0,1]
	v_pk_fma_f16 v77, v64, v60, v77 op_sel:[0,1,0]
	v_pk_fma_f16 v81, v64, v61, v81 op_sel_hi:[1,0,1]
	v_pk_fma_f16 v82, v64, v61, v82 op_sel:[0,1,0]
	;; [unrolled: 2-line block ×8, first 2 shown]
	ds_load_2addr_b64 v[64:67], v84 offset1:32
	s_waitcnt lgkmcnt(2)
	v_pk_fma_f16 v87, v72, v62, v87 op_sel_hi:[1,0,1]
	v_pk_fma_f16 v88, v72, v62, v88 op_sel:[0,1,0]
	v_pk_fma_f16 v89, v72, v63, v89 op_sel_hi:[1,0,1]
	v_pk_fma_f16 v91, v72, v63, v91 op_sel:[0,1,0]
	;; [unrolled: 2-line block ×8, first 2 shown]
	s_waitcnt lgkmcnt(1)
	v_pk_fma_f16 v101, v56, v62, v101 op_sel_hi:[1,0,1]
	v_pk_fma_f16 v77, v56, v62, v77 op_sel:[0,1,0]
	v_pk_fma_f16 v81, v56, v63, v81 op_sel_hi:[1,0,1]
	v_pk_fma_f16 v82, v56, v63, v82 op_sel:[0,1,0]
	;; [unrolled: 2-line block ×7, first 2 shown]
	ds_load_2addr_b64 v[72:75], v84 offset0:64 offset1:96
	v_pk_fma_f16 v107, v59, v63, v107 op_sel_hi:[1,0,1]
	v_pk_fma_f16 v111, v59, v63, v61 op_sel:[0,1,0]
	ds_load_2addr_b64 v[56:59], v84 offset0:128 offset1:160
	s_waitcnt lgkmcnt(2)
	v_pk_fma_f16 v87, v64, v68, v87 op_sel_hi:[1,0,1]
	v_pk_fma_f16 v88, v64, v68, v88 op_sel:[0,1,0]
	v_pk_fma_f16 v89, v64, v69, v89 op_sel_hi:[1,0,1]
	v_pk_fma_f16 v64, v64, v69, v91 op_sel:[0,1,0]
	;; [unrolled: 2-line block ×8, first 2 shown]
	s_waitcnt lgkmcnt(1)
	v_pk_fma_f16 v101, v72, v68, v101 op_sel_hi:[1,0,1]
	v_pk_fma_f16 v77, v72, v68, v77 op_sel:[0,1,0]
	v_pk_fma_f16 v81, v72, v69, v81 op_sel_hi:[1,0,1]
	v_pk_fma_f16 v72, v72, v69, v82 op_sel:[0,1,0]
	;; [unrolled: 2-line block ×7, first 2 shown]
	ds_load_2addr_b64 v[60:63], v84 offset0:192 offset1:224
	v_pk_fma_f16 v104, v75, v69, v107 op_sel_hi:[1,0,1]
	v_pk_fma_f16 v69, v75, v69, v111 op_sel:[0,1,0]
	s_waitcnt lgkmcnt(1)
	v_pk_fma_f16 v75, v56, v70, v87 op_sel_hi:[1,0,1]
	v_pk_fma_f16 v87, v56, v70, v88 op_sel:[0,1,0]
	v_pk_fma_f16 v88, v56, v71, v89 op_sel_hi:[1,0,1]
	v_pk_fma_f16 v89, v56, v71, v64 op_sel:[0,1,0]
	v_pk_fma_f16 v105, v57, v71, v65 op_sel:[0,1,0]
	;; [unrolled: 1-line block ×3, first 2 shown]
	ds_load_2addr_b64 v[64:67], v51 offset1:32
	v_pk_fma_f16 v91, v57, v70, v91 op_sel_hi:[1,0,1]
	v_pk_fma_f16 v92, v57, v70, v92 op_sel:[0,1,0]
	v_pk_fma_f16 v93, v57, v71, v93 op_sel_hi:[1,0,1]
	v_pk_fma_f16 v94, v58, v70, v94 op_sel_hi:[1,0,1]
	v_pk_fma_f16 v95, v58, v70, v95 op_sel:[0,1,0]
	v_pk_fma_f16 v96, v58, v71, v96 op_sel_hi:[1,0,1]
	;; [unrolled: 3-line block ×3, first 2 shown]
	v_pk_fma_f16 v100, v59, v71, v100 op_sel:[0,1,0]
	ds_load_2addr_b64 v[56:59], v51 offset0:64 offset1:96
	s_or_b32 s4, s13, 0x60
	s_waitcnt lgkmcnt(2)
	v_pk_fma_f16 v101, v60, v70, v101 op_sel_hi:[1,0,1]
	v_pk_fma_f16 v77, v60, v70, v77 op_sel:[0,1,0]
	v_pk_fma_f16 v81, v60, v71, v81 op_sel_hi:[1,0,1]
	v_pk_fma_f16 v72, v60, v71, v72 op_sel:[0,1,0]
	v_pk_fma_f16 v82, v61, v70, v82 op_sel_hi:[1,0,1]
	v_pk_fma_f16 v102, v61, v70, v102 op_sel:[0,1,0]
	v_pk_fma_f16 v103, v61, v71, v103 op_sel_hi:[1,0,1]
	v_pk_fma_f16 v53, v61, v71, v53 op_sel:[0,1,0]
	v_pk_fma_f16 v54, v62, v70, v54 op_sel_hi:[1,0,1]
	v_pk_fma_f16 v73, v62, v70, v73 op_sel:[0,1,0]
	v_pk_fma_f16 v83, v62, v71, v83 op_sel_hi:[1,0,1]
	v_pk_fma_f16 v74, v62, v71, v74 op_sel:[0,1,0]
	v_pk_fma_f16 v86, v63, v70, v86 op_sel_hi:[1,0,1]
	v_pk_fma_f16 v68, v63, v70, v68 op_sel:[0,1,0]
	v_pk_fma_f16 v70, v63, v71, v104 op_sel_hi:[1,0,1]
	v_pk_fma_f16 v69, v63, v71, v69 op_sel:[0,1,0]
	s_waitcnt lgkmcnt(1)
	v_pk_fma_f16 v71, v64, v8, v75 op_sel_hi:[1,0,1]
	v_pk_fma_f16 v75, v64, v8, v87 op_sel:[0,1,0]
	v_pk_fma_f16 v87, v64, v9, v88 op_sel_hi:[1,0,1]
	v_pk_fma_f16 v88, v64, v9, v89 op_sel:[0,1,0]
	;; [unrolled: 2-line block ×7, first 2 shown]
	ds_load_2addr_b64 v[60:63], v51 offset0:128 offset1:160
	v_pk_fma_f16 v99, v67, v9, v99 op_sel_hi:[1,0,1]
	v_pk_fma_f16 v100, v67, v9, v100 op_sel:[0,1,0]
	ds_load_2addr_b64 v[64:67], v51 offset0:192 offset1:224
	s_mul_hi_i32 s19, s4, s10
	s_mul_i32 s18, s4, s10
	s_waitcnt lgkmcnt(2)
	v_pk_fma_f16 v101, v56, v8, v101 op_sel_hi:[1,0,1]
	s_lshl_b64 s[18:19], s[18:19], 2
	v_pk_fma_f16 v77, v56, v8, v77 op_sel:[0,1,0]
	s_add_u32 s4, s11, s18
	v_pk_fma_f16 v81, v56, v9, v81 op_sel_hi:[1,0,1]
	v_pk_fma_f16 v56, v56, v9, v72 op_sel:[0,1,0]
	v_pk_fma_f16 v72, v57, v8, v82 op_sel_hi:[1,0,1]
	v_pk_fma_f16 v82, v57, v8, v102 op_sel:[0,1,0]
	;; [unrolled: 2-line block ×4, first 2 shown]
	s_addc_u32 s17, s16, s19
	v_add_co_u32 v8, vcc_lo, s4, v27
	v_pk_fma_f16 v183, v57, v9, v103 op_sel_hi:[1,0,1]
	v_pk_fma_f16 v184, v57, v9, v53 op_sel:[0,1,0]
	v_pk_fma_f16 v83, v58, v9, v83 op_sel_hi:[1,0,1]
	v_pk_fma_f16 v187, v58, v9, v74 op_sel:[0,1,0]
	;; [unrolled: 2-line block ×3, first 2 shown]
	v_add_co_ci_u32_e32 v9, vcc_lo, s17, v28, vcc_lo
	v_add_co_u32 v53, vcc_lo, s4, v29
	v_add_co_ci_u32_e32 v54, vcc_lo, s17, v30, vcc_lo
	v_add_co_u32 v8, vcc_lo, v8, v90
	s_delay_alu instid0(VALU_DEP_4) | instskip(NEXT) | instid1(VALU_DEP_4)
	v_add_co_ci_u32_e32 v9, vcc_lo, 0, v9, vcc_lo
	v_add_co_u32 v53, vcc_lo, v53, v90
	s_delay_alu instid0(VALU_DEP_4)
	v_add_co_ci_u32_e32 v54, vcc_lo, 0, v54, vcc_lo
	s_waitcnt lgkmcnt(1)
	v_pk_fma_f16 v192, v60, v10, v71 op_sel_hi:[1,0,1]
	v_pk_fma_f16 v193, v60, v10, v75 op_sel:[0,1,0]
	v_pk_fma_f16 v194, v60, v11, v87 op_sel_hi:[1,0,1]
	v_pk_fma_f16 v195, v60, v11, v88 op_sel:[0,1,0]
	;; [unrolled: 2-line block ×8, first 2 shown]
	s_waitcnt lgkmcnt(0)
	v_pk_fma_f16 v208, v64, v10, v101 op_sel_hi:[1,0,1]
	v_pk_fma_f16 v77, v64, v10, v77 op_sel:[0,1,0]
	v_pk_fma_f16 v81, v64, v11, v81 op_sel_hi:[1,0,1]
	v_pk_fma_f16 v64, v64, v11, v56 op_sel:[0,1,0]
	v_pk_fma_f16 v209, v65, v10, v72 op_sel_hi:[1,0,1]
	ds_load_2addr_b64 v[56:59], v52 offset1:32
	ds_load_2addr_b64 v[60:63], v52 offset0:64 offset1:96
	ds_load_2addr_b64 v[68:71], v52 offset0:128 offset1:160
	;; [unrolled: 1-line block ×3, first 2 shown]
	ds_load_2addr_b64 v[86:89], v50 offset1:32
	ds_load_2addr_b64 v[91:94], v50 offset0:64 offset1:96
	ds_load_2addr_b64 v[95:98], v50 offset0:128 offset1:160
	;; [unrolled: 1-line block ×3, first 2 shown]
	ds_load_2addr_b64 v[103:106], v49 offset1:32
	ds_load_2addr_b64 v[107:110], v49 offset0:64 offset1:96
	ds_load_b128 v[111:114], v40 offset:704
	ds_load_b128 v[115:118], v40 offset:720
	ds_load_2addr_b64 v[119:122], v49 offset0:128 offset1:160
	ds_load_2addr_b64 v[123:126], v49 offset0:192 offset1:224
	ds_load_2addr_b64 v[127:130], v48 offset1:32
	ds_load_2addr_b64 v[131:134], v48 offset0:64 offset1:96
	ds_load_2addr_b64 v[135:138], v48 offset0:128 offset1:160
	;; [unrolled: 1-line block ×3, first 2 shown]
	ds_load_2addr_b64 v[143:146], v47 offset1:32
	ds_load_2addr_b64 v[147:150], v47 offset0:64 offset1:96
	ds_load_b128 v[151:154], v40 offset:736
	ds_load_b128 v[155:158], v40 offset:752
	ds_load_2addr_b64 v[159:162], v47 offset0:128 offset1:160
	ds_load_2addr_b64 v[163:166], v47 offset0:192 offset1:224
	s_waitcnt lgkmcnt(0)
	s_barrier
	buffer_gl0_inv
	s_clause 0x3
	global_load_b128 v[167:170], v[8:9], off
	global_load_b128 v[171:174], v[8:9], off offset:512
	global_load_b128 v[175:178], v[53:54], off
	global_load_b128 v[179:182], v[53:54], off offset:512
	v_pk_fma_f16 v8, v65, v10, v82 op_sel:[0,1,0]
	v_pk_fma_f16 v9, v65, v11, v183 op_sel_hi:[1,0,1]
	v_pk_fma_f16 v53, v65, v11, v184 op_sel:[0,1,0]
	v_pk_fma_f16 v54, v66, v10, v185 op_sel_hi:[1,0,1]
	v_pk_fma_f16 v65, v66, v10, v186 op_sel:[0,1,0]
	v_pk_fma_f16 v82, v66, v11, v83 op_sel_hi:[1,0,1]
	v_pk_fma_f16 v66, v66, v11, v187 op_sel:[0,1,0]
	v_pk_fma_f16 v83, v67, v10, v188 op_sel_hi:[1,0,1]
	v_pk_fma_f16 v10, v67, v10, v189 op_sel:[0,1,0]
	v_pk_fma_f16 v183, v67, v11, v190 op_sel_hi:[1,0,1]
	v_pk_fma_f16 v11, v67, v11, v191 op_sel:[0,1,0]
	v_pk_fma_f16 v67, v56, v4, v192 op_sel_hi:[1,0,1]
	v_pk_fma_f16 v184, v56, v4, v193 op_sel:[0,1,0]
	v_pk_fma_f16 v185, v56, v5, v194 op_sel_hi:[1,0,1]
	v_pk_fma_f16 v56, v56, v5, v195 op_sel:[0,1,0]
	v_pk_fma_f16 v186, v57, v4, v196 op_sel_hi:[1,0,1]
	v_pk_fma_f16 v187, v57, v4, v197 op_sel:[0,1,0]
	v_pk_fma_f16 v188, v57, v5, v198 op_sel_hi:[1,0,1]
	v_pk_fma_f16 v57, v57, v5, v199 op_sel:[0,1,0]
	v_pk_fma_f16 v189, v58, v4, v200 op_sel_hi:[1,0,1]
	v_pk_fma_f16 v190, v58, v4, v201 op_sel:[0,1,0]
	v_pk_fma_f16 v191, v58, v5, v202 op_sel_hi:[1,0,1]
	v_pk_fma_f16 v58, v58, v5, v203 op_sel:[0,1,0]
	v_pk_fma_f16 v192, v59, v4, v204 op_sel_hi:[1,0,1]
	v_pk_fma_f16 v193, v59, v4, v205 op_sel:[0,1,0]
	v_pk_fma_f16 v194, v59, v5, v206 op_sel_hi:[1,0,1]
	v_pk_fma_f16 v59, v59, v5, v207 op_sel:[0,1,0]
	v_pk_fma_f16 v195, v60, v4, v208 op_sel_hi:[1,0,1]
	v_pk_fma_f16 v77, v60, v4, v77 op_sel:[0,1,0]
	v_pk_fma_f16 v81, v60, v5, v81 op_sel_hi:[1,0,1]
	v_pk_fma_f16 v60, v60, v5, v64 op_sel:[0,1,0]
	v_pk_fma_f16 v64, v61, v4, v209 op_sel_hi:[1,0,1]
	v_pk_fma_f16 v8, v61, v4, v8 op_sel:[0,1,0]
	v_pk_fma_f16 v9, v61, v5, v9 op_sel_hi:[1,0,1]
	v_pk_fma_f16 v53, v61, v5, v53 op_sel:[0,1,0]
	v_pk_fma_f16 v54, v62, v4, v54 op_sel_hi:[1,0,1]
	v_pk_fma_f16 v61, v62, v4, v65 op_sel:[0,1,0]
	v_pk_fma_f16 v65, v62, v5, v82 op_sel_hi:[1,0,1]
	v_pk_fma_f16 v62, v62, v5, v66 op_sel:[0,1,0]
	v_pk_fma_f16 v66, v63, v4, v83 op_sel_hi:[1,0,1]
	v_pk_fma_f16 v4, v63, v4, v10 op_sel:[0,1,0]
	v_pk_fma_f16 v10, v63, v5, v183 op_sel_hi:[1,0,1]
	v_pk_fma_f16 v5, v63, v5, v11 op_sel:[0,1,0]
	v_pk_fma_f16 v11, v68, v6, v67 op_sel_hi:[1,0,1]
	v_pk_fma_f16 v63, v68, v6, v184 op_sel:[0,1,0]
	v_pk_fma_f16 v67, v68, v7, v185 op_sel_hi:[1,0,1]
	v_pk_fma_f16 v56, v68, v7, v56 op_sel:[0,1,0]
	v_pk_fma_f16 v68, v69, v6, v186 op_sel_hi:[1,0,1]
	v_pk_fma_f16 v57, v69, v7, v57 op_sel:[0,1,0]
	v_pk_fma_f16 v58, v70, v7, v58 op_sel:[0,1,0]
	;; [unrolled: 1-line block ×4, first 2 shown]
	v_pk_fma_f16 v83, v69, v7, v188 op_sel_hi:[1,0,1]
	v_pk_fma_f16 v69, v70, v6, v189 op_sel_hi:[1,0,1]
	v_pk_fma_f16 v183, v70, v6, v190 op_sel:[0,1,0]
	v_pk_fma_f16 v184, v70, v7, v191 op_sel_hi:[1,0,1]
	v_pk_fma_f16 v70, v71, v6, v192 op_sel_hi:[1,0,1]
	v_pk_fma_f16 v185, v71, v6, v193 op_sel:[0,1,0]
	;; [unrolled: 3-line block ×3, first 2 shown]
	v_pk_fma_f16 v60, v72, v7, v60 op_sel:[0,1,0]
	v_pk_fma_f16 v64, v73, v6, v64 op_sel_hi:[1,0,1]
	v_pk_fma_f16 v8, v73, v6, v8 op_sel:[0,1,0]
	v_pk_fma_f16 v54, v74, v6, v54 op_sel_hi:[1,0,1]
	v_pk_fma_f16 v61, v74, v6, v61 op_sel:[0,1,0]
	v_pk_fma_f16 v62, v74, v7, v62 op_sel:[0,1,0]
	v_pk_fma_f16 v66, v75, v6, v66 op_sel_hi:[1,0,1]
	v_pk_fma_f16 v4, v75, v6, v4 op_sel:[0,1,0]
	v_pk_fma_f16 v6, v75, v7, v10 op_sel_hi:[1,0,1]
	v_pk_fma_f16 v10, v86, v111, v63 op_sel:[0,1,0]
	v_pk_fma_f16 v56, v86, v112, v56 op_sel:[0,1,0]
	v_pk_fma_f16 v63, v87, v111, v68 op_sel_hi:[1,0,1]
	v_pk_fma_f16 v57, v87, v112, v57 op_sel:[0,1,0]
	v_pk_fma_f16 v58, v88, v112, v58 op_sel:[0,1,0]
	v_pk_fma_f16 v59, v89, v112, v59 op_sel:[0,1,0]
	v_pk_fma_f16 v60, v91, v112, v60 op_sel:[0,1,0]
	v_pk_fma_f16 v61, v93, v111, v61 op_sel:[0,1,0]
	v_pk_fma_f16 v62, v93, v112, v62 op_sel:[0,1,0]
	v_pk_fma_f16 v56, v95, v114, v56 op_sel:[0,1,0]
	v_pk_fma_f16 v63, v96, v113, v63 op_sel_hi:[1,0,1]
	v_pk_fma_f16 v57, v96, v114, v57 op_sel:[0,1,0]
	v_pk_fma_f16 v58, v97, v114, v58 op_sel:[0,1,0]
	;; [unrolled: 1-line block ×7, first 2 shown]
	v_pk_fma_f16 v63, v104, v115, v63 op_sel_hi:[1,0,1]
	v_pk_fma_f16 v57, v104, v116, v57 op_sel:[0,1,0]
	v_pk_fma_f16 v58, v105, v116, v58 op_sel:[0,1,0]
	;; [unrolled: 1-line block ×3, first 2 shown]
	v_pk_fma_f16 v9, v73, v7, v9 op_sel_hi:[1,0,1]
	v_pk_fma_f16 v65, v74, v7, v65 op_sel_hi:[1,0,1]
	v_pk_fma_f16 v5, v75, v7, v5 op_sel:[0,1,0]
	v_pk_fma_f16 v81, v72, v7, v81 op_sel_hi:[1,0,1]
	v_pk_fma_f16 v53, v73, v7, v53 op_sel:[0,1,0]
	v_pk_fma_f16 v7, v86, v111, v11 op_sel_hi:[1,0,1]
	v_pk_fma_f16 v11, v86, v112, v67 op_sel_hi:[1,0,1]
	v_pk_fma_f16 v67, v87, v111, v82 op_sel:[0,1,0]
	v_pk_fma_f16 v68, v87, v112, v83 op_sel_hi:[1,0,1]
	;; [unrolled: 3-line block ×4, first 2 shown]
	v_pk_fma_f16 v60, v107, v116, v60 op_sel:[0,1,0]
	v_pk_fma_f16 v61, v109, v115, v61 op_sel:[0,1,0]
	;; [unrolled: 1-line block ×4, first 2 shown]
	v_pk_fma_f16 v63, v120, v117, v63 op_sel_hi:[1,0,1]
	v_pk_fma_f16 v57, v120, v118, v57 op_sel:[0,1,0]
	v_pk_fma_f16 v58, v121, v118, v58 op_sel:[0,1,0]
	;; [unrolled: 1-line block ×3, first 2 shown]
	v_pk_fma_f16 v71, v91, v111, v71 op_sel_hi:[1,0,1]
	v_pk_fma_f16 v64, v92, v111, v64 op_sel_hi:[1,0,1]
	v_pk_fma_f16 v8, v92, v111, v8 op_sel:[0,1,0]
	v_pk_fma_f16 v9, v92, v112, v9 op_sel_hi:[1,0,1]
	v_pk_fma_f16 v65, v93, v112, v65 op_sel_hi:[1,0,1]
	;; [unrolled: 1-line block ×3, first 2 shown]
	v_pk_fma_f16 v4, v94, v111, v4 op_sel:[0,1,0]
	v_pk_fma_f16 v6, v94, v112, v6 op_sel_hi:[1,0,1]
	v_pk_fma_f16 v5, v94, v112, v5 op_sel:[0,1,0]
	v_pk_fma_f16 v7, v95, v113, v7 op_sel_hi:[1,0,1]
	;; [unrolled: 2-line block ×4, first 2 shown]
	v_pk_fma_f16 v69, v97, v113, v69 op_sel_hi:[1,0,1]
	v_pk_fma_f16 v72, v97, v113, v72 op_sel:[0,1,0]
	v_pk_fma_f16 v73, v97, v114, v73 op_sel_hi:[1,0,1]
	v_pk_fma_f16 v70, v98, v113, v70 op_sel_hi:[1,0,1]
	v_pk_fma_f16 v74, v98, v113, v74 op_sel:[0,1,0]
	v_pk_fma_f16 v75, v98, v114, v75 op_sel_hi:[1,0,1]
	v_pk_fma_f16 v60, v123, v118, v60 op_sel:[0,1,0]
	v_pk_fma_f16 v61, v125, v117, v61 op_sel:[0,1,0]
	;; [unrolled: 1-line block ×4, first 2 shown]
	v_pk_fma_f16 v63, v128, v151, v63 op_sel_hi:[1,0,1]
	v_pk_fma_f16 v57, v128, v152, v57 op_sel:[0,1,0]
	v_pk_fma_f16 v58, v129, v152, v58 op_sel:[0,1,0]
	;; [unrolled: 1-line block ×3, first 2 shown]
	v_pk_fma_f16 v71, v99, v113, v71 op_sel_hi:[1,0,1]
	v_pk_fma_f16 v64, v100, v113, v64 op_sel_hi:[1,0,1]
	v_pk_fma_f16 v8, v100, v113, v8 op_sel:[0,1,0]
	v_pk_fma_f16 v9, v100, v114, v9 op_sel_hi:[1,0,1]
	v_pk_fma_f16 v65, v101, v114, v65 op_sel_hi:[1,0,1]
	;; [unrolled: 1-line block ×3, first 2 shown]
	v_pk_fma_f16 v4, v102, v113, v4 op_sel:[0,1,0]
	v_pk_fma_f16 v6, v102, v114, v6 op_sel_hi:[1,0,1]
	v_pk_fma_f16 v5, v102, v114, v5 op_sel:[0,1,0]
	v_pk_fma_f16 v7, v103, v115, v7 op_sel_hi:[1,0,1]
	v_pk_fma_f16 v10, v103, v115, v10 op_sel:[0,1,0]
	v_pk_fma_f16 v11, v103, v116, v11 op_sel_hi:[1,0,1]
	v_pk_fma_f16 v67, v104, v115, v67 op_sel:[0,1,0]
	v_pk_fma_f16 v68, v104, v116, v68 op_sel_hi:[1,0,1]
	v_pk_fma_f16 v69, v105, v115, v69 op_sel_hi:[1,0,1]
	v_pk_fma_f16 v72, v105, v115, v72 op_sel:[0,1,0]
	v_pk_fma_f16 v73, v105, v116, v73 op_sel_hi:[1,0,1]
	v_pk_fma_f16 v70, v106, v115, v70 op_sel_hi:[1,0,1]
	v_pk_fma_f16 v74, v106, v115, v74 op_sel:[0,1,0]
	v_pk_fma_f16 v75, v106, v116, v75 op_sel_hi:[1,0,1]
	v_pk_fma_f16 v60, v131, v152, v60 op_sel:[0,1,0]
	v_pk_fma_f16 v61, v133, v151, v61 op_sel:[0,1,0]
	;; [unrolled: 1-line block ×4, first 2 shown]
	v_pk_fma_f16 v63, v136, v153, v63 op_sel_hi:[1,0,1]
	v_pk_fma_f16 v57, v136, v154, v57 op_sel:[0,1,0]
	v_pk_fma_f16 v58, v137, v154, v58 op_sel:[0,1,0]
	;; [unrolled: 1-line block ×3, first 2 shown]
	v_pk_fma_f16 v71, v107, v115, v71 op_sel_hi:[1,0,1]
	v_pk_fma_f16 v64, v108, v115, v64 op_sel_hi:[1,0,1]
	v_pk_fma_f16 v8, v108, v115, v8 op_sel:[0,1,0]
	v_pk_fma_f16 v9, v108, v116, v9 op_sel_hi:[1,0,1]
	v_pk_fma_f16 v65, v109, v116, v65 op_sel_hi:[1,0,1]
	v_pk_fma_f16 v66, v110, v115, v66 op_sel_hi:[1,0,1]
	v_pk_fma_f16 v4, v110, v115, v4 op_sel:[0,1,0]
	v_pk_fma_f16 v6, v110, v116, v6 op_sel_hi:[1,0,1]
	v_pk_fma_f16 v5, v110, v116, v5 op_sel:[0,1,0]
	v_pk_fma_f16 v77, v91, v111, v77 op_sel:[0,1,0]
	v_pk_fma_f16 v81, v91, v112, v81 op_sel_hi:[1,0,1]
	v_pk_fma_f16 v53, v92, v112, v53 op_sel:[0,1,0]
	v_pk_fma_f16 v54, v93, v111, v54 op_sel_hi:[1,0,1]
	v_pk_fma_f16 v7, v119, v117, v7 op_sel_hi:[1,0,1]
	v_pk_fma_f16 v10, v119, v117, v10 op_sel:[0,1,0]
	v_pk_fma_f16 v11, v119, v118, v11 op_sel_hi:[1,0,1]
	v_pk_fma_f16 v67, v120, v117, v67 op_sel:[0,1,0]
	v_pk_fma_f16 v68, v120, v118, v68 op_sel_hi:[1,0,1]
	v_pk_fma_f16 v69, v121, v117, v69 op_sel_hi:[1,0,1]
	v_pk_fma_f16 v72, v121, v117, v72 op_sel:[0,1,0]
	v_pk_fma_f16 v73, v121, v118, v73 op_sel_hi:[1,0,1]
	;; [unrolled: 3-line block ×3, first 2 shown]
	v_pk_fma_f16 v60, v139, v154, v60 op_sel:[0,1,0]
	v_pk_fma_f16 v61, v141, v153, v61 op_sel:[0,1,0]
	;; [unrolled: 1-line block ×4, first 2 shown]
	v_pk_fma_f16 v63, v144, v155, v63 op_sel_hi:[1,0,1]
	v_pk_fma_f16 v57, v144, v156, v57 op_sel:[0,1,0]
	v_pk_fma_f16 v58, v145, v156, v58 op_sel:[0,1,0]
	;; [unrolled: 1-line block ×3, first 2 shown]
	v_pk_fma_f16 v71, v123, v117, v71 op_sel_hi:[1,0,1]
	v_pk_fma_f16 v64, v124, v117, v64 op_sel_hi:[1,0,1]
	v_pk_fma_f16 v8, v124, v117, v8 op_sel:[0,1,0]
	v_pk_fma_f16 v9, v124, v118, v9 op_sel_hi:[1,0,1]
	v_pk_fma_f16 v65, v125, v118, v65 op_sel_hi:[1,0,1]
	;; [unrolled: 1-line block ×3, first 2 shown]
	v_pk_fma_f16 v4, v126, v117, v4 op_sel:[0,1,0]
	v_pk_fma_f16 v6, v126, v118, v6 op_sel_hi:[1,0,1]
	v_pk_fma_f16 v5, v126, v118, v5 op_sel:[0,1,0]
	v_pk_fma_f16 v77, v99, v113, v77 op_sel:[0,1,0]
	v_pk_fma_f16 v81, v99, v114, v81 op_sel_hi:[1,0,1]
	v_pk_fma_f16 v53, v100, v114, v53 op_sel:[0,1,0]
	v_pk_fma_f16 v54, v101, v113, v54 op_sel_hi:[1,0,1]
	v_pk_fma_f16 v7, v127, v151, v7 op_sel_hi:[1,0,1]
	v_pk_fma_f16 v10, v127, v151, v10 op_sel:[0,1,0]
	v_pk_fma_f16 v11, v127, v152, v11 op_sel_hi:[1,0,1]
	v_pk_fma_f16 v67, v128, v151, v67 op_sel:[0,1,0]
	v_pk_fma_f16 v68, v128, v152, v68 op_sel_hi:[1,0,1]
	v_pk_fma_f16 v69, v129, v151, v69 op_sel_hi:[1,0,1]
	v_pk_fma_f16 v72, v129, v151, v72 op_sel:[0,1,0]
	v_pk_fma_f16 v73, v129, v152, v73 op_sel_hi:[1,0,1]
	;; [unrolled: 3-line block ×3, first 2 shown]
	v_pk_fma_f16 v82, v147, v156, v60 op_sel:[0,1,0]
	v_pk_fma_f16 v83, v149, v155, v61 op_sel:[0,1,0]
	;; [unrolled: 1-line block ×4, first 2 shown]
	v_pk_fma_f16 v92, v160, v157, v63 op_sel_hi:[1,0,1]
	v_pk_fma_f16 v95, v160, v158, v57 op_sel:[0,1,0]
	v_pk_fma_f16 v97, v161, v158, v58 op_sel:[0,1,0]
	;; [unrolled: 1-line block ×3, first 2 shown]
	s_waitcnt vmcnt(3)
	ds_store_b128 v42, v[167:170]
	s_waitcnt vmcnt(2)
	ds_store_b128 v43, v[171:174]
	s_waitcnt vmcnt(1)
	ds_store_b128 v44, v[175:178]
	s_waitcnt vmcnt(0)
	ds_store_b128 v45, v[179:182]
	s_waitcnt lgkmcnt(0)
	s_barrier
	buffer_gl0_inv
	ds_load_2addr_b64 v[56:59], v85 offset1:32
	ds_load_b128 v[60:63], v40 offset:768
	v_pk_fma_f16 v71, v131, v151, v71 op_sel_hi:[1,0,1]
	v_pk_fma_f16 v64, v132, v151, v64 op_sel_hi:[1,0,1]
	v_pk_fma_f16 v8, v132, v151, v8 op_sel:[0,1,0]
	v_pk_fma_f16 v9, v132, v152, v9 op_sel_hi:[1,0,1]
	v_pk_fma_f16 v65, v133, v152, v65 op_sel_hi:[1,0,1]
	v_pk_fma_f16 v66, v134, v151, v66 op_sel_hi:[1,0,1]
	v_pk_fma_f16 v4, v134, v151, v4 op_sel:[0,1,0]
	v_pk_fma_f16 v6, v134, v152, v6 op_sel_hi:[1,0,1]
	v_pk_fma_f16 v5, v134, v152, v5 op_sel:[0,1,0]
	v_pk_fma_f16 v77, v107, v115, v77 op_sel:[0,1,0]
	v_pk_fma_f16 v81, v107, v116, v81 op_sel_hi:[1,0,1]
	v_pk_fma_f16 v53, v108, v116, v53 op_sel:[0,1,0]
	v_pk_fma_f16 v54, v109, v115, v54 op_sel_hi:[1,0,1]
	v_pk_fma_f16 v7, v135, v153, v7 op_sel_hi:[1,0,1]
	v_pk_fma_f16 v10, v135, v153, v10 op_sel:[0,1,0]
	v_pk_fma_f16 v11, v135, v154, v11 op_sel_hi:[1,0,1]
	v_pk_fma_f16 v67, v136, v153, v67 op_sel:[0,1,0]
	v_pk_fma_f16 v68, v136, v154, v68 op_sel_hi:[1,0,1]
	v_pk_fma_f16 v69, v137, v153, v69 op_sel_hi:[1,0,1]
	v_pk_fma_f16 v72, v137, v153, v72 op_sel:[0,1,0]
	v_pk_fma_f16 v73, v137, v154, v73 op_sel_hi:[1,0,1]
	v_pk_fma_f16 v70, v138, v153, v70 op_sel_hi:[1,0,1]
	v_pk_fma_f16 v74, v138, v153, v74 op_sel:[0,1,0]
	v_pk_fma_f16 v75, v138, v154, v75 op_sel_hi:[1,0,1]
	v_pk_fma_f16 v71, v139, v153, v71 op_sel_hi:[1,0,1]
	v_pk_fma_f16 v64, v140, v153, v64 op_sel_hi:[1,0,1]
	v_pk_fma_f16 v8, v140, v153, v8 op_sel:[0,1,0]
	v_pk_fma_f16 v9, v140, v154, v9 op_sel_hi:[1,0,1]
	v_pk_fma_f16 v65, v141, v154, v65 op_sel_hi:[1,0,1]
	v_pk_fma_f16 v66, v142, v153, v66 op_sel_hi:[1,0,1]
	v_pk_fma_f16 v4, v142, v153, v4 op_sel:[0,1,0]
	v_pk_fma_f16 v6, v142, v154, v6 op_sel_hi:[1,0,1]
	v_pk_fma_f16 v5, v142, v154, v5 op_sel:[0,1,0]
	v_pk_fma_f16 v77, v123, v117, v77 op_sel:[0,1,0]
	v_pk_fma_f16 v81, v123, v118, v81 op_sel_hi:[1,0,1]
	v_pk_fma_f16 v53, v124, v118, v53 op_sel:[0,1,0]
	v_pk_fma_f16 v54, v125, v117, v54 op_sel_hi:[1,0,1]
	v_pk_fma_f16 v7, v143, v155, v7 op_sel_hi:[1,0,1]
	v_pk_fma_f16 v10, v143, v155, v10 op_sel:[0,1,0]
	v_pk_fma_f16 v11, v143, v156, v11 op_sel_hi:[1,0,1]
	v_pk_fma_f16 v67, v144, v155, v67 op_sel:[0,1,0]
	v_pk_fma_f16 v68, v144, v156, v68 op_sel_hi:[1,0,1]
	v_pk_fma_f16 v69, v145, v155, v69 op_sel_hi:[1,0,1]
	v_pk_fma_f16 v72, v145, v155, v72 op_sel:[0,1,0]
	v_pk_fma_f16 v73, v145, v156, v73 op_sel_hi:[1,0,1]
	v_pk_fma_f16 v70, v146, v155, v70 op_sel_hi:[1,0,1]
	v_pk_fma_f16 v74, v146, v155, v74 op_sel:[0,1,0]
	v_pk_fma_f16 v75, v146, v156, v75 op_sel_hi:[1,0,1]
	;; [unrolled: 24-line block ×3, first 2 shown]
	v_pk_fma_f16 v101, v163, v157, v71 op_sel_hi:[1,0,1]
	v_pk_fma_f16 v102, v164, v157, v64 op_sel_hi:[1,0,1]
	v_pk_fma_f16 v103, v164, v157, v8 op_sel:[0,1,0]
	v_pk_fma_f16 v104, v164, v158, v9 op_sel_hi:[1,0,1]
	v_pk_fma_f16 v105, v165, v158, v65 op_sel_hi:[1,0,1]
	;; [unrolled: 1-line block ×3, first 2 shown]
	v_pk_fma_f16 v107, v166, v157, v4 op_sel:[0,1,0]
	v_pk_fma_f16 v108, v166, v158, v6 op_sel_hi:[1,0,1]
	v_pk_fma_f16 v109, v166, v158, v5 op_sel:[0,1,0]
	ds_load_2addr_b64 v[64:67], v85 offset0:64 offset1:96
	ds_load_b128 v[68:71], v40 offset:784
	ds_load_b128 v[8:11], v40 offset:800
	;; [unrolled: 1-line block ×3, first 2 shown]
	v_pk_fma_f16 v77, v139, v153, v77 op_sel:[0,1,0]
	v_pk_fma_f16 v81, v139, v154, v81 op_sel_hi:[1,0,1]
	v_pk_fma_f16 v53, v140, v154, v53 op_sel:[0,1,0]
	v_pk_fma_f16 v54, v141, v153, v54 op_sel_hi:[1,0,1]
	s_waitcnt lgkmcnt(4)
	v_pk_fma_f16 v87, v56, v60, v87 op_sel_hi:[1,0,1]
	v_pk_fma_f16 v88, v56, v60, v88 op_sel:[0,1,0]
	v_pk_fma_f16 v89, v56, v61, v89 op_sel_hi:[1,0,1]
	v_pk_fma_f16 v91, v56, v61, v91 op_sel:[0,1,0]
	;; [unrolled: 2-line block ×7, first 2 shown]
	ds_load_2addr_b64 v[72:75], v85 offset0:128 offset1:160
	v_pk_fma_f16 v99, v59, v61, v99 op_sel_hi:[1,0,1]
	v_pk_fma_f16 v100, v59, v61, v100 op_sel:[0,1,0]
	ds_load_2addr_b64 v[56:59], v85 offset0:192 offset1:224
	v_pk_fma_f16 v77, v147, v155, v77 op_sel:[0,1,0]
	v_pk_fma_f16 v81, v147, v156, v81 op_sel_hi:[1,0,1]
	v_pk_fma_f16 v53, v148, v156, v53 op_sel:[0,1,0]
	v_pk_fma_f16 v54, v149, v155, v54 op_sel_hi:[1,0,1]
	v_pk_fma_f16 v82, v163, v158, v82 op_sel:[0,1,0]
	v_pk_fma_f16 v77, v163, v157, v77 op_sel:[0,1,0]
	v_pk_fma_f16 v81, v163, v158, v81 op_sel_hi:[1,0,1]
	v_pk_fma_f16 v53, v164, v158, v53 op_sel:[0,1,0]
	v_pk_fma_f16 v54, v165, v157, v54 op_sel_hi:[1,0,1]
	v_pk_fma_f16 v83, v165, v157, v83 op_sel:[0,1,0]
	v_pk_fma_f16 v86, v165, v158, v86 op_sel:[0,1,0]
	s_waitcnt lgkmcnt(5)
	v_pk_fma_f16 v101, v64, v60, v101 op_sel_hi:[1,0,1]
	v_pk_fma_f16 v77, v64, v60, v77 op_sel:[0,1,0]
	v_pk_fma_f16 v81, v64, v61, v81 op_sel_hi:[1,0,1]
	v_pk_fma_f16 v82, v64, v61, v82 op_sel:[0,1,0]
	;; [unrolled: 2-line block ×8, first 2 shown]
	ds_load_2addr_b64 v[64:67], v84 offset1:32
	s_waitcnt lgkmcnt(2)
	v_pk_fma_f16 v87, v72, v62, v87 op_sel_hi:[1,0,1]
	v_pk_fma_f16 v88, v72, v62, v88 op_sel:[0,1,0]
	v_pk_fma_f16 v89, v72, v63, v89 op_sel_hi:[1,0,1]
	v_pk_fma_f16 v91, v72, v63, v91 op_sel:[0,1,0]
	;; [unrolled: 2-line block ×8, first 2 shown]
	s_waitcnt lgkmcnt(1)
	v_pk_fma_f16 v101, v56, v62, v101 op_sel_hi:[1,0,1]
	v_pk_fma_f16 v77, v56, v62, v77 op_sel:[0,1,0]
	v_pk_fma_f16 v81, v56, v63, v81 op_sel_hi:[1,0,1]
	v_pk_fma_f16 v82, v56, v63, v82 op_sel:[0,1,0]
	;; [unrolled: 2-line block ×7, first 2 shown]
	ds_load_2addr_b64 v[72:75], v84 offset0:64 offset1:96
	v_pk_fma_f16 v107, v59, v63, v107 op_sel_hi:[1,0,1]
	v_pk_fma_f16 v111, v59, v63, v61 op_sel:[0,1,0]
	ds_load_2addr_b64 v[56:59], v84 offset0:128 offset1:160
	s_waitcnt lgkmcnt(2)
	v_pk_fma_f16 v87, v64, v68, v87 op_sel_hi:[1,0,1]
	v_pk_fma_f16 v88, v64, v68, v88 op_sel:[0,1,0]
	v_pk_fma_f16 v89, v64, v69, v89 op_sel_hi:[1,0,1]
	v_pk_fma_f16 v64, v64, v69, v91 op_sel:[0,1,0]
	;; [unrolled: 2-line block ×8, first 2 shown]
	s_waitcnt lgkmcnt(1)
	v_pk_fma_f16 v101, v72, v68, v101 op_sel_hi:[1,0,1]
	v_pk_fma_f16 v77, v72, v68, v77 op_sel:[0,1,0]
	v_pk_fma_f16 v81, v72, v69, v81 op_sel_hi:[1,0,1]
	v_pk_fma_f16 v72, v72, v69, v82 op_sel:[0,1,0]
	;; [unrolled: 2-line block ×7, first 2 shown]
	ds_load_2addr_b64 v[60:63], v84 offset0:192 offset1:224
	v_pk_fma_f16 v104, v75, v69, v107 op_sel_hi:[1,0,1]
	v_pk_fma_f16 v69, v75, v69, v111 op_sel:[0,1,0]
	s_waitcnt lgkmcnt(1)
	v_pk_fma_f16 v75, v56, v70, v87 op_sel_hi:[1,0,1]
	v_pk_fma_f16 v87, v56, v70, v88 op_sel:[0,1,0]
	v_pk_fma_f16 v88, v56, v71, v89 op_sel_hi:[1,0,1]
	v_pk_fma_f16 v89, v56, v71, v64 op_sel:[0,1,0]
	v_pk_fma_f16 v105, v57, v71, v65 op_sel:[0,1,0]
	;; [unrolled: 1-line block ×3, first 2 shown]
	ds_load_2addr_b64 v[64:67], v51 offset1:32
	v_pk_fma_f16 v91, v57, v70, v91 op_sel_hi:[1,0,1]
	v_pk_fma_f16 v92, v57, v70, v92 op_sel:[0,1,0]
	v_pk_fma_f16 v93, v57, v71, v93 op_sel_hi:[1,0,1]
	v_pk_fma_f16 v94, v58, v70, v94 op_sel_hi:[1,0,1]
	v_pk_fma_f16 v95, v58, v70, v95 op_sel:[0,1,0]
	v_pk_fma_f16 v96, v58, v71, v96 op_sel_hi:[1,0,1]
	;; [unrolled: 3-line block ×3, first 2 shown]
	v_pk_fma_f16 v100, v59, v71, v100 op_sel:[0,1,0]
	ds_load_2addr_b64 v[56:59], v51 offset0:64 offset1:96
	s_or_b32 s4, s13, 0x70
	s_waitcnt lgkmcnt(2)
	v_pk_fma_f16 v101, v60, v70, v101 op_sel_hi:[1,0,1]
	v_pk_fma_f16 v77, v60, v70, v77 op_sel:[0,1,0]
	v_pk_fma_f16 v81, v60, v71, v81 op_sel_hi:[1,0,1]
	v_pk_fma_f16 v72, v60, v71, v72 op_sel:[0,1,0]
	;; [unrolled: 2-line block ×8, first 2 shown]
	s_waitcnt lgkmcnt(1)
	v_pk_fma_f16 v71, v64, v8, v75 op_sel_hi:[1,0,1]
	v_pk_fma_f16 v75, v64, v8, v87 op_sel:[0,1,0]
	v_pk_fma_f16 v87, v64, v9, v88 op_sel_hi:[1,0,1]
	v_pk_fma_f16 v88, v64, v9, v89 op_sel:[0,1,0]
	;; [unrolled: 2-line block ×7, first 2 shown]
	ds_load_2addr_b64 v[60:63], v51 offset0:128 offset1:160
	v_pk_fma_f16 v99, v67, v9, v99 op_sel_hi:[1,0,1]
	v_pk_fma_f16 v100, v67, v9, v100 op_sel:[0,1,0]
	ds_load_2addr_b64 v[64:67], v51 offset0:192 offset1:224
	s_mul_hi_i32 s19, s4, s10
	s_mul_i32 s18, s4, s10
	s_waitcnt lgkmcnt(2)
	v_pk_fma_f16 v101, v56, v8, v101 op_sel_hi:[1,0,1]
	s_lshl_b64 s[18:19], s[18:19], 2
	v_pk_fma_f16 v77, v56, v8, v77 op_sel:[0,1,0]
	s_add_u32 s4, s11, s18
	v_pk_fma_f16 v81, v56, v9, v81 op_sel_hi:[1,0,1]
	v_pk_fma_f16 v56, v56, v9, v72 op_sel:[0,1,0]
	v_pk_fma_f16 v72, v57, v8, v82 op_sel_hi:[1,0,1]
	v_pk_fma_f16 v82, v57, v8, v102 op_sel:[0,1,0]
	;; [unrolled: 2-line block ×4, first 2 shown]
	s_addc_u32 s17, s16, s19
	v_add_co_u32 v8, vcc_lo, s4, v27
	v_pk_fma_f16 v183, v57, v9, v103 op_sel_hi:[1,0,1]
	v_pk_fma_f16 v184, v57, v9, v53 op_sel:[0,1,0]
	v_pk_fma_f16 v83, v58, v9, v83 op_sel_hi:[1,0,1]
	v_pk_fma_f16 v187, v58, v9, v74 op_sel:[0,1,0]
	;; [unrolled: 2-line block ×3, first 2 shown]
	v_add_co_ci_u32_e32 v9, vcc_lo, s17, v28, vcc_lo
	v_add_co_u32 v53, vcc_lo, s4, v29
	v_add_co_ci_u32_e32 v54, vcc_lo, s17, v30, vcc_lo
	v_add_co_u32 v8, vcc_lo, v8, v90
	s_delay_alu instid0(VALU_DEP_4) | instskip(NEXT) | instid1(VALU_DEP_4)
	v_add_co_ci_u32_e32 v9, vcc_lo, 0, v9, vcc_lo
	v_add_co_u32 v53, vcc_lo, v53, v90
	s_delay_alu instid0(VALU_DEP_4)
	v_add_co_ci_u32_e32 v54, vcc_lo, 0, v54, vcc_lo
	s_waitcnt lgkmcnt(1)
	v_pk_fma_f16 v192, v60, v10, v71 op_sel_hi:[1,0,1]
	v_pk_fma_f16 v193, v60, v10, v75 op_sel:[0,1,0]
	v_pk_fma_f16 v194, v60, v11, v87 op_sel_hi:[1,0,1]
	v_pk_fma_f16 v195, v60, v11, v88 op_sel:[0,1,0]
	;; [unrolled: 2-line block ×8, first 2 shown]
	s_waitcnt lgkmcnt(0)
	v_pk_fma_f16 v208, v64, v10, v101 op_sel_hi:[1,0,1]
	v_pk_fma_f16 v77, v64, v10, v77 op_sel:[0,1,0]
	v_pk_fma_f16 v81, v64, v11, v81 op_sel_hi:[1,0,1]
	v_pk_fma_f16 v64, v64, v11, v56 op_sel:[0,1,0]
	v_pk_fma_f16 v209, v65, v10, v72 op_sel_hi:[1,0,1]
	ds_load_2addr_b64 v[56:59], v52 offset1:32
	ds_load_2addr_b64 v[60:63], v52 offset0:64 offset1:96
	ds_load_2addr_b64 v[68:71], v52 offset0:128 offset1:160
	;; [unrolled: 1-line block ×3, first 2 shown]
	ds_load_2addr_b64 v[86:89], v50 offset1:32
	ds_load_2addr_b64 v[91:94], v50 offset0:64 offset1:96
	ds_load_2addr_b64 v[95:98], v50 offset0:128 offset1:160
	;; [unrolled: 1-line block ×3, first 2 shown]
	ds_load_2addr_b64 v[103:106], v49 offset1:32
	ds_load_2addr_b64 v[107:110], v49 offset0:64 offset1:96
	ds_load_b128 v[111:114], v40 offset:832
	ds_load_b128 v[115:118], v40 offset:848
	ds_load_2addr_b64 v[119:122], v49 offset0:128 offset1:160
	ds_load_2addr_b64 v[123:126], v49 offset0:192 offset1:224
	ds_load_2addr_b64 v[127:130], v48 offset1:32
	ds_load_2addr_b64 v[131:134], v48 offset0:64 offset1:96
	ds_load_2addr_b64 v[135:138], v48 offset0:128 offset1:160
	ds_load_2addr_b64 v[139:142], v48 offset0:192 offset1:224
	ds_load_2addr_b64 v[143:146], v47 offset1:32
	ds_load_2addr_b64 v[147:150], v47 offset0:64 offset1:96
	ds_load_b128 v[151:154], v40 offset:864
	ds_load_b128 v[155:158], v40 offset:880
	ds_load_2addr_b64 v[159:162], v47 offset0:128 offset1:160
	ds_load_2addr_b64 v[163:166], v47 offset0:192 offset1:224
	s_waitcnt lgkmcnt(0)
	s_barrier
	buffer_gl0_inv
	s_clause 0x3
	global_load_b128 v[167:170], v[8:9], off
	global_load_b128 v[171:174], v[8:9], off offset:512
	global_load_b128 v[175:178], v[53:54], off
	global_load_b128 v[179:182], v[53:54], off offset:512
	v_pk_fma_f16 v8, v65, v10, v82 op_sel:[0,1,0]
	v_pk_fma_f16 v9, v65, v11, v183 op_sel_hi:[1,0,1]
	v_pk_fma_f16 v53, v65, v11, v184 op_sel:[0,1,0]
	v_pk_fma_f16 v54, v66, v10, v185 op_sel_hi:[1,0,1]
	;; [unrolled: 2-line block ×48, first 2 shown]
	v_pk_fma_f16 v74, v89, v111, v184 op_sel:[0,1,0]
	v_pk_fma_f16 v8, v108, v115, v8 op_sel:[0,1,0]
	v_pk_fma_f16 v9, v108, v116, v9 op_sel_hi:[1,0,1]
	v_pk_fma_f16 v4, v110, v115, v4 op_sel:[0,1,0]
	v_pk_fma_f16 v6, v110, v116, v6 op_sel_hi:[1,0,1]
	v_pk_fma_f16 v5, v110, v116, v5 op_sel:[0,1,0]
	v_pk_fma_f16 v7, v119, v117, v7 op_sel_hi:[1,0,1]
	v_pk_fma_f16 v10, v119, v117, v10 op_sel:[0,1,0]
	v_pk_fma_f16 v11, v119, v118, v11 op_sel_hi:[1,0,1]
	v_pk_fma_f16 v56, v86, v112, v56 op_sel:[0,1,0]
	v_pk_fma_f16 v63, v87, v111, v68 op_sel_hi:[1,0,1]
	v_pk_fma_f16 v67, v87, v111, v82 op_sel:[0,1,0]
	v_pk_fma_f16 v68, v87, v112, v83 op_sel_hi:[1,0,1]
	v_pk_fma_f16 v57, v87, v112, v57 op_sel:[0,1,0]
	v_pk_fma_f16 v69, v88, v111, v69 op_sel_hi:[1,0,1]
	v_pk_fma_f16 v58, v88, v112, v58 op_sel:[0,1,0]
	v_pk_fma_f16 v70, v89, v111, v70 op_sel_hi:[1,0,1]
	v_pk_fma_f16 v75, v89, v112, v185 op_sel_hi:[1,0,1]
	v_pk_fma_f16 v59, v89, v112, v59 op_sel:[0,1,0]
	v_pk_fma_f16 v71, v91, v111, v71 op_sel_hi:[1,0,1]
	v_pk_fma_f16 v60, v91, v112, v60 op_sel:[0,1,0]
	v_pk_fma_f16 v64, v92, v111, v64 op_sel_hi:[1,0,1]
	v_pk_fma_f16 v61, v93, v111, v61 op_sel:[0,1,0]
	v_pk_fma_f16 v65, v93, v112, v65 op_sel_hi:[1,0,1]
	v_pk_fma_f16 v62, v93, v112, v62 op_sel:[0,1,0]
	v_pk_fma_f16 v66, v94, v111, v66 op_sel_hi:[1,0,1]
	v_pk_fma_f16 v72, v97, v113, v72 op_sel:[0,1,0]
	v_pk_fma_f16 v73, v97, v114, v73 op_sel_hi:[1,0,1]
	v_pk_fma_f16 v74, v98, v113, v74 op_sel:[0,1,0]
	v_pk_fma_f16 v8, v124, v117, v8 op_sel:[0,1,0]
	v_pk_fma_f16 v9, v124, v118, v9 op_sel_hi:[1,0,1]
	v_pk_fma_f16 v4, v126, v117, v4 op_sel:[0,1,0]
	v_pk_fma_f16 v6, v126, v118, v6 op_sel_hi:[1,0,1]
	v_pk_fma_f16 v5, v126, v118, v5 op_sel:[0,1,0]
	v_pk_fma_f16 v7, v127, v151, v7 op_sel_hi:[1,0,1]
	v_pk_fma_f16 v10, v127, v151, v10 op_sel:[0,1,0]
	v_pk_fma_f16 v11, v127, v152, v11 op_sel_hi:[1,0,1]
	v_pk_fma_f16 v56, v95, v114, v56 op_sel:[0,1,0]
	v_pk_fma_f16 v63, v96, v113, v63 op_sel_hi:[1,0,1]
	v_pk_fma_f16 v67, v96, v113, v67 op_sel:[0,1,0]
	v_pk_fma_f16 v68, v96, v114, v68 op_sel_hi:[1,0,1]
	v_pk_fma_f16 v57, v96, v114, v57 op_sel:[0,1,0]
	v_pk_fma_f16 v69, v97, v113, v69 op_sel_hi:[1,0,1]
	v_pk_fma_f16 v58, v97, v114, v58 op_sel:[0,1,0]
	v_pk_fma_f16 v70, v98, v113, v70 op_sel_hi:[1,0,1]
	v_pk_fma_f16 v75, v98, v114, v75 op_sel_hi:[1,0,1]
	v_pk_fma_f16 v59, v98, v114, v59 op_sel:[0,1,0]
	v_pk_fma_f16 v71, v99, v113, v71 op_sel_hi:[1,0,1]
	v_pk_fma_f16 v60, v99, v114, v60 op_sel:[0,1,0]
	v_pk_fma_f16 v64, v100, v113, v64 op_sel_hi:[1,0,1]
	v_pk_fma_f16 v61, v101, v113, v61 op_sel:[0,1,0]
	v_pk_fma_f16 v65, v101, v114, v65 op_sel_hi:[1,0,1]
	v_pk_fma_f16 v62, v101, v114, v62 op_sel:[0,1,0]
	v_pk_fma_f16 v66, v102, v113, v66 op_sel_hi:[1,0,1]
	v_pk_fma_f16 v72, v105, v115, v72 op_sel:[0,1,0]
	v_pk_fma_f16 v73, v105, v116, v73 op_sel_hi:[1,0,1]
	;; [unrolled: 28-line block ×3, first 2 shown]
	v_pk_fma_f16 v74, v122, v117, v74 op_sel:[0,1,0]
	v_pk_fma_f16 v8, v140, v153, v8 op_sel:[0,1,0]
	v_pk_fma_f16 v9, v140, v154, v9 op_sel_hi:[1,0,1]
	v_pk_fma_f16 v4, v142, v153, v4 op_sel:[0,1,0]
	v_pk_fma_f16 v6, v142, v154, v6 op_sel_hi:[1,0,1]
	;; [unrolled: 2-line block ×10, first 2 shown]
	v_pk_fma_f16 v75, v122, v118, v75 op_sel_hi:[1,0,1]
	v_pk_fma_f16 v59, v122, v118, v59 op_sel:[0,1,0]
	v_pk_fma_f16 v71, v123, v117, v71 op_sel_hi:[1,0,1]
	v_pk_fma_f16 v60, v123, v118, v60 op_sel:[0,1,0]
	;; [unrolled: 2-line block ×6, first 2 shown]
	v_pk_fma_f16 v82, v148, v155, v8 op_sel:[0,1,0]
	v_pk_fma_f16 v83, v148, v156, v9 op_sel_hi:[1,0,1]
	v_pk_fma_f16 v86, v150, v155, v4 op_sel:[0,1,0]
	v_pk_fma_f16 v87, v150, v156, v6 op_sel_hi:[1,0,1]
	;; [unrolled: 2-line block ×4, first 2 shown]
	s_waitcnt vmcnt(3)
	ds_store_b128 v42, v[167:170]
	s_waitcnt vmcnt(2)
	ds_store_b128 v43, v[171:174]
	;; [unrolled: 2-line block ×4, first 2 shown]
	s_waitcnt lgkmcnt(0)
	s_barrier
	buffer_gl0_inv
	ds_load_2addr_b64 v[4:7], v85 offset1:32
	ds_load_b128 v[8:11], v40 offset:896
	v_pk_fma_f16 v77, v99, v113, v77 op_sel:[0,1,0]
	v_pk_fma_f16 v81, v99, v114, v81 op_sel_hi:[1,0,1]
	v_pk_fma_f16 v53, v100, v114, v53 op_sel:[0,1,0]
	v_pk_fma_f16 v54, v101, v113, v54 op_sel_hi:[1,0,1]
	v_pk_fma_f16 v56, v127, v152, v56 op_sel:[0,1,0]
	v_pk_fma_f16 v63, v128, v151, v63 op_sel_hi:[1,0,1]
	v_pk_fma_f16 v67, v128, v151, v67 op_sel:[0,1,0]
	v_pk_fma_f16 v68, v128, v152, v68 op_sel_hi:[1,0,1]
	v_pk_fma_f16 v57, v128, v152, v57 op_sel:[0,1,0]
	v_pk_fma_f16 v69, v129, v151, v69 op_sel_hi:[1,0,1]
	v_pk_fma_f16 v58, v129, v152, v58 op_sel:[0,1,0]
	v_pk_fma_f16 v70, v130, v151, v70 op_sel_hi:[1,0,1]
	v_pk_fma_f16 v75, v130, v152, v75 op_sel_hi:[1,0,1]
	v_pk_fma_f16 v59, v130, v152, v59 op_sel:[0,1,0]
	v_pk_fma_f16 v71, v131, v151, v71 op_sel_hi:[1,0,1]
	v_pk_fma_f16 v60, v131, v152, v60 op_sel:[0,1,0]
	v_pk_fma_f16 v64, v132, v151, v64 op_sel_hi:[1,0,1]
	v_pk_fma_f16 v61, v133, v151, v61 op_sel:[0,1,0]
	v_pk_fma_f16 v65, v133, v152, v65 op_sel_hi:[1,0,1]
	v_pk_fma_f16 v62, v133, v152, v62 op_sel:[0,1,0]
	v_pk_fma_f16 v66, v134, v151, v66 op_sel_hi:[1,0,1]
	v_pk_fma_f16 v72, v137, v153, v72 op_sel:[0,1,0]
	v_pk_fma_f16 v73, v137, v154, v73 op_sel_hi:[1,0,1]
	v_pk_fma_f16 v74, v138, v153, v74 op_sel:[0,1,0]
	v_pk_fma_f16 v77, v107, v115, v77 op_sel:[0,1,0]
	v_pk_fma_f16 v81, v107, v116, v81 op_sel_hi:[1,0,1]
	v_pk_fma_f16 v53, v108, v116, v53 op_sel:[0,1,0]
	v_pk_fma_f16 v54, v109, v115, v54 op_sel_hi:[1,0,1]
	v_pk_fma_f16 v56, v135, v154, v56 op_sel:[0,1,0]
	v_pk_fma_f16 v63, v136, v153, v63 op_sel_hi:[1,0,1]
	v_pk_fma_f16 v67, v136, v153, v67 op_sel:[0,1,0]
	v_pk_fma_f16 v68, v136, v154, v68 op_sel_hi:[1,0,1]
	v_pk_fma_f16 v57, v136, v154, v57 op_sel:[0,1,0]
	v_pk_fma_f16 v69, v137, v153, v69 op_sel_hi:[1,0,1]
	v_pk_fma_f16 v58, v137, v154, v58 op_sel:[0,1,0]
	v_pk_fma_f16 v70, v138, v153, v70 op_sel_hi:[1,0,1]
	v_pk_fma_f16 v75, v138, v154, v75 op_sel_hi:[1,0,1]
	v_pk_fma_f16 v59, v138, v154, v59 op_sel:[0,1,0]
	v_pk_fma_f16 v71, v139, v153, v71 op_sel_hi:[1,0,1]
	v_pk_fma_f16 v60, v139, v154, v60 op_sel:[0,1,0]
	v_pk_fma_f16 v64, v140, v153, v64 op_sel_hi:[1,0,1]
	v_pk_fma_f16 v61, v141, v153, v61 op_sel:[0,1,0]
	v_pk_fma_f16 v65, v141, v154, v65 op_sel_hi:[1,0,1]
	v_pk_fma_f16 v62, v141, v154, v62 op_sel:[0,1,0]
	v_pk_fma_f16 v66, v142, v153, v66 op_sel_hi:[1,0,1]
	v_pk_fma_f16 v72, v145, v155, v72 op_sel:[0,1,0]
	v_pk_fma_f16 v73, v145, v156, v73 op_sel_hi:[1,0,1]
	v_pk_fma_f16 v74, v146, v155, v74 op_sel:[0,1,0]
	;; [unrolled: 24-line block ×3, first 2 shown]
	v_pk_fma_f16 v77, v131, v151, v77 op_sel:[0,1,0]
	v_pk_fma_f16 v81, v131, v152, v81 op_sel_hi:[1,0,1]
	v_pk_fma_f16 v53, v132, v152, v53 op_sel:[0,1,0]
	v_pk_fma_f16 v54, v133, v151, v54 op_sel_hi:[1,0,1]
	v_pk_fma_f16 v92, v159, v158, v56 op_sel:[0,1,0]
	v_pk_fma_f16 v93, v160, v157, v63 op_sel_hi:[1,0,1]
	v_pk_fma_f16 v94, v160, v157, v67 op_sel:[0,1,0]
	v_pk_fma_f16 v95, v160, v158, v68 op_sel_hi:[1,0,1]
	v_pk_fma_f16 v96, v160, v158, v57 op_sel:[0,1,0]
	v_pk_fma_f16 v97, v161, v157, v69 op_sel_hi:[1,0,1]
	v_pk_fma_f16 v98, v161, v158, v58 op_sel:[0,1,0]
	v_pk_fma_f16 v99, v162, v157, v70 op_sel_hi:[1,0,1]
	v_pk_fma_f16 v100, v162, v158, v75 op_sel_hi:[1,0,1]
	v_pk_fma_f16 v101, v162, v158, v59 op_sel:[0,1,0]
	v_pk_fma_f16 v102, v163, v157, v71 op_sel_hi:[1,0,1]
	v_pk_fma_f16 v103, v163, v158, v60 op_sel:[0,1,0]
	;; [unrolled: 2-line block ×4, first 2 shown]
	v_pk_fma_f16 v108, v166, v157, v66 op_sel_hi:[1,0,1]
	ds_load_2addr_b64 v[56:59], v85 offset0:64 offset1:96
	ds_load_b128 v[60:63], v40 offset:912
	ds_load_b128 v[64:67], v40 offset:928
	;; [unrolled: 1-line block ×3, first 2 shown]
	s_waitcnt lgkmcnt(4)
	v_pk_fma_f16 v109, v6, v8, v72 op_sel:[0,1,0]
	v_pk_fma_f16 v110, v6, v9, v73 op_sel_hi:[1,0,1]
	v_pk_fma_f16 v111, v7, v8, v74 op_sel:[0,1,0]
	ds_load_2addr_b64 v[72:75], v85 offset0:128 offset1:160
	v_pk_fma_f16 v77, v139, v153, v77 op_sel:[0,1,0]
	v_pk_fma_f16 v81, v139, v154, v81 op_sel_hi:[1,0,1]
	v_pk_fma_f16 v53, v140, v154, v53 op_sel:[0,1,0]
	v_pk_fma_f16 v54, v141, v153, v54 op_sel_hi:[1,0,1]
	v_pk_fma_f16 v82, v164, v157, v82 op_sel:[0,1,0]
	v_pk_fma_f16 v77, v147, v155, v77 op_sel:[0,1,0]
	v_pk_fma_f16 v81, v147, v156, v81 op_sel_hi:[1,0,1]
	v_pk_fma_f16 v53, v148, v156, v53 op_sel:[0,1,0]
	v_pk_fma_f16 v54, v149, v155, v54 op_sel_hi:[1,0,1]
	v_pk_fma_f16 v83, v164, v158, v83 op_sel_hi:[1,0,1]
	v_pk_fma_f16 v77, v163, v157, v77 op_sel:[0,1,0]
	v_pk_fma_f16 v81, v163, v158, v81 op_sel_hi:[1,0,1]
	v_pk_fma_f16 v53, v164, v158, v53 op_sel:[0,1,0]
	;; [unrolled: 2-line block ×9, first 2 shown]
	v_pk_fma_f16 v99, v7, v8, v99 op_sel_hi:[1,0,1]
	v_pk_fma_f16 v100, v7, v9, v100 op_sel_hi:[1,0,1]
	v_pk_fma_f16 v101, v7, v9, v101 op_sel:[0,1,0]
	ds_load_2addr_b64 v[4:7], v85 offset0:192 offset1:224
	s_waitcnt lgkmcnt(5)
	v_pk_fma_f16 v102, v56, v8, v102 op_sel_hi:[1,0,1]
	v_pk_fma_f16 v77, v56, v8, v77 op_sel:[0,1,0]
	v_pk_fma_f16 v81, v56, v9, v81 op_sel_hi:[1,0,1]
	v_pk_fma_f16 v103, v56, v9, v103 op_sel:[0,1,0]
	;; [unrolled: 2-line block ×8, first 2 shown]
	s_waitcnt lgkmcnt(1)
	v_pk_fma_f16 v86, v72, v10, v89 op_sel_hi:[1,0,1]
	v_pk_fma_f16 v87, v72, v10, v90 op_sel:[0,1,0]
	v_pk_fma_f16 v88, v72, v11, v91 op_sel_hi:[1,0,1]
	v_pk_fma_f16 v89, v72, v11, v92 op_sel:[0,1,0]
	;; [unrolled: 2-line block ×7, first 2 shown]
	ds_load_2addr_b64 v[56:59], v84 offset1:32
	v_pk_fma_f16 v100, v75, v11, v100 op_sel_hi:[1,0,1]
	v_pk_fma_f16 v101, v75, v11, v101 op_sel:[0,1,0]
	ds_load_2addr_b64 v[72:75], v84 offset0:64 offset1:96
	s_waitcnt lgkmcnt(2)
	v_pk_fma_f16 v102, v4, v10, v102 op_sel_hi:[1,0,1]
	v_pk_fma_f16 v77, v4, v10, v77 op_sel:[0,1,0]
	v_pk_fma_f16 v81, v4, v11, v81 op_sel_hi:[1,0,1]
	v_pk_fma_f16 v103, v4, v11, v103 op_sel:[0,1,0]
	v_pk_fma_f16 v104, v5, v10, v104 op_sel_hi:[1,0,1]
	v_pk_fma_f16 v82, v5, v10, v82 op_sel:[0,1,0]
	v_pk_fma_f16 v83, v5, v11, v83 op_sel_hi:[1,0,1]
	v_pk_fma_f16 v53, v5, v11, v53 op_sel:[0,1,0]
	v_pk_fma_f16 v54, v6, v10, v54 op_sel_hi:[1,0,1]
	v_pk_fma_f16 v105, v6, v10, v105 op_sel:[0,1,0]
	v_pk_fma_f16 v106, v6, v11, v106 op_sel_hi:[1,0,1]
	v_pk_fma_f16 v107, v6, v11, v107 op_sel:[0,1,0]
	v_pk_fma_f16 v108, v7, v10, v108 op_sel_hi:[1,0,1]
	v_pk_fma_f16 v8, v7, v10, v8 op_sel:[0,1,0]
	v_pk_fma_f16 v85, v7, v11, v85 op_sel_hi:[1,0,1]
	v_pk_fma_f16 v109, v7, v11, v9 op_sel:[0,1,0]
	ds_load_2addr_b64 v[4:7], v84 offset0:128 offset1:160
	s_waitcnt lgkmcnt(2)
	v_pk_fma_f16 v86, v56, v60, v86 op_sel_hi:[1,0,1]
	v_pk_fma_f16 v87, v56, v60, v87 op_sel:[0,1,0]
	v_pk_fma_f16 v88, v56, v61, v88 op_sel_hi:[1,0,1]
	v_pk_fma_f16 v56, v56, v61, v89 op_sel:[0,1,0]
	;; [unrolled: 2-line block ×7, first 2 shown]
	v_pk_fma_f16 v97, v59, v61, v100 op_sel_hi:[1,0,1]
	s_waitcnt lgkmcnt(1)
	v_pk_fma_f16 v99, v72, v60, v102 op_sel_hi:[1,0,1]
	v_pk_fma_f16 v77, v72, v60, v77 op_sel:[0,1,0]
	v_pk_fma_f16 v100, v73, v60, v104 op_sel_hi:[1,0,1]
	v_pk_fma_f16 v82, v73, v60, v82 op_sel:[0,1,0]
	;; [unrolled: 2-line block ×5, first 2 shown]
	ds_load_2addr_b64 v[8:11], v84 offset0:192 offset1:224
	v_pk_fma_f16 v98, v59, v61, v101 op_sel:[0,1,0]
	v_pk_fma_f16 v81, v72, v61, v81 op_sel_hi:[1,0,1]
	v_pk_fma_f16 v72, v72, v61, v103 op_sel:[0,1,0]
	v_pk_fma_f16 v101, v74, v61, v106 op_sel_hi:[1,0,1]
	;; [unrolled: 2-line block ×3, first 2 shown]
	v_pk_fma_f16 v61, v75, v61, v109 op_sel:[0,1,0]
	s_waitcnt lgkmcnt(1)
	v_pk_fma_f16 v75, v4, v62, v86 op_sel_hi:[1,0,1]
	v_pk_fma_f16 v85, v4, v62, v87 op_sel:[0,1,0]
	v_pk_fma_f16 v86, v4, v63, v88 op_sel_hi:[1,0,1]
	v_pk_fma_f16 v87, v4, v63, v56 op_sel:[0,1,0]
	;; [unrolled: 2-line block ×4, first 2 shown]
	v_pk_fma_f16 v103, v6, v63, v58 op_sel:[0,1,0]
	ds_load_2addr_b64 v[56:59], v51 offset1:32
	v_pk_fma_f16 v92, v6, v62, v92 op_sel_hi:[1,0,1]
	v_pk_fma_f16 v93, v6, v62, v93 op_sel:[0,1,0]
	v_pk_fma_f16 v94, v6, v63, v94 op_sel_hi:[1,0,1]
	v_pk_fma_f16 v95, v7, v62, v95 op_sel_hi:[1,0,1]
	v_pk_fma_f16 v96, v7, v62, v96 op_sel:[0,1,0]
	v_pk_fma_f16 v97, v7, v63, v97 op_sel_hi:[1,0,1]
	v_pk_fma_f16 v98, v7, v63, v98 op_sel:[0,1,0]
	s_waitcnt lgkmcnt(1)
	v_pk_fma_f16 v99, v8, v62, v99 op_sel_hi:[1,0,1]
	v_pk_fma_f16 v77, v8, v62, v77 op_sel:[0,1,0]
	v_pk_fma_f16 v81, v8, v63, v81 op_sel_hi:[1,0,1]
	v_pk_fma_f16 v72, v8, v63, v72 op_sel:[0,1,0]
	;; [unrolled: 2-line block ×7, first 2 shown]
	ds_load_2addr_b64 v[4:7], v51 offset0:64 offset1:96
	v_pk_fma_f16 v62, v11, v63, v84 op_sel_hi:[1,0,1]
	v_pk_fma_f16 v61, v11, v63, v61 op_sel:[0,1,0]
	ds_load_2addr_b64 v[8:11], v51 offset0:128 offset1:160
	s_waitcnt lgkmcnt(2)
	v_pk_fma_f16 v63, v56, v64, v75 op_sel_hi:[1,0,1]
	v_pk_fma_f16 v75, v56, v64, v85 op_sel:[0,1,0]
	v_pk_fma_f16 v84, v56, v65, v86 op_sel_hi:[1,0,1]
	v_pk_fma_f16 v85, v56, v65, v87 op_sel:[0,1,0]
	;; [unrolled: 2-line block ×8, first 2 shown]
	ds_load_2addr_b64 v[56:59], v51 offset0:192 offset1:224
	s_waitcnt lgkmcnt(2)
	v_pk_fma_f16 v98, v4, v64, v99 op_sel_hi:[1,0,1]
	v_pk_fma_f16 v77, v4, v64, v77 op_sel:[0,1,0]
	v_pk_fma_f16 v81, v4, v65, v81 op_sel_hi:[1,0,1]
	v_pk_fma_f16 v72, v4, v65, v72 op_sel:[0,1,0]
	v_pk_fma_f16 v99, v5, v64, v100 op_sel_hi:[1,0,1]
	v_pk_fma_f16 v82, v5, v64, v82 op_sel:[0,1,0]
	v_pk_fma_f16 v83, v5, v65, v83 op_sel_hi:[1,0,1]
	v_pk_fma_f16 v53, v5, v65, v53 op_sel:[0,1,0]
	v_pk_fma_f16 v54, v6, v64, v54 op_sel_hi:[1,0,1]
	v_pk_fma_f16 v73, v6, v64, v73 op_sel:[0,1,0]
	v_pk_fma_f16 v100, v6, v65, v101 op_sel_hi:[1,0,1]
	v_pk_fma_f16 v74, v6, v65, v74 op_sel:[0,1,0]
	v_pk_fma_f16 v101, v7, v64, v102 op_sel_hi:[1,0,1]
	v_pk_fma_f16 v60, v7, v64, v60 op_sel:[0,1,0]
	v_pk_fma_f16 v51, v7, v65, v62 op_sel_hi:[1,0,1]
	v_pk_fma_f16 v61, v7, v65, v61 op_sel:[0,1,0]
	s_waitcnt lgkmcnt(1)
	v_pk_fma_f16 v62, v8, v66, v63 op_sel_hi:[1,0,1]
	v_pk_fma_f16 v63, v8, v66, v75 op_sel:[0,1,0]
	v_pk_fma_f16 v64, v8, v67, v84 op_sel_hi:[1,0,1]
	v_pk_fma_f16 v65, v8, v67, v85 op_sel:[0,1,0]
	;; [unrolled: 2-line block ×7, first 2 shown]
	ds_load_2addr_b64 v[4:7], v52 offset1:32
	v_pk_fma_f16 v93, v11, v67, v96 op_sel_hi:[1,0,1]
	v_pk_fma_f16 v94, v11, v67, v97 op_sel:[0,1,0]
	ds_load_2addr_b64 v[8:11], v52 offset0:64 offset1:96
	s_waitcnt lgkmcnt(2)
	v_pk_fma_f16 v95, v56, v66, v98 op_sel_hi:[1,0,1]
	v_pk_fma_f16 v77, v56, v66, v77 op_sel:[0,1,0]
	v_pk_fma_f16 v81, v56, v67, v81 op_sel_hi:[1,0,1]
	v_pk_fma_f16 v72, v56, v67, v72 op_sel:[0,1,0]
	;; [unrolled: 2-line block ×8, first 2 shown]
	ds_load_2addr_b64 v[56:59], v52 offset0:128 offset1:160
	s_waitcnt lgkmcnt(2)
	v_pk_fma_f16 v62, v4, v68, v62 op_sel_hi:[1,0,1]
	v_pk_fma_f16 v63, v4, v68, v63 op_sel:[0,1,0]
	v_pk_fma_f16 v64, v4, v69, v64 op_sel_hi:[1,0,1]
	v_pk_fma_f16 v65, v4, v69, v65 op_sel:[0,1,0]
	;; [unrolled: 2-line block ×8, first 2 shown]
	s_waitcnt lgkmcnt(1)
	v_pk_fma_f16 v93, v8, v68, v95 op_sel_hi:[1,0,1]
	v_pk_fma_f16 v77, v8, v68, v77 op_sel:[0,1,0]
	v_pk_fma_f16 v81, v8, v69, v81 op_sel_hi:[1,0,1]
	v_pk_fma_f16 v72, v8, v69, v72 op_sel:[0,1,0]
	;; [unrolled: 2-line block ×7, first 2 shown]
	v_pk_fma_f16 v68, v11, v69, v51 op_sel_hi:[1,0,1]
	ds_load_2addr_b64 v[4:7], v52 offset0:192 offset1:224
	v_pk_fma_f16 v61, v11, v69, v61 op_sel:[0,1,0]
	ds_load_2addr_b64 v[8:11], v50 offset1:32
	ds_load_b128 v[51:54], v40 offset:960
	s_waitcnt lgkmcnt(3)
	v_pk_fma_f16 v62, v56, v70, v62 op_sel_hi:[1,0,1]
	v_pk_fma_f16 v63, v56, v70, v63 op_sel:[0,1,0]
	v_pk_fma_f16 v64, v56, v71, v64 op_sel_hi:[1,0,1]
	v_pk_fma_f16 v65, v56, v71, v65 op_sel:[0,1,0]
	;; [unrolled: 2-line block ×8, first 2 shown]
	ds_load_2addr_b64 v[56:59], v50 offset0:64 offset1:96
	s_waitcnt lgkmcnt(3)
	v_pk_fma_f16 v92, v4, v70, v93 op_sel_hi:[1,0,1]
	v_pk_fma_f16 v77, v4, v70, v77 op_sel:[0,1,0]
	v_pk_fma_f16 v81, v4, v71, v81 op_sel_hi:[1,0,1]
	v_pk_fma_f16 v72, v4, v71, v72 op_sel:[0,1,0]
	;; [unrolled: 2-line block ×8, first 2 shown]
	s_waitcnt lgkmcnt(1)
	v_pk_fma_f16 v98, v8, v51, v62 op_sel_hi:[1,0,1]
	v_pk_fma_f16 v99, v8, v51, v63 op_sel:[0,1,0]
	v_pk_fma_f16 v64, v8, v52, v64 op_sel_hi:[1,0,1]
	v_pk_fma_f16 v65, v8, v52, v65 op_sel:[0,1,0]
	;; [unrolled: 2-line block ×7, first 2 shown]
	ds_load_2addr_b64 v[60:63], v50 offset0:128 offset1:160
	v_pk_fma_f16 v90, v11, v52, v90 op_sel_hi:[1,0,1]
	v_pk_fma_f16 v91, v11, v52, v91 op_sel:[0,1,0]
	ds_load_2addr_b64 v[8:11], v50 offset0:192 offset1:224
	s_waitcnt lgkmcnt(2)
	v_pk_fma_f16 v92, v56, v51, v92 op_sel_hi:[1,0,1]
	v_pk_fma_f16 v77, v56, v51, v77 op_sel:[0,1,0]
	v_pk_fma_f16 v93, v57, v51, v93 op_sel_hi:[1,0,1]
	v_pk_fma_f16 v82, v57, v51, v82 op_sel:[0,1,0]
	v_pk_fma_f16 v94, v57, v52, v94 op_sel:[0,1,0]
	v_pk_fma_f16 v95, v58, v51, v95 op_sel_hi:[1,0,1]
	v_pk_fma_f16 v73, v58, v51, v73 op_sel:[0,1,0]
	v_pk_fma_f16 v97, v59, v51, v97 op_sel_hi:[1,0,1]
	v_pk_fma_f16 v51, v59, v51, v70 op_sel:[0,1,0]
	ds_load_b128 v[4:7], v40 offset:976
	v_pk_fma_f16 v81, v56, v52, v81 op_sel_hi:[1,0,1]
	v_pk_fma_f16 v72, v56, v52, v72 op_sel:[0,1,0]
	v_pk_fma_f16 v83, v57, v52, v83 op_sel_hi:[1,0,1]
	v_pk_fma_f16 v96, v58, v52, v96 op_sel_hi:[1,0,1]
	v_pk_fma_f16 v74, v58, v52, v74 op_sel:[0,1,0]
	v_pk_fma_f16 v68, v59, v52, v68 op_sel_hi:[1,0,1]
	v_pk_fma_f16 v70, v59, v52, v71 op_sel:[0,1,0]
	s_waitcnt lgkmcnt(2)
	v_pk_fma_f16 v71, v60, v53, v98 op_sel_hi:[1,0,1]
	v_pk_fma_f16 v98, v60, v53, v99 op_sel:[0,1,0]
	v_pk_fma_f16 v64, v60, v54, v64 op_sel_hi:[1,0,1]
	v_pk_fma_f16 v60, v60, v54, v65 op_sel:[0,1,0]
	;; [unrolled: 2-line block ×7, first 2 shown]
	ds_load_2addr_b64 v[56:59], v49 offset1:32
	v_pk_fma_f16 v87, v63, v54, v90 op_sel_hi:[1,0,1]
	v_pk_fma_f16 v63, v63, v54, v91 op_sel:[0,1,0]
	s_waitcnt lgkmcnt(2)
	v_pk_fma_f16 v88, v8, v53, v92 op_sel_hi:[1,0,1]
	v_pk_fma_f16 v77, v8, v53, v77 op_sel:[0,1,0]
	v_pk_fma_f16 v89, v9, v53, v93 op_sel_hi:[1,0,1]
	v_pk_fma_f16 v82, v9, v53, v82 op_sel:[0,1,0]
	v_pk_fma_f16 v90, v9, v54, v94 op_sel:[0,1,0]
	v_pk_fma_f16 v91, v10, v53, v95 op_sel_hi:[1,0,1]
	v_pk_fma_f16 v73, v10, v53, v73 op_sel:[0,1,0]
	v_pk_fma_f16 v93, v11, v53, v97 op_sel_hi:[1,0,1]
	v_pk_fma_f16 v94, v11, v53, v51 op_sel:[0,1,0]
	ds_load_2addr_b64 v[50:53], v49 offset0:64 offset1:96
	v_pk_fma_f16 v81, v8, v54, v81 op_sel_hi:[1,0,1]
	v_pk_fma_f16 v72, v8, v54, v72 op_sel:[0,1,0]
	v_pk_fma_f16 v83, v9, v54, v83 op_sel_hi:[1,0,1]
	v_pk_fma_f16 v92, v10, v54, v96 op_sel_hi:[1,0,1]
	v_pk_fma_f16 v74, v10, v54, v74 op_sel:[0,1,0]
	v_pk_fma_f16 v68, v11, v54, v68 op_sel_hi:[1,0,1]
	v_pk_fma_f16 v54, v11, v54, v70 op_sel:[0,1,0]
	ds_load_2addr_b64 v[8:11], v49 offset0:128 offset1:160
	s_waitcnt lgkmcnt(2)
	v_pk_fma_f16 v70, v56, v4, v71 op_sel_hi:[1,0,1]
	v_pk_fma_f16 v71, v56, v4, v98 op_sel:[0,1,0]
	v_pk_fma_f16 v64, v56, v5, v64 op_sel_hi:[1,0,1]
	v_pk_fma_f16 v56, v56, v5, v60 op_sel:[0,1,0]
	;; [unrolled: 2-line block ×8, first 2 shown]
	s_waitcnt lgkmcnt(1)
	v_pk_fma_f16 v86, v50, v4, v88 op_sel_hi:[1,0,1]
	v_pk_fma_f16 v77, v50, v4, v77 op_sel:[0,1,0]
	v_pk_fma_f16 v81, v50, v5, v81 op_sel_hi:[1,0,1]
	v_pk_fma_f16 v72, v50, v5, v72 op_sel:[0,1,0]
	;; [unrolled: 2-line block ×6, first 2 shown]
	ds_load_2addr_b64 v[49:52], v49 offset0:192 offset1:224
	v_pk_fma_f16 v91, v53, v4, v93 op_sel_hi:[1,0,1]
	v_pk_fma_f16 v4, v53, v4, v94 op_sel:[0,1,0]
	v_pk_fma_f16 v68, v53, v5, v68 op_sel_hi:[1,0,1]
	v_pk_fma_f16 v5, v53, v5, v54 op_sel:[0,1,0]
	s_waitcnt lgkmcnt(1)
	v_pk_fma_f16 v53, v8, v6, v70 op_sel_hi:[1,0,1]
	v_pk_fma_f16 v54, v8, v6, v71 op_sel:[0,1,0]
	v_pk_fma_f16 v64, v8, v7, v64 op_sel_hi:[1,0,1]
	v_pk_fma_f16 v70, v8, v7, v56 op_sel:[0,1,0]
	v_pk_fma_f16 v71, v9, v6, v60 op_sel_hi:[1,0,1]
	v_pk_fma_f16 v65, v9, v6, v65 op_sel:[0,1,0]
	v_pk_fma_f16 v66, v9, v7, v66 op_sel_hi:[1,0,1]
	v_pk_fma_f16 v92, v9, v7, v57 op_sel:[0,1,0]
	v_pk_fma_f16 v93, v10, v6, v61 op_sel_hi:[1,0,1]
	v_pk_fma_f16 v67, v10, v6, v67 op_sel:[0,1,0]
	v_pk_fma_f16 v69, v10, v7, v69 op_sel_hi:[1,0,1]
	v_pk_fma_f16 v94, v10, v7, v58 op_sel:[0,1,0]
	v_pk_fma_f16 v95, v11, v6, v62 op_sel_hi:[1,0,1]
	v_pk_fma_f16 v75, v11, v6, v75 op_sel:[0,1,0]
	v_pk_fma_f16 v84, v11, v7, v84 op_sel_hi:[1,0,1]
	ds_load_2addr_b64 v[56:59], v48 offset1:32
	ds_load_b128 v[60:63], v40 offset:992
	v_pk_fma_f16 v85, v11, v7, v85 op_sel:[0,1,0]
	ds_load_2addr_b64 v[8:11], v48 offset0:64 offset1:96
	s_waitcnt lgkmcnt(3)
	v_pk_fma_f16 v86, v49, v6, v86 op_sel_hi:[1,0,1]
	v_pk_fma_f16 v77, v49, v6, v77 op_sel:[0,1,0]
	v_pk_fma_f16 v81, v49, v7, v81 op_sel_hi:[1,0,1]
	v_pk_fma_f16 v72, v49, v7, v72 op_sel:[0,1,0]
	;; [unrolled: 2-line block ×8, first 2 shown]
	ds_load_2addr_b64 v[49:52], v48 offset0:128 offset1:160
	ds_load_b128 v[4:7], v40 offset:1008
	s_waitcnt lgkmcnt(3)
	v_pk_fma_f16 v53, v56, v60, v53 op_sel_hi:[1,0,1]
	v_pk_fma_f16 v54, v56, v60, v54 op_sel:[0,1,0]
	v_pk_fma_f16 v64, v56, v61, v64 op_sel_hi:[1,0,1]
	v_pk_fma_f16 v70, v56, v61, v70 op_sel:[0,1,0]
	;; [unrolled: 2-line block ×8, first 2 shown]
	s_waitcnt lgkmcnt(2)
	v_pk_fma_f16 v86, v8, v60, v86 op_sel_hi:[1,0,1]
	v_pk_fma_f16 v77, v8, v60, v77 op_sel:[0,1,0]
	v_pk_fma_f16 v81, v8, v61, v81 op_sel_hi:[1,0,1]
	v_pk_fma_f16 v72, v8, v61, v72 op_sel:[0,1,0]
	;; [unrolled: 2-line block ×7, first 2 shown]
	ds_load_2addr_b64 v[56:59], v48 offset0:192 offset1:224
	v_pk_fma_f16 v68, v11, v61, v68 op_sel_hi:[1,0,1]
	v_pk_fma_f16 v61, v11, v61, v97 op_sel:[0,1,0]
	ds_load_2addr_b64 v[8:11], v47 offset1:32
	s_waitcnt lgkmcnt(3)
	v_pk_fma_f16 v53, v49, v62, v53 op_sel_hi:[1,0,1]
	v_pk_fma_f16 v54, v49, v62, v54 op_sel:[0,1,0]
	v_pk_fma_f16 v64, v49, v63, v64 op_sel_hi:[1,0,1]
	v_pk_fma_f16 v70, v49, v63, v70 op_sel:[0,1,0]
	;; [unrolled: 2-line block ×8, first 2 shown]
	ds_load_2addr_b64 v[48:51], v47 offset0:64 offset1:96
	s_waitcnt lgkmcnt(2)
	v_pk_fma_f16 v86, v56, v62, v86 op_sel_hi:[1,0,1]
	v_pk_fma_f16 v77, v56, v62, v77 op_sel:[0,1,0]
	v_pk_fma_f16 v81, v56, v63, v81 op_sel_hi:[1,0,1]
	v_pk_fma_f16 v56, v56, v63, v72 op_sel:[0,1,0]
	;; [unrolled: 2-line block ×8, first 2 shown]
	s_waitcnt lgkmcnt(1)
	v_pk_fma_f16 v53, v8, v4, v53 op_sel_hi:[1,0,1]
	v_pk_fma_f16 v54, v8, v4, v54 op_sel:[0,1,0]
	v_pk_fma_f16 v61, v8, v5, v64 op_sel_hi:[1,0,1]
	v_pk_fma_f16 v63, v8, v5, v70 op_sel:[0,1,0]
	;; [unrolled: 2-line block ×7, first 2 shown]
	ds_load_2addr_b64 v[82:85], v47 offset0:128 offset1:160
	v_pk_fma_f16 v93, v11, v5, v96 op_sel_hi:[1,0,1]
	v_pk_fma_f16 v52, v11, v5, v52 op_sel:[0,1,0]
	ds_load_2addr_b64 v[8:11], v47 offset0:192 offset1:224
	s_waitcnt lgkmcnt(0)
	s_barrier
	buffer_gl0_inv
	s_load_b32 s4, s[2:3], 0x4
	v_pk_fma_f16 v86, v48, v4, v86 op_sel_hi:[1,0,1]
	v_pk_fma_f16 v94, v48, v4, v77 op_sel:[0,1,0]
	v_pk_fma_f16 v81, v48, v5, v81 op_sel_hi:[1,0,1]
	v_pk_fma_f16 v48, v48, v5, v56 op_sel:[0,1,0]
	v_pk_fma_f16 v95, v49, v4, v72 op_sel_hi:[1,0,1]
	v_pk_fma_f16 v87, v49, v4, v87 op_sel:[0,1,0]
	v_pk_fma_f16 v96, v49, v5, v97 op_sel_hi:[1,0,1]
	v_pk_fma_f16 v57, v49, v5, v57 op_sel:[0,1,0]
	v_pk_fma_f16 v88, v50, v4, v88 op_sel_hi:[1,0,1]
	v_pk_fma_f16 v97, v50, v4, v73 op_sel:[0,1,0]
	v_pk_fma_f16 v89, v50, v5, v89 op_sel_hi:[1,0,1]
	v_pk_fma_f16 v58, v50, v5, v58 op_sel:[0,1,0]
	v_pk_fma_f16 v74, v51, v4, v74 op_sel_hi:[1,0,1]
	v_pk_fma_f16 v4, v51, v4, v60 op_sel:[0,1,0]
	v_pk_fma_f16 v98, v51, v5, v62 op_sel_hi:[1,0,1]
	v_pk_fma_f16 v5, v51, v5, v59 op_sel:[0,1,0]
	v_pk_fma_f16 v72, v82, v6, v53 op_sel_hi:[1,0,1]
	v_pk_fma_f16 v64, v82, v6, v54 op_sel:[0,1,0]
	v_pk_fma_f16 v56, v82, v7, v61 op_sel_hi:[1,0,1]
	s_waitcnt lgkmcnt(0)
	s_lshl_b32 s4, s4, 7
	v_pk_fma_f16 v53, v82, v7, v63 op_sel:[0,1,0]
	v_pk_fma_f16 v82, v83, v6, v68 op_sel_hi:[1,0,1]
	v_pk_fma_f16 v71, v83, v6, v65 op_sel:[0,1,0]
	v_pk_fma_f16 v63, v83, v7, v66 op_sel_hi:[1,0,1]
	v_pk_fma_f16 v54, v83, v7, v70 op_sel:[0,1,0]
	v_pk_fma_f16 v77, v84, v6, v90 op_sel_hi:[1,0,1]
	v_pk_fma_f16 v68, v84, v6, v67 op_sel:[0,1,0]
	v_pk_fma_f16 v60, v84, v7, v69 op_sel_hi:[1,0,1]
	v_pk_fma_f16 v50, v84, v7, v91 op_sel:[0,1,0]
	v_pk_fma_f16 v83, v85, v6, v92 op_sel_hi:[1,0,1]
	v_pk_fma_f16 v70, v85, v6, v75 op_sel:[0,1,0]
	v_pk_fma_f16 v62, v85, v7, v93 op_sel_hi:[1,0,1]
	v_pk_fma_f16 v52, v85, v7, v52 op_sel:[0,1,0]
	v_pk_fma_f16 v75, v8, v6, v86 op_sel_hi:[1,0,1]
	v_pk_fma_f16 v67, v8, v6, v94 op_sel:[0,1,0]
	v_pk_fma_f16 v59, v8, v7, v81 op_sel_hi:[1,0,1]
	v_pk_fma_f16 v49, v8, v7, v48 op_sel:[0,1,0]
	v_pk_fma_f16 v81, v9, v6, v95 op_sel_hi:[1,0,1]
	v_pk_fma_f16 v69, v9, v6, v87 op_sel:[0,1,0]
	v_pk_fma_f16 v61, v9, v7, v96 op_sel_hi:[1,0,1]
	v_pk_fma_f16 v51, v9, v7, v57 op_sel:[0,1,0]
	v_pk_fma_f16 v73, v10, v6, v88 op_sel_hi:[1,0,1]
	v_pk_fma_f16 v65, v10, v6, v97 op_sel:[0,1,0]
	v_pk_fma_f16 v57, v10, v7, v89 op_sel_hi:[1,0,1]
	v_pk_fma_f16 v48, v10, v7, v58 op_sel:[0,1,0]
	v_pk_fma_f16 v74, v11, v6, v74 op_sel_hi:[1,0,1]
	v_pk_fma_f16 v66, v11, v6, v4 op_sel:[0,1,0]
	v_pk_fma_f16 v58, v11, v7, v98 op_sel_hi:[1,0,1]
	v_pk_fma_f16 v47, v11, v7, v5 op_sel:[0,1,0]
	s_add_i32 s13, s4, s13
	s_delay_alu instid0(SALU_CYCLE_1)
	s_cmp_ge_i32 s13, s34
	s_cbranch_scc1 .LBB0_23
; %bb.22:                               ;   in Loop: Header=BB0_17 Depth=1
	v_dual_mov_b32 v91, v0 :: v_dual_mov_b32 v94, v1
	v_dual_mov_b32 v93, v2 :: v_dual_mov_b32 v92, v3
	;; [unrolled: 1-line block ×4, first 2 shown]
	s_branch .LBB0_17
.LBB0_23:
	v_dual_mov_b32 v7, 32 :: v_dual_mov_b32 v8, v33
.LBB0_24:
	s_delay_alu instid0(VALU_DEP_1)
	v_cmp_lt_i32_e32 vcc_lo, v12, v7
	s_cmp_lg_u64 s[24:25], 0
	s_cselect_b32 s2, -1, 0
	s_cmp_eq_u32 s14, 0
	v_cndmask_b32_e32 v4, v8, v12, vcc_lo
	v_cmp_lt_i32_e32 vcc_lo, v13, v7
	s_cselect_b32 s3, -1, 0
	s_delay_alu instid0(SALU_CYCLE_1) | instskip(NEXT) | instid1(VALU_DEP_2)
	s_and_b32 s2, s3, s2
	v_lshlrev_b32_e32 v4, 2, v4
	ds_bpermute_b32 v5, v4, v80
	s_waitcnt lgkmcnt(0)
	v_add_f32_e32 v5, v80, v5
	ds_bpermute_b32 v9, v4, v78
	v_cndmask_b32_e32 v10, v8, v13, vcc_lo
	ds_bpermute_b32 v6, v4, v79
	ds_bpermute_b32 v4, v4, v76
	v_cmp_lt_i32_e32 vcc_lo, v14, v7
	v_cndmask_b32_e32 v14, v8, v14, vcc_lo
	v_cmp_lt_i32_e32 vcc_lo, v15, v7
	s_waitcnt lgkmcnt(2)
	s_delay_alu instid0(VALU_DEP_2)
	v_dual_add_f32 v9, v78, v9 :: v_dual_lshlrev_b32 v14, 2, v14
	v_lshlrev_b32_e32 v10, 2, v10
	ds_bpermute_b32 v13, v10, v9
	s_waitcnt lgkmcnt(0)
	v_add_f32_e32 v9, v9, v13
	ds_bpermute_b32 v11, v10, v5
	v_add_f32_e32 v6, v79, v6
	ds_bpermute_b32 v12, v10, v6
	s_waitcnt lgkmcnt(1)
	v_dual_add_f32 v5, v5, v11 :: v_dual_add_f32 v4, v76, v4
	ds_bpermute_b32 v10, v10, v4
	s_waitcnt lgkmcnt(0)
	v_add_f32_e32 v4, v4, v10
	ds_bpermute_b32 v10, v14, v5
	ds_bpermute_b32 v13, v14, v4
	s_waitcnt lgkmcnt(1)
	v_dual_add_f32 v5, v5, v10 :: v_dual_add_f32 v6, v6, v12
	ds_bpermute_b32 v12, v14, v9
	s_waitcnt lgkmcnt(1)
	v_add_f32_e32 v4, v4, v13
	ds_bpermute_b32 v11, v14, v6
	v_cndmask_b32_e32 v14, v8, v15, vcc_lo
	v_cmp_lt_i32_e32 vcc_lo, v55, v7
	s_delay_alu instid0(VALU_DEP_2)
	v_dual_cndmask_b32 v7, v8, v55 :: v_dual_lshlrev_b32 v14, 2, v14
	s_and_b32 vcc_lo, exec_lo, s2
	ds_bpermute_b32 v13, v14, v4
	v_lshlrev_b32_e32 v7, 2, v7
	s_waitcnt lgkmcnt(2)
	v_add_f32_e32 v9, v9, v12
	ds_bpermute_b32 v12, v14, v9
	s_waitcnt lgkmcnt(0)
	v_dual_add_f32 v8, v9, v12 :: v_dual_add_f32 v9, v4, v13
	ds_bpermute_b32 v10, v14, v5
	s_waitcnt lgkmcnt(0)
	v_dual_add_f32 v5, v5, v10 :: v_dual_add_f32 v6, v6, v11
	ds_bpermute_b32 v4, v7, v5
	ds_bpermute_b32 v11, v14, v6
	s_waitcnt lgkmcnt(1)
	v_add_f32_e32 v4, v5, v4
	s_waitcnt lgkmcnt(0)
	v_add_f32_e32 v6, v6, v11
	ds_bpermute_b32 v11, v7, v8
	ds_bpermute_b32 v10, v7, v6
	;; [unrolled: 1-line block ×3, first 2 shown]
	s_waitcnt lgkmcnt(1)
	v_dual_add_f32 v5, v6, v10 :: v_dual_add_f32 v6, v8, v11
	s_waitcnt lgkmcnt(0)
	v_add_f32_e32 v7, v9, v7
	s_cbranch_vccz .LBB0_27
; %bb.25:
	v_dual_max_f32 v13, v1, v1 :: v_dual_add_nc_u32 v8, s12, v32
	s_delay_alu instid0(VALU_DEP_1) | instskip(NEXT) | instid1(VALU_DEP_1)
	v_ashrrev_i32_e32 v9, 31, v8
	v_lshlrev_b64 v[8:9], 2, v[8:9]
	s_delay_alu instid0(VALU_DEP_1) | instskip(NEXT) | instid1(VALU_DEP_2)
	v_add_co_u32 v8, vcc_lo, s24, v8
	v_add_co_ci_u32_e32 v9, vcc_lo, s25, v9, vcc_lo
	global_load_b128 v[8:11], v[8:9], off
	v_max_f32_e32 v12, v0, v0
	s_waitcnt vmcnt(0)
	v_dual_max_f32 v14, v2, v2 :: v_dual_max_f32 v15, v8, v8
	v_dual_max_f32 v19, v9, v9 :: v_dual_max_f32 v20, v10, v10
	v_max_f32_e32 v21, v11, v11
	s_delay_alu instid0(VALU_DEP_2) | instskip(NEXT) | instid1(VALU_DEP_1)
	v_dual_max_f32 v13, v13, v19 :: v_dual_max_f32 v14, v14, v20
	v_dual_max_f32 v18, v3, v3 :: v_dual_sub_f32 v19, v1, v13
	s_delay_alu instid0(VALU_DEP_1) | instskip(NEXT) | instid1(VALU_DEP_3)
	v_dual_max_f32 v12, v12, v15 :: v_dual_max_f32 v15, v18, v21
	v_sub_f32_e32 v10, v10, v14
	v_dual_sub_f32 v20, v2, v14 :: v_dual_sub_f32 v9, v9, v13
	s_delay_alu instid0(VALU_DEP_3) | instskip(NEXT) | instid1(VALU_DEP_4)
	v_sub_f32_e32 v18, v0, v12
	v_dual_sub_f32 v8, v8, v12 :: v_dual_sub_f32 v21, v3, v15
	v_dual_mov_b32 v0, v12 :: v_dual_mov_b32 v3, v15
	v_dual_mov_b32 v1, v13 :: v_dual_mov_b32 v2, v14
	s_delay_alu instid0(VALU_DEP_3) | instskip(SKIP_3) | instid1(VALU_DEP_4)
	v_dual_mul_f32 v13, 0x3fb8aa3b, v8 :: v_dual_mul_f32 v12, 0x3fb8aa3b, v18
	v_dual_mul_f32 v14, 0x3fb8aa3b, v19 :: v_dual_mul_f32 v23, 0x3fb8aa3b, v10
	v_sub_f32_e32 v11, v11, v15
	v_mul_f32_e32 v15, 0x3fb8aa3b, v9
	v_fma_f32 v26, 0x3fb8aa3b, v18, -v12
	v_rndne_f32_e32 v27, v12
	v_fma_f32 v28, 0x3fb8aa3b, v8, -v13
	v_rndne_f32_e32 v29, v13
	v_rndne_f32_e32 v39, v23
	v_fma_f32 v38, 0x3fb8aa3b, v10, -v23
	v_fmac_f32_e32 v26, 0x32a5705f, v18
	s_delay_alu instid0(VALU_DEP_4) | instskip(NEXT) | instid1(VALU_DEP_4)
	v_dual_fmac_f32 v28, 0x32a5705f, v8 :: v_dual_sub_f32 v13, v13, v29
	v_sub_f32_e32 v23, v23, v39
	v_sub_f32_e32 v12, v12, v27
	v_cvt_i32_f32_e32 v27, v27
	v_cvt_i32_f32_e32 v29, v29
	v_add_f32_e32 v13, v13, v28
	v_cmp_ngt_f32_e32 vcc_lo, 0xc2ce8ed0, v18
	v_add_f32_e32 v12, v12, v26
	v_dual_mul_f32 v22, 0x3fb8aa3b, v20 :: v_dual_mul_f32 v25, 0x3fb8aa3b, v11
	s_delay_alu instid0(VALU_DEP_4) | instskip(SKIP_1) | instid1(VALU_DEP_3)
	v_exp_f32_e32 v13, v13
	v_fma_f32 v30, 0x3fb8aa3b, v19, -v14
	v_exp_f32_e32 v12, v12
	v_rndne_f32_e32 v33, v14
	v_fma_f32 v34, 0x3fb8aa3b, v9, -v15
	v_rndne_f32_e32 v35, v15
	v_mul_f32_e32 v24, 0x3fb8aa3b, v21
	v_rndne_f32_e32 v43, v25
	v_sub_f32_e32 v14, v14, v33
	v_fma_f32 v42, 0x3fb8aa3b, v11, -v25
	v_ldexp_f32 v13, v13, v29
	v_sub_f32_e32 v15, v15, v35
	v_sub_f32_e32 v25, v25, v43
	v_ldexp_f32 v12, v12, v27
	v_cvt_i32_f32_e32 v33, v33
	v_fma_f32 v36, 0x3fb8aa3b, v20, -v22
	v_rndne_f32_e32 v37, v22
	v_cvt_i32_f32_e32 v35, v35
	v_cndmask_b32_e32 v12, 0, v12, vcc_lo
	v_cmp_ngt_f32_e32 vcc_lo, 0xc2ce8ed0, v8
	v_fmac_f32_e32 v38, 0x32a5705f, v10
	v_fmac_f32_e32 v42, 0x32a5705f, v11
	;; [unrolled: 1-line block ×3, first 2 shown]
	v_fma_f32 v40, 0x3fb8aa3b, v21, -v24
	v_cndmask_b32_e32 v13, 0, v13, vcc_lo
	v_dual_fmac_f32 v34, 0x32a5705f, v9 :: v_dual_add_f32 v23, v23, v38
	v_fmac_f32_e32 v30, 0x32a5705f, v19
	v_cmp_ngt_f32_e32 vcc_lo, 0xc2ce8ed0, v19
	v_add_f32_e32 v25, v25, v42
	s_delay_alu instid0(VALU_DEP_4)
	v_add_f32_e32 v15, v15, v34
	v_exp_f32_e32 v23, v23
	v_add_f32_e32 v14, v14, v30
	v_rndne_f32_e32 v41, v24
	v_cvt_i32_f32_e32 v39, v39
	v_exp_f32_e32 v15, v15
	v_exp_f32_e32 v25, v25
	;; [unrolled: 1-line block ×3, first 2 shown]
	v_cvt_i32_f32_e32 v26, v41
	v_cvt_i32_f32_e32 v28, v43
	v_ldexp_f32 v23, v23, v39
	s_delay_alu instid0(TRANS32_DEP_3) | instskip(SKIP_3) | instid1(VALU_DEP_1)
	v_ldexp_f32 v15, v15, v35
	s_waitcnt_depctr 0xfff
	v_ldexp_f32 v25, v25, v28
	v_ldexp_f32 v14, v14, v33
	v_cndmask_b32_e32 v14, 0, v14, vcc_lo
	v_cmp_ngt_f32_e32 vcc_lo, 0xc2ce8ed0, v9
	v_sub_f32_e32 v22, v22, v37
	v_cvt_i32_f32_e32 v37, v37
	v_dual_sub_f32 v24, v24, v41 :: v_dual_cndmask_b32 v15, 0, v15
	s_delay_alu instid0(VALU_DEP_3) | instskip(SKIP_1) | instid1(VALU_DEP_2)
	v_add_f32_e32 v22, v22, v36
	v_cmp_ngt_f32_e32 vcc_lo, 0xc2ce8ed0, v20
	v_exp_f32_e32 v22, v22
	s_waitcnt_depctr 0xfff
	v_ldexp_f32 v22, v22, v37
	s_delay_alu instid0(VALU_DEP_1) | instskip(SKIP_2) | instid1(VALU_DEP_1)
	v_cndmask_b32_e32 v22, 0, v22, vcc_lo
	v_cmp_ngt_f32_e32 vcc_lo, 0xc2ce8ed0, v10
	v_dual_fmac_f32 v40, 0x32a5705f, v21 :: v_dual_cndmask_b32 v23, 0, v23
	v_add_f32_e32 v24, v24, v40
	v_cmp_ngt_f32_e32 vcc_lo, 0xc2ce8ed0, v21
	s_delay_alu instid0(VALU_DEP_2) | instskip(SKIP_2) | instid1(VALU_DEP_1)
	v_exp_f32_e32 v24, v24
	s_waitcnt_depctr 0xfff
	v_ldexp_f32 v24, v24, v26
	v_cndmask_b32_e32 v24, 0, v24, vcc_lo
	v_cmp_ngt_f32_e32 vcc_lo, 0xc2ce8ed0, v11
	v_cndmask_b32_e32 v25, 0, v25, vcc_lo
	v_cmp_nlt_f32_e32 vcc_lo, 0x42b17218, v18
	v_cndmask_b32_e32 v12, 0x7f800000, v12, vcc_lo
	v_cmp_nlt_f32_e32 vcc_lo, 0x42b17218, v8
	;; [unrolled: 2-line block ×3, first 2 shown]
	s_delay_alu instid0(VALU_DEP_2) | instskip(SKIP_4) | instid1(VALU_DEP_3)
	v_dual_fmac_f32 v8, v4, v12 :: v_dual_cndmask_b32 v13, 0x7f800000, v14
	v_cmp_nlt_f32_e32 vcc_lo, 0x42b17218, v9
	v_cvt_f16_f32_e32 v4, v12
	v_cndmask_b32_e32 v9, 0x7f800000, v15, vcc_lo
	v_cmp_nlt_f32_e32 vcc_lo, 0x42b17218, v20
	v_pk_mul_f16 v72, v4, v72 op_sel_hi:[0,1]
	v_pk_mul_f16 v82, v4, v82 op_sel_hi:[0,1]
	;; [unrolled: 1-line block ×3, first 2 shown]
	v_dual_fmac_f32 v9, v5, v13 :: v_dual_cndmask_b32 v14, 0x7f800000, v22
	v_cmp_nlt_f32_e32 vcc_lo, 0x42b17218, v10
	v_cvt_f16_f32_e32 v5, v13
	v_pk_mul_f16 v83, v4, v83 op_sel_hi:[0,1]
	v_pk_mul_f16 v75, v4, v75 op_sel_hi:[0,1]
	;; [unrolled: 1-line block ×3, first 2 shown]
	v_cndmask_b32_e32 v10, 0x7f800000, v23, vcc_lo
	v_cmp_nlt_f32_e32 vcc_lo, 0x42b17218, v21
	v_pk_mul_f16 v73, v4, v73 op_sel_hi:[0,1]
	v_pk_mul_f16 v74, v4, v74 op_sel_hi:[0,1]
	;; [unrolled: 1-line block ×3, first 2 shown]
	v_dual_fmac_f32 v10, v6, v14 :: v_dual_cndmask_b32 v15, 0x7f800000, v24
	v_cmp_nlt_f32_e32 vcc_lo, 0x42b17218, v11
	v_cvt_f16_f32_e32 v6, v14
	v_pk_mul_f16 v71, v5, v71 op_sel_hi:[0,1]
	v_pk_mul_f16 v68, v5, v68 op_sel_hi:[0,1]
	v_pk_mul_f16 v70, v5, v70 op_sel_hi:[0,1]
	v_cndmask_b32_e32 v11, 0x7f800000, v25, vcc_lo
	v_pk_mul_f16 v67, v5, v67 op_sel_hi:[0,1]
	v_pk_mul_f16 v69, v5, v69 op_sel_hi:[0,1]
	;; [unrolled: 1-line block ×4, first 2 shown]
	v_fmac_f32_e32 v11, v7, v15
	v_cvt_f16_f32_e32 v7, v15
	v_pk_mul_f16 v56, v6, v56 op_sel_hi:[0,1]
	v_pk_mul_f16 v63, v6, v63 op_sel_hi:[0,1]
	;; [unrolled: 1-line block ×16, first 2 shown]
	v_dual_mov_b32 v4, v8 :: v_dual_mov_b32 v5, v9
	v_dual_mov_b32 v6, v10 :: v_dual_mov_b32 v7, v11
	s_mov_b32 s2, exec_lo
	v_cmpx_gt_i32_e64 s6, v16
	s_cbranch_execnz .LBB0_28
.LBB0_26:
	s_nop 0
	s_sendmsg sendmsg(MSG_DEALLOC_VGPRS)
	s_endpgm
.LBB0_27:
	s_delay_alu instid0(VALU_DEP_1)
	v_dual_mov_b32 v11, v7 :: v_dual_mov_b32 v10, v6
	v_dual_mov_b32 v9, v5 :: v_dual_mov_b32 v8, v4
	s_mov_b32 s2, exec_lo
	v_cmpx_gt_i32_e64 s6, v16
	s_cbranch_execz .LBB0_26
.LBB0_28:
	s_load_b32 s1, s[0:1], 0xd4
	v_mov_b32_e32 v14, 1.0
	s_waitcnt lgkmcnt(0)
	s_cmp_lg_u32 s1, 1
	s_cselect_b32 s3, -1, 0
	s_cmp_eq_u32 s1, 1
	s_cselect_b32 s2, -1, 0
	s_and_b32 vcc_lo, exec_lo, s3
	s_cbranch_vccnz .LBB0_30
; %bb.29:
	v_div_scale_f32 v12, null, v4, v4, 1.0
	s_delay_alu instid0(VALU_DEP_1) | instskip(SKIP_2) | instid1(VALU_DEP_1)
	v_rcp_f32_e32 v13, v12
	s_waitcnt_depctr 0xfff
	v_fma_f32 v14, -v12, v13, 1.0
	v_fmac_f32_e32 v13, v14, v13
	v_div_scale_f32 v14, vcc_lo, 1.0, v4, 1.0
	s_delay_alu instid0(VALU_DEP_1) | instskip(NEXT) | instid1(VALU_DEP_1)
	v_mul_f32_e32 v15, v14, v13
	v_fma_f32 v18, -v12, v15, v14
	s_delay_alu instid0(VALU_DEP_1) | instskip(NEXT) | instid1(VALU_DEP_1)
	v_fmac_f32_e32 v15, v18, v13
	v_fma_f32 v12, -v12, v15, v14
	s_delay_alu instid0(VALU_DEP_1) | instskip(NEXT) | instid1(VALU_DEP_1)
	v_div_fmas_f32 v12, v12, v13, v15
	v_div_fixup_f32 v14, v12, v4, 1.0
.LBB0_30:
	v_mad_u64_u32 v[12:13], null, s33, s6, v[16:17]
	v_cmp_eq_u32_e32 vcc_lo, 0, v17
	v_lshrrev_b32_e32 v4, 16, v82
	v_cvt_f32_f16_e32 v15, v82
	v_cvt_f32_f16_e32 v18, v72
	v_mov_b32_e32 v28, 0
	v_lshrrev_b32_e32 v19, 16, v83
	v_mul_lo_u32 v12, v12, s7
	v_cvt_f32_f16_e32 v23, v77
	v_cvt_f32_f16_e32 v4, v4
	v_lshrrev_b32_e32 v16, 16, v72
	v_lshrrev_b32_e32 v25, 16, v81
	v_cvt_f32_f16_e32 v29, v19
	v_mul_f32_e32 v19, v14, v23
	v_cvt_f32_f16_e32 v20, v83
	v_add3_u32 v17, s12, v32, v12
	v_lshrrev_b32_e32 v22, 16, v77
	v_cvt_f32_f16_e32 v38, v25
	v_lshrrev_b32_e32 v37, 16, v75
	v_cvt_f32_f16_e32 v36, v81
	v_mad_u64_u32 v[12:13], null, s1, v17, s[14:15]
	v_mul_f32_e32 v17, v14, v15
	v_dual_mul_f32 v15, v14, v18 :: v_dual_mov_b32 v24, v28
	v_cvt_f32_f16_e32 v13, v16
	v_dual_mul_f32 v21, v14, v20 :: v_dual_mov_b32 v30, v28
	v_lshl_add_u32 v27, v12, 9, v31
	v_mul_f32_e32 v18, v14, v4
	s_delay_alu instid0(VALU_DEP_4)
	v_mul_f32_e32 v16, v14, v13
	v_cvt_f32_f16_e32 v13, v75
	v_cvt_f32_f16_e32 v20, v22
	v_add_nc_u32_e32 v23, 0x80, v27
	v_lshlrev_b64 v[25:26], 2, v[27:28]
	v_dual_mul_f32 v22, v14, v29 :: v_dual_add_nc_u32 v29, 0x100, v27
	v_add_nc_u32_e32 v27, 0x180, v27
	s_delay_alu instid0(VALU_DEP_4) | instskip(SKIP_2) | instid1(VALU_DEP_1)
	v_lshlrev_b64 v[23:24], 2, v[23:24]
	v_cvt_f32_f16_e32 v4, v37
	v_add_co_u32 v32, s0, s28, v25
	v_add_co_ci_u32_e64 v33, s0, s29, v26, s0
	s_delay_alu instid0(VALU_DEP_4)
	v_add_co_u32 v34, s0, s28, v23
	v_mul_f32_e32 v23, v14, v13
	v_lshrrev_b32_e32 v13, 16, v73
	v_lshlrev_b64 v[29:30], 2, v[29:30]
	v_add_co_ci_u32_e64 v35, s0, s29, v24, s0
	v_mul_f32_e32 v24, v14, v4
	v_lshrrev_b32_e32 v4, 16, v74
	v_mul_f32_e32 v26, v14, v38
	v_lshlrev_b64 v[38:39], 2, v[27:28]
	v_cvt_f32_f16_e32 v13, v13
	v_mul_f32_e32 v25, v14, v36
	v_add_co_u32 v36, s0, s28, v29
	v_cvt_f32_f16_e32 v4, v4
	v_cvt_f32_f16_e32 v29, v74
	;; [unrolled: 1-line block ×3, first 2 shown]
	v_add_co_ci_u32_e64 v37, s0, s29, v30, s0
	v_mul_f32_e32 v28, v14, v13
	v_add_co_u32 v13, s0, s28, v38
	v_mul_f32_e32 v20, v14, v20
	v_mul_f32_e32 v30, v14, v4
	;; [unrolled: 1-line block ×4, first 2 shown]
	v_add_co_ci_u32_e64 v14, s0, s29, v39, s0
	s_and_b32 s0, vcc_lo, s3
	s_clause 0x3
	global_store_b128 v[32:33], v[15:18], off
	global_store_b128 v[34:35], v[19:22], off
	;; [unrolled: 1-line block ×4, first 2 shown]
	s_and_saveexec_b32 s3, s0
	s_cbranch_execz .LBB0_32
; %bb.31:
	v_ashrrev_i32_e32 v13, 31, v12
	v_mov_b32_e32 v15, v0
	v_mov_b32_e32 v16, v8
	s_delay_alu instid0(VALU_DEP_3) | instskip(NEXT) | instid1(VALU_DEP_1)
	v_lshlrev_b64 v[13:14], 3, v[12:13]
	v_add_co_u32 v13, vcc_lo, s30, v13
	s_delay_alu instid0(VALU_DEP_2)
	v_add_co_ci_u32_e32 v14, vcc_lo, s31, v14, vcc_lo
	global_store_b64 v[13:14], v[15:16], off
.LBB0_32:
	s_or_b32 exec_lo, exec_lo, s3
	v_cndmask_b32_e64 v13, 0, 1, s2
	v_mov_b32_e32 v0, 1.0
	s_and_not1_b32 vcc_lo, exec_lo, s2
	s_cbranch_vccnz .LBB0_34
; %bb.33:
	v_div_scale_f32 v0, null, v5, v5, 1.0
	s_delay_alu instid0(VALU_DEP_1) | instskip(SKIP_2) | instid1(VALU_DEP_1)
	v_rcp_f32_e32 v4, v0
	s_waitcnt_depctr 0xfff
	v_fma_f32 v8, -v0, v4, 1.0
	v_fmac_f32_e32 v4, v8, v4
	v_div_scale_f32 v8, vcc_lo, 1.0, v5, 1.0
	s_delay_alu instid0(VALU_DEP_1) | instskip(NEXT) | instid1(VALU_DEP_1)
	v_mul_f32_e32 v14, v8, v4
	v_fma_f32 v15, -v0, v14, v8
	s_delay_alu instid0(VALU_DEP_1) | instskip(NEXT) | instid1(VALU_DEP_1)
	v_fmac_f32_e32 v14, v15, v4
	v_fma_f32 v0, -v0, v14, v8
	s_delay_alu instid0(VALU_DEP_1) | instskip(NEXT) | instid1(VALU_DEP_1)
	v_div_fmas_f32 v0, v0, v4, v14
	v_div_fixup_f32 v0, v0, v5, 1.0
.LBB0_34:
	v_dual_mov_b32 v27, 0 :: v_dual_add_nc_u32 v4, s1, v12
	v_lshrrev_b32_e32 v5, 16, v71
	v_cvt_f32_f16_e32 v8, v71
	v_lshrrev_b32_e32 v20, 16, v70
	s_delay_alu instid0(VALU_DEP_4)
	v_lshl_add_u32 v26, v4, 9, v31
	v_lshrrev_b32_e32 v12, 16, v64
	v_cvt_f32_f16_e32 v5, v5
	v_mul_f32_e32 v16, v0, v8
	v_cvt_f32_f16_e32 v8, v20
	v_lshlrev_b64 v[18:19], 2, v[26:27]
	v_cvt_f32_f16_e32 v14, v64
	v_mul_f32_e32 v17, v0, v5
	v_lshrrev_b32_e32 v5, 16, v68
	v_cvt_f32_f16_e32 v12, v12
	v_mul_f32_e32 v21, v0, v8
	v_add_co_u32 v32, vcc_lo, s28, v18
	v_add_co_ci_u32_e32 v33, vcc_lo, s29, v19, vcc_lo
	v_dual_mov_b32 v19, v27 :: v_dual_add_nc_u32 v18, 0x80, v26
	v_cvt_f32_f16_e32 v5, v5
	v_lshrrev_b32_e32 v8, 16, v67
	v_mul_f32_e32 v14, v0, v14
	v_mul_f32_e32 v15, v0, v12
	v_lshlrev_b64 v[22:23], 2, v[18:19]
	v_mul_f32_e32 v19, v0, v5
	v_lshrrev_b32_e32 v5, 16, v69
	v_cvt_f32_f16_e32 v12, v70
	v_cvt_f32_f16_e32 v8, v8
	;; [unrolled: 1-line block ×3, first 2 shown]
	v_add_co_u32 v34, vcc_lo, s28, v22
	v_add_nc_u32_e32 v22, 0x100, v26
	v_add_co_ci_u32_e32 v35, vcc_lo, s29, v23, vcc_lo
	v_mov_b32_e32 v23, v27
	v_cvt_f32_f16_e32 v5, v5
	v_add_nc_u32_e32 v26, 0x180, v26
	v_mul_f32_e32 v20, v0, v12
	v_cvt_f32_f16_e32 v12, v69
	v_lshlrev_b64 v[28:29], 2, v[22:23]
	v_cvt_f32_f16_e32 v30, v67
	v_mul_f32_e32 v25, v0, v5
	v_mul_f32_e32 v23, v0, v8
	v_lshrrev_b32_e32 v5, 16, v66
	v_lshrrev_b32_e32 v8, 16, v65
	v_lshlrev_b64 v[38:39], 2, v[26:27]
	v_mul_f32_e32 v18, v0, v24
	v_mul_f32_e32 v24, v0, v12
	;; [unrolled: 1-line block ×3, first 2 shown]
	v_add_co_u32 v36, vcc_lo, s28, v28
	v_cvt_f32_f16_e32 v5, v5
	v_cvt_f32_f16_e32 v12, v66
	v_cvt_f32_f16_e32 v8, v8
	v_cvt_f32_f16_e32 v30, v65
	v_add_co_ci_u32_e32 v37, vcc_lo, s29, v29, vcc_lo
	v_add_co_u32 v38, vcc_lo, s28, v38
	v_mul_f32_e32 v29, v0, v5
	v_mul_f32_e32 v28, v0, v12
	;; [unrolled: 1-line block ×4, first 2 shown]
	v_add_co_ci_u32_e32 v39, vcc_lo, s29, v39, vcc_lo
	s_clause 0x3
	global_store_b128 v[32:33], v[14:17], off
	global_store_b128 v[34:35], v[18:21], off
	;; [unrolled: 1-line block ×4, first 2 shown]
	s_and_saveexec_b32 s2, s0
	s_cbranch_execz .LBB0_36
; %bb.35:
	v_ashrrev_i32_e32 v5, 31, v4
	v_mov_b32_e32 v8, v1
	s_delay_alu instid0(VALU_DEP_2) | instskip(NEXT) | instid1(VALU_DEP_1)
	v_lshlrev_b64 v[14:15], 3, v[4:5]
	v_add_co_u32 v14, vcc_lo, s30, v14
	s_delay_alu instid0(VALU_DEP_2)
	v_add_co_ci_u32_e32 v15, vcc_lo, s31, v15, vcc_lo
	global_store_b64 v[14:15], v[8:9], off
.LBB0_36:
	s_or_b32 exec_lo, exec_lo, s2
	v_cmp_ne_u32_e32 vcc_lo, 1, v13
	v_mov_b32_e32 v1, 1.0
	s_cbranch_vccnz .LBB0_38
; %bb.37:
	v_div_scale_f32 v0, null, v6, v6, 1.0
	s_delay_alu instid0(VALU_DEP_1) | instskip(SKIP_2) | instid1(VALU_DEP_1)
	v_rcp_f32_e32 v1, v0
	s_waitcnt_depctr 0xfff
	v_fma_f32 v5, -v0, v1, 1.0
	v_fmac_f32_e32 v1, v5, v1
	v_div_scale_f32 v5, vcc_lo, 1.0, v6, 1.0
	s_delay_alu instid0(VALU_DEP_1) | instskip(NEXT) | instid1(VALU_DEP_1)
	v_mul_f32_e32 v8, v5, v1
	v_fma_f32 v9, -v0, v8, v5
	s_delay_alu instid0(VALU_DEP_1) | instskip(NEXT) | instid1(VALU_DEP_1)
	v_fmac_f32_e32 v8, v9, v1
	v_fma_f32 v0, -v0, v8, v5
	s_delay_alu instid0(VALU_DEP_1) | instskip(NEXT) | instid1(VALU_DEP_1)
	v_div_fmas_f32 v0, v0, v1, v8
	v_div_fixup_f32 v1, v0, v6, 1.0
.LBB0_38:
	v_lshrrev_b32_e32 v6, 16, v63
	v_dual_mov_b32 v5, 0 :: v_dual_add_nc_u32 v0, s1, v4
	v_cvt_f32_f16_e32 v12, v63
	v_lshrrev_b32_e32 v18, 16, v62
	s_delay_alu instid0(VALU_DEP_4) | instskip(NEXT) | instid1(VALU_DEP_4)
	v_cvt_f32_f16_e32 v6, v6
	v_lshl_add_u32 v4, v0, 9, v31
	v_lshrrev_b32_e32 v8, 16, v56
	v_mul_f32_e32 v16, v1, v12
	v_cvt_f32_f16_e32 v12, v18
	s_delay_alu instid0(VALU_DEP_4)
	v_dual_mul_f32 v17, v1, v6 :: v_dual_add_nc_u32 v18, 0x80, v4
	v_lshrrev_b32_e32 v6, 16, v60
	v_mov_b32_e32 v19, v5
	v_cvt_f32_f16_e32 v15, v8
	v_lshlrev_b64 v[8:9], 2, v[4:5]
	v_mul_f32_e32 v21, v1, v12
	v_cvt_f32_f16_e32 v6, v6
	v_lshlrev_b64 v[22:23], 2, v[18:19]
	v_lshrrev_b32_e32 v12, 16, v59
	v_mul_f32_e32 v15, v1, v15
	v_add_co_u32 v8, vcc_lo, s28, v8
	v_mul_f32_e32 v19, v1, v6
	v_lshrrev_b32_e32 v6, 16, v61
	v_add_co_ci_u32_e32 v9, vcc_lo, s29, v9, vcc_lo
	v_add_co_u32 v32, vcc_lo, s28, v22
	v_add_nc_u32_e32 v22, 0x100, v4
	v_add_co_ci_u32_e32 v33, vcc_lo, s29, v23, vcc_lo
	v_mov_b32_e32 v23, v5
	v_cvt_f32_f16_e32 v6, v6
	v_cvt_f32_f16_e32 v12, v12
	v_add_nc_u32_e32 v4, 0x180, v4
	v_cvt_f32_f16_e32 v24, v60
	v_lshlrev_b64 v[26:27], 2, v[22:23]
	v_mul_f32_e32 v25, v1, v6
	v_mul_f32_e32 v23, v1, v12
	v_lshrrev_b32_e32 v6, 16, v58
	v_lshrrev_b32_e32 v12, 16, v57
	v_cvt_f32_f16_e32 v14, v56
	v_lshlrev_b64 v[4:5], 2, v[4:5]
	v_cvt_f32_f16_e32 v20, v62
	v_mul_f32_e32 v18, v1, v24
	v_cvt_f32_f16_e32 v24, v61
	v_cvt_f32_f16_e32 v28, v59
	v_add_co_u32 v34, vcc_lo, s28, v26
	v_cvt_f32_f16_e32 v6, v6
	v_cvt_f32_f16_e32 v26, v58
	;; [unrolled: 1-line block ×4, first 2 shown]
	v_mul_f32_e32 v14, v1, v14
	v_add_co_ci_u32_e32 v35, vcc_lo, s29, v27, vcc_lo
	v_mul_f32_e32 v20, v1, v20
	v_add_co_u32 v4, vcc_lo, s28, v4
	v_mul_f32_e32 v24, v1, v24
	v_mul_f32_e32 v22, v1, v28
	v_mul_f32_e32 v29, v1, v6
	v_mul_f32_e32 v28, v1, v26
	v_mul_f32_e32 v27, v1, v12
	v_mul_f32_e32 v26, v1, v30
	v_add_co_ci_u32_e32 v5, vcc_lo, s29, v5, vcc_lo
	s_clause 0x3
	global_store_b128 v[8:9], v[14:17], off
	global_store_b128 v[32:33], v[18:21], off
	;; [unrolled: 1-line block ×4, first 2 shown]
	s_and_saveexec_b32 s2, s0
	s_cbranch_execz .LBB0_40
; %bb.39:
	v_ashrrev_i32_e32 v1, 31, v0
	v_mov_b32_e32 v9, v2
	s_delay_alu instid0(VALU_DEP_2) | instskip(NEXT) | instid1(VALU_DEP_1)
	v_lshlrev_b64 v[4:5], 3, v[0:1]
	v_add_co_u32 v4, vcc_lo, s30, v4
	s_delay_alu instid0(VALU_DEP_2)
	v_add_co_ci_u32_e32 v5, vcc_lo, s31, v5, vcc_lo
	global_store_b64 v[4:5], v[9:10], off
.LBB0_40:
	s_or_b32 exec_lo, exec_lo, s2
	v_cmp_ne_u32_e32 vcc_lo, 1, v13
	v_mov_b32_e32 v1, 1.0
	s_cbranch_vccnz .LBB0_42
; %bb.41:
	v_div_scale_f32 v1, null, v7, v7, 1.0
	s_delay_alu instid0(VALU_DEP_1) | instskip(SKIP_2) | instid1(VALU_DEP_1)
	v_rcp_f32_e32 v2, v1
	s_waitcnt_depctr 0xfff
	v_fma_f32 v4, -v1, v2, 1.0
	v_fmac_f32_e32 v2, v4, v2
	v_div_scale_f32 v4, vcc_lo, 1.0, v7, 1.0
	s_delay_alu instid0(VALU_DEP_1) | instskip(NEXT) | instid1(VALU_DEP_1)
	v_mul_f32_e32 v5, v4, v2
	v_fma_f32 v6, -v1, v5, v4
	s_delay_alu instid0(VALU_DEP_1) | instskip(NEXT) | instid1(VALU_DEP_1)
	v_fmac_f32_e32 v5, v6, v2
	v_fma_f32 v1, -v1, v5, v4
	s_delay_alu instid0(VALU_DEP_1) | instskip(NEXT) | instid1(VALU_DEP_1)
	v_div_fmas_f32 v1, v1, v2, v5
	v_div_fixup_f32 v1, v1, v7, 1.0
.LBB0_42:
	v_dual_mov_b32 v9, 0 :: v_dual_add_nc_u32 v0, s1, v0
	v_lshrrev_b32_e32 v2, 16, v54
	v_cvt_f32_f16_e32 v4, v54
	v_cvt_f32_f16_e32 v7, v53
	s_delay_alu instid0(VALU_DEP_4)
	v_lshl_add_u32 v8, v0, 9, v31
	v_lshrrev_b32_e32 v10, 16, v52
	v_cvt_f32_f16_e32 v2, v2
	v_mul_f32_e32 v6, v1, v4
	v_mul_f32_e32 v4, v1, v7
	v_lshlrev_b64 v[12:13], 2, v[8:9]
	v_lshrrev_b32_e32 v5, 16, v53
	v_mul_f32_e32 v7, v1, v2
	v_lshrrev_b32_e32 v2, 16, v50
	v_cvt_f32_f16_e32 v10, v10
	v_cvt_f32_f16_e32 v18, v50
	v_add_co_u32 v24, vcc_lo, s28, v12
	v_add_nc_u32_e32 v12, 0x80, v8
	v_add_co_ci_u32_e32 v25, vcc_lo, s29, v13, vcc_lo
	v_mov_b32_e32 v13, v9
	v_cvt_f32_f16_e32 v2, v2
	v_cvt_f32_f16_e32 v5, v5
	v_mul_f32_e32 v15, v1, v10
	v_lshrrev_b32_e32 v10, 16, v49
	v_lshlrev_b64 v[16:17], 2, v[12:13]
	v_mul_f32_e32 v13, v1, v2
	v_lshrrev_b32_e32 v2, 16, v51
	v_mul_f32_e32 v5, v1, v5
	v_cvt_f32_f16_e32 v10, v10
	v_cvt_f32_f16_e32 v14, v52
	v_add_co_u32 v26, vcc_lo, s28, v16
	v_add_nc_u32_e32 v16, 0x100, v8
	v_add_co_ci_u32_e32 v27, vcc_lo, s29, v17, vcc_lo
	v_mov_b32_e32 v17, v9
	v_cvt_f32_f16_e32 v2, v2
	v_add_nc_u32_e32 v8, 0x180, v8
	v_mul_f32_e32 v12, v1, v18
	v_cvt_f32_f16_e32 v18, v51
	v_lshlrev_b64 v[20:21], 2, v[16:17]
	v_mul_f32_e32 v19, v1, v2
	v_mul_f32_e32 v17, v1, v10
	v_lshrrev_b32_e32 v2, 16, v47
	v_lshrrev_b32_e32 v10, 16, v48
	v_lshlrev_b64 v[8:9], 2, v[8:9]
	v_cvt_f32_f16_e32 v22, v49
	v_add_co_u32 v28, vcc_lo, s28, v20
	v_cvt_f32_f16_e32 v2, v2
	v_cvt_f32_f16_e32 v20, v47
	;; [unrolled: 1-line block ×4, first 2 shown]
	v_add_co_ci_u32_e32 v29, vcc_lo, s29, v21, vcc_lo
	v_mul_f32_e32 v14, v1, v14
	v_mul_f32_e32 v18, v1, v18
	;; [unrolled: 1-line block ×7, first 2 shown]
	v_add_co_u32 v1, vcc_lo, s28, v8
	v_add_co_ci_u32_e32 v2, vcc_lo, s29, v9, vcc_lo
	s_clause 0x3
	global_store_b128 v[24:25], v[4:7], off
	global_store_b128 v[26:27], v[12:15], off
	;; [unrolled: 1-line block ×4, first 2 shown]
	s_and_b32 exec_lo, exec_lo, s0
	s_cbranch_execz .LBB0_26
; %bb.43:
	v_ashrrev_i32_e32 v1, 31, v0
	v_mov_b32_e32 v10, v3
	s_delay_alu instid0(VALU_DEP_2) | instskip(NEXT) | instid1(VALU_DEP_1)
	v_lshlrev_b64 v[0:1], 3, v[0:1]
	v_add_co_u32 v0, vcc_lo, s30, v0
	s_delay_alu instid0(VALU_DEP_2)
	v_add_co_ci_u32_e32 v1, vcc_lo, s31, v1, vcc_lo
	global_store_b64 v[0:1], v[10:11], off
	s_nop 0
	s_sendmsg sendmsg(MSG_DEALLOC_VGPRS)
	s_endpgm
	.section	.rodata,"a",@progbits
	.p2align	6, 0x0
	.amdhsa_kernel _ZL15flash_attn_tileILi576ELi512ELi2ELi16ELb0EEvPKcS1_S1_S1_S1_PKiPfP15HIP_vector_typeIfLj2EEffffjfiS5_IjLj3EEiiiiiiiiiiiliiliiiiil
		.amdhsa_group_segment_fixed_size 63488
		.amdhsa_private_segment_fixed_size 0
		.amdhsa_kernarg_size 464
		.amdhsa_user_sgpr_count 13
		.amdhsa_user_sgpr_dispatch_ptr 0
		.amdhsa_user_sgpr_queue_ptr 0
		.amdhsa_user_sgpr_kernarg_segment_ptr 1
		.amdhsa_user_sgpr_dispatch_id 0
		.amdhsa_user_sgpr_private_segment_size 0
		.amdhsa_wavefront_size32 1
		.amdhsa_uses_dynamic_stack 0
		.amdhsa_enable_private_segment 0
		.amdhsa_system_sgpr_workgroup_id_x 1
		.amdhsa_system_sgpr_workgroup_id_y 1
		.amdhsa_system_sgpr_workgroup_id_z 1
		.amdhsa_system_sgpr_workgroup_info 0
		.amdhsa_system_vgpr_workitem_id 1
		.amdhsa_next_free_vgpr 210
		.amdhsa_next_free_sgpr 40
		.amdhsa_reserve_vcc 1
		.amdhsa_float_round_mode_32 0
		.amdhsa_float_round_mode_16_64 0
		.amdhsa_float_denorm_mode_32 3
		.amdhsa_float_denorm_mode_16_64 3
		.amdhsa_dx10_clamp 1
		.amdhsa_ieee_mode 1
		.amdhsa_fp16_overflow 0
		.amdhsa_workgroup_processor_mode 1
		.amdhsa_memory_ordered 1
		.amdhsa_forward_progress 0
		.amdhsa_shared_vgpr_count 0
		.amdhsa_exception_fp_ieee_invalid_op 0
		.amdhsa_exception_fp_denorm_src 0
		.amdhsa_exception_fp_ieee_div_zero 0
		.amdhsa_exception_fp_ieee_overflow 0
		.amdhsa_exception_fp_ieee_underflow 0
		.amdhsa_exception_fp_ieee_inexact 0
		.amdhsa_exception_int_div_zero 0
	.end_amdhsa_kernel
	.section	.text._ZL15flash_attn_tileILi576ELi512ELi2ELi16ELb0EEvPKcS1_S1_S1_S1_PKiPfP15HIP_vector_typeIfLj2EEffffjfiS5_IjLj3EEiiiiiiiiiiiliiliiiiil,"axG",@progbits,_ZL15flash_attn_tileILi576ELi512ELi2ELi16ELb0EEvPKcS1_S1_S1_S1_PKiPfP15HIP_vector_typeIfLj2EEffffjfiS5_IjLj3EEiiiiiiiiiiiliiliiiiil,comdat
.Lfunc_end0:
	.size	_ZL15flash_attn_tileILi576ELi512ELi2ELi16ELb0EEvPKcS1_S1_S1_S1_PKiPfP15HIP_vector_typeIfLj2EEffffjfiS5_IjLj3EEiiiiiiiiiiiliiliiiiil, .Lfunc_end0-_ZL15flash_attn_tileILi576ELi512ELi2ELi16ELb0EEvPKcS1_S1_S1_S1_PKiPfP15HIP_vector_typeIfLj2EEffffjfiS5_IjLj3EEiiiiiiiiiiiliiliiiiil
                                        ; -- End function
	.section	.AMDGPU.csdata,"",@progbits
; Kernel info:
; codeLenInByte = 81488
; NumSgprs: 42
; NumVgprs: 210
; ScratchSize: 0
; MemoryBound: 0
; FloatMode: 240
; IeeeMode: 1
; LDSByteSize: 63488 bytes/workgroup (compile time only)
; SGPRBlocks: 5
; VGPRBlocks: 26
; NumSGPRsForWavesPerEU: 42
; NumVGPRsForWavesPerEU: 210
; Occupancy: 4
; WaveLimiterHint : 1
; COMPUTE_PGM_RSRC2:SCRATCH_EN: 0
; COMPUTE_PGM_RSRC2:USER_SGPR: 13
; COMPUTE_PGM_RSRC2:TRAP_HANDLER: 0
; COMPUTE_PGM_RSRC2:TGID_X_EN: 1
; COMPUTE_PGM_RSRC2:TGID_Y_EN: 1
; COMPUTE_PGM_RSRC2:TGID_Z_EN: 1
; COMPUTE_PGM_RSRC2:TIDIG_COMP_CNT: 1
	.section	.text._ZL25flash_attn_mask_to_KV_maxILi2EEvPK7__half2Piiii,"axG",@progbits,_ZL25flash_attn_mask_to_KV_maxILi2EEvPK7__half2Piiii,comdat
	.globl	_ZL25flash_attn_mask_to_KV_maxILi2EEvPK7__half2Piiii ; -- Begin function _ZL25flash_attn_mask_to_KV_maxILi2EEvPK7__half2Piiii
	.p2align	8
	.type	_ZL25flash_attn_mask_to_KV_maxILi2EEvPK7__half2Piiii,@function
_ZL25flash_attn_mask_to_KV_maxILi2EEvPK7__half2Piiii: ; @_ZL25flash_attn_mask_to_KV_maxILi2EEvPK7__half2Piiii
; %bb.0:
	s_load_b128 s[4:7], s[0:1], 0x0
	s_mov_b32 s2, exec_lo
	v_cmpx_gt_u32_e32 32, v0
	s_cbranch_execz .LBB1_2
; %bb.1:
	v_dual_mov_b32 v2, 1 :: v_dual_lshlrev_b32 v1, 2, v0
	ds_store_b32 v1, v2
.LBB1_2:
	s_or_b32 exec_lo, exec_lo, s2
	s_clause 0x1
	s_load_b128 s[8:11], s[0:1], 0x10
	s_load_b32 s1, s[0:1], 0x20
	v_dual_mov_b32 v2, 0 :: v_dual_and_b32 v1, 31, v0
	v_lshrrev_b32_e32 v3, 3, v0
	s_waitcnt lgkmcnt(0)
	s_barrier
	s_delay_alu instid0(VALU_DEP_2) | instskip(SKIP_4) | instid1(SALU_CYCLE_1)
	v_lshlrev_b32_e32 v4, 2, v1
	buffer_gl0_inv
	s_mul_i32 s0, s14, s9
	s_mul_i32 s2, s15, s10
	s_lshl_b32 s0, s0, 1
	s_add_i32 s2, s2, s0
	v_cmp_eq_u32_e64 s0, 0, v1
	s_ashr_i32 s3, s2, 31
	s_delay_alu instid0(SALU_CYCLE_1) | instskip(NEXT) | instid1(SALU_CYCLE_1)
	s_lshl_b64 s[10:11], s[2:3], 2
	s_add_u32 s3, s4, s10
	s_addc_u32 s4, s5, s11
	s_lshl_b32 s5, s8, 8
	s_branch .LBB1_4
.LBB1_3:                                ;   in Loop: Header=BB1_4 Depth=1
	s_or_b32 exec_lo, exec_lo, s10
	s_waitcnt lgkmcnt(0)
	s_barrier
	buffer_gl0_inv
	ds_load_b32 v1, v4
	s_waitcnt lgkmcnt(0)
	s_barrier
	buffer_gl0_inv
	;;#ASMSTART
	;;#ASMEND
	v_cmp_ne_u32_e32 vcc_lo, 0, v1
	s_cmp_lg_u32 vcc_lo, exec_lo
	s_cselect_b32 s8, -1, 0
	s_delay_alu instid0(SALU_CYCLE_1)
	s_and_b32 vcc_lo, exec_lo, s8
	s_cbranch_vccnz .LBB1_12
.LBB1_4:                                ; =>This Inner Loop Header: Depth=1
	s_mov_b32 s2, s5
	s_addk_i32 s5, 0xff00
	s_delay_alu instid0(SALU_CYCLE_1)
	s_cmp_lt_i32 s5, 0
	s_cbranch_scc1 .LBB1_11
; %bb.5:                                ;   in Loop: Header=BB1_4 Depth=1
	s_lshr_b32 s8, s5, 1
	s_mov_b32 s10, 0
	v_add_nc_u32_e32 v1, s8, v0
	s_delay_alu instid0(VALU_DEP_1) | instskip(NEXT) | instid1(VALU_DEP_1)
	v_lshlrev_b64 v[5:6], 2, v[1:2]
	v_add_co_u32 v5, vcc_lo, s3, v5
	s_delay_alu instid0(VALU_DEP_2) | instskip(SKIP_4) | instid1(VALU_DEP_2)
	v_add_co_ci_u32_e32 v6, vcc_lo, s4, v6, vcc_lo
	global_load_b32 v5, v[5:6], off
	s_waitcnt vmcnt(0)
	v_lshrrev_b32_e32 v6, 16, v5
	v_cmp_class_f16_e64 s8, v5, 0x204
	v_and_b32_e32 v6, 0x7fff, v6
	s_delay_alu instid0(VALU_DEP_1) | instskip(NEXT) | instid1(VALU_DEP_3)
	v_cmp_eq_f16_e32 vcc_lo, 0x7c00, v6
	s_and_b32 s11, s8, vcc_lo
	s_delay_alu instid0(SALU_CYCLE_1)
	s_and_saveexec_b32 s8, s11
	s_cbranch_execz .LBB1_9
; %bb.6:                                ;   in Loop: Header=BB1_4 Depth=1
	v_add_nc_u32_e32 v5, s9, v1
	s_delay_alu instid0(VALU_DEP_1) | instskip(NEXT) | instid1(VALU_DEP_1)
	v_ashrrev_i32_e32 v6, 31, v5
	v_lshlrev_b64 v[5:6], 2, v[5:6]
	s_delay_alu instid0(VALU_DEP_1) | instskip(NEXT) | instid1(VALU_DEP_2)
	v_add_co_u32 v5, vcc_lo, s3, v5
	v_add_co_ci_u32_e32 v6, vcc_lo, s4, v6, vcc_lo
	global_load_b32 v1, v[5:6], off
	s_waitcnt vmcnt(0)
	v_cmp_class_f16_e64 s12, v1, 0x204
	s_delay_alu instid0(VALU_DEP_1)
	s_and_saveexec_b32 s11, s12
; %bb.7:                                ;   in Loop: Header=BB1_4 Depth=1
	v_lshrrev_b32_e32 v1, 16, v1
	s_delay_alu instid0(VALU_DEP_1) | instskip(NEXT) | instid1(VALU_DEP_1)
	v_cmp_class_f16_e64 s10, v1, 0x204
	s_and_b32 s10, s10, exec_lo
; %bb.8:                                ;   in Loop: Header=BB1_4 Depth=1
	s_or_b32 exec_lo, exec_lo, s11
	s_delay_alu instid0(SALU_CYCLE_1)
	s_and_b32 s10, s10, exec_lo
.LBB1_9:                                ;   in Loop: Header=BB1_4 Depth=1
	s_or_b32 exec_lo, exec_lo, s8
	v_cndmask_b32_e64 v1, 0, 1, s10
	;;#ASMSTART
	;;#ASMEND
	s_delay_alu instid0(VALU_DEP_1)
	v_cmp_ne_u32_e32 vcc_lo, 0, v1
	s_mov_b32 s8, exec_lo
	s_and_saveexec_b32 s10, s0
	s_cbranch_execz .LBB1_3
; %bb.10:                               ;   in Loop: Header=BB1_4 Depth=1
	s_cmp_eq_u32 vcc_lo, s8
	s_cselect_b32 s8, -1, 0
	s_delay_alu instid0(SALU_CYCLE_1)
	v_cndmask_b32_e64 v1, 0, 1, s8
	ds_store_b32 v3, v1
	s_branch .LBB1_3
.LBB1_11:                               ;   in Loop: Header=BB1_4 Depth=1
                                        ; implicit-def: $sgpr5
	s_cbranch_execz .LBB1_4
.LBB1_12:
	s_mov_b32 s0, exec_lo
	v_cmpx_eq_u32_e32 0, v0
	s_cbranch_execz .LBB1_14
; %bb.13:
	s_mul_i32 s0, s1, s15
	v_dual_mov_b32 v0, 0 :: v_dual_mov_b32 v1, s2
	s_add_i32 s0, s0, s14
	s_delay_alu instid0(SALU_CYCLE_1) | instskip(NEXT) | instid1(SALU_CYCLE_1)
	s_ashr_i32 s1, s0, 31
	s_lshl_b64 s[0:1], s[0:1], 2
	s_delay_alu instid0(SALU_CYCLE_1)
	s_add_u32 s0, s6, s0
	s_addc_u32 s1, s7, s1
	global_store_b32 v0, v1, s[0:1]
.LBB1_14:
	s_nop 0
	s_sendmsg sendmsg(MSG_DEALLOC_VGPRS)
	s_endpgm
	.section	.rodata,"a",@progbits
	.p2align	6, 0x0
	.amdhsa_kernel _ZL25flash_attn_mask_to_KV_maxILi2EEvPK7__half2Piiii
		.amdhsa_group_segment_fixed_size 128
		.amdhsa_private_segment_fixed_size 0
		.amdhsa_kernarg_size 288
		.amdhsa_user_sgpr_count 14
		.amdhsa_user_sgpr_dispatch_ptr 0
		.amdhsa_user_sgpr_queue_ptr 0
		.amdhsa_user_sgpr_kernarg_segment_ptr 1
		.amdhsa_user_sgpr_dispatch_id 0
		.amdhsa_user_sgpr_private_segment_size 0
		.amdhsa_wavefront_size32 1
		.amdhsa_uses_dynamic_stack 0
		.amdhsa_enable_private_segment 0
		.amdhsa_system_sgpr_workgroup_id_x 1
		.amdhsa_system_sgpr_workgroup_id_y 1
		.amdhsa_system_sgpr_workgroup_id_z 0
		.amdhsa_system_sgpr_workgroup_info 0
		.amdhsa_system_vgpr_workitem_id 0
		.amdhsa_next_free_vgpr 7
		.amdhsa_next_free_sgpr 16
		.amdhsa_reserve_vcc 1
		.amdhsa_float_round_mode_32 0
		.amdhsa_float_round_mode_16_64 0
		.amdhsa_float_denorm_mode_32 3
		.amdhsa_float_denorm_mode_16_64 3
		.amdhsa_dx10_clamp 1
		.amdhsa_ieee_mode 1
		.amdhsa_fp16_overflow 0
		.amdhsa_workgroup_processor_mode 1
		.amdhsa_memory_ordered 1
		.amdhsa_forward_progress 0
		.amdhsa_shared_vgpr_count 0
		.amdhsa_exception_fp_ieee_invalid_op 0
		.amdhsa_exception_fp_denorm_src 0
		.amdhsa_exception_fp_ieee_div_zero 0
		.amdhsa_exception_fp_ieee_overflow 0
		.amdhsa_exception_fp_ieee_underflow 0
		.amdhsa_exception_fp_ieee_inexact 0
		.amdhsa_exception_int_div_zero 0
	.end_amdhsa_kernel
	.section	.text._ZL25flash_attn_mask_to_KV_maxILi2EEvPK7__half2Piiii,"axG",@progbits,_ZL25flash_attn_mask_to_KV_maxILi2EEvPK7__half2Piiii,comdat
.Lfunc_end1:
	.size	_ZL25flash_attn_mask_to_KV_maxILi2EEvPK7__half2Piiii, .Lfunc_end1-_ZL25flash_attn_mask_to_KV_maxILi2EEvPK7__half2Piiii
                                        ; -- End function
	.section	.AMDGPU.csdata,"",@progbits
; Kernel info:
; codeLenInByte = 584
; NumSgprs: 18
; NumVgprs: 7
; ScratchSize: 0
; MemoryBound: 0
; FloatMode: 240
; IeeeMode: 1
; LDSByteSize: 128 bytes/workgroup (compile time only)
; SGPRBlocks: 2
; VGPRBlocks: 0
; NumSGPRsForWavesPerEU: 18
; NumVGPRsForWavesPerEU: 7
; Occupancy: 16
; WaveLimiterHint : 0
; COMPUTE_PGM_RSRC2:SCRATCH_EN: 0
; COMPUTE_PGM_RSRC2:USER_SGPR: 14
; COMPUTE_PGM_RSRC2:TRAP_HANDLER: 0
; COMPUTE_PGM_RSRC2:TGID_X_EN: 1
; COMPUTE_PGM_RSRC2:TGID_Y_EN: 1
; COMPUTE_PGM_RSRC2:TGID_Z_EN: 0
; COMPUTE_PGM_RSRC2:TIDIG_COMP_CNT: 0
	.section	.text._ZL33flash_attn_stream_k_fixup_uniformILi512ELi2ELi16EEvPfPK15HIP_vector_typeIfLj2EEiiiiiiS1_IjLj3EES5_S5_,"axG",@progbits,_ZL33flash_attn_stream_k_fixup_uniformILi512ELi2ELi16EEvPfPK15HIP_vector_typeIfLj2EEiiiiiiS1_IjLj3EES5_S5_,comdat
	.globl	_ZL33flash_attn_stream_k_fixup_uniformILi512ELi2ELi16EEvPfPK15HIP_vector_typeIfLj2EEiiiiiiS1_IjLj3EES5_S5_ ; -- Begin function _ZL33flash_attn_stream_k_fixup_uniformILi512ELi2ELi16EEvPfPK15HIP_vector_typeIfLj2EEiiiiiiS1_IjLj3EES5_S5_
	.p2align	8
	.type	_ZL33flash_attn_stream_k_fixup_uniformILi512ELi2ELi16EEvPfPK15HIP_vector_typeIfLj2EEiiiiiiS1_IjLj3EES5_S5_,@function
_ZL33flash_attn_stream_k_fixup_uniformILi512ELi2ELi16EEvPfPK15HIP_vector_typeIfLj2EEiiiiiiS1_IjLj3EES5_S5_: ; @_ZL33flash_attn_stream_k_fixup_uniformILi512ELi2ELi16EEvPfPK15HIP_vector_typeIfLj2EEiiiiiiS1_IjLj3EES5_S5_
; %bb.0:
	s_clause 0x1
	s_load_b256 s[4:11], s[0:1], 0x1c
	s_load_b128 s[16:19], s[0:1], 0x3c
	s_waitcnt lgkmcnt(0)
	s_mul_hi_u32 s2, s7, s13
	s_delay_alu instid0(SALU_CYCLE_1) | instskip(NEXT) | instid1(SALU_CYCLE_1)
	s_add_i32 s2, s13, s2
	s_lshr_b32 s2, s2, s8
	s_delay_alu instid0(SALU_CYCLE_1) | instskip(SKIP_2) | instid1(SALU_CYCLE_1)
	s_mul_i32 s3, s2, s9
	s_load_b64 s[8:9], s[0:1], 0x10
	s_sub_i32 s7, s13, s3
	s_mul_hi_u32 s3, s7, s10
	s_delay_alu instid0(SALU_CYCLE_1) | instskip(NEXT) | instid1(SALU_CYCLE_1)
	s_add_i32 s3, s7, s3
	s_lshr_b32 s3, s3, s11
	s_delay_alu instid0(SALU_CYCLE_1) | instskip(NEXT) | instid1(SALU_CYCLE_1)
	s_mul_i32 s10, s3, s16
	s_sub_i32 s7, s7, s10
	s_delay_alu instid0(SALU_CYCLE_1) | instskip(NEXT) | instid1(SALU_CYCLE_1)
	s_mul_hi_u32 s10, s7, s17
	s_add_i32 s10, s7, s10
	s_delay_alu instid0(SALU_CYCLE_1) | instskip(NEXT) | instid1(SALU_CYCLE_1)
	s_lshr_b32 s10, s10, s18
	s_mul_i32 s11, s10, s19
	s_lshl_b32 s10, s10, 4
	s_sub_i32 s7, s7, s11
	s_delay_alu instid0(SALU_CYCLE_1) | instskip(NEXT) | instid1(SALU_CYCLE_1)
	s_lshl_b32 s11, s7, 1
	s_add_i32 s11, s11, s14
	s_waitcnt lgkmcnt(0)
	s_cmp_lt_i32 s11, s8
	s_cselect_b32 s11, -1, 0
	s_add_i32 s12, s10, s15
	s_delay_alu instid0(SALU_CYCLE_1) | instskip(SKIP_1) | instid1(SALU_CYCLE_1)
	s_cmp_lt_i32 s12, s5
	s_cselect_b32 s12, -1, 0
	s_and_b32 s11, s11, s12
	s_delay_alu instid0(SALU_CYCLE_1)
	s_and_not1_b32 vcc_lo, exec_lo, s11
	s_cbranch_vccnz .LBB2_6
; %bb.1:
	s_mul_i32 s2, s2, s8
	s_mul_i32 s5, s3, s5
	s_add_i32 s2, s2, s14
	s_mul_i32 s7, s9, s7
	s_mul_i32 s2, s2, s9
	s_lshl_b32 s7, s7, 10
	s_add_i32 s8, s2, s15
	s_load_b128 s[0:3], s[0:1], 0x0
	s_add_i32 s5, s8, s5
	s_lshl_b32 s9, s14, 4
	s_add_i32 s5, s5, s10
	s_delay_alu instid0(SALU_CYCLE_1) | instskip(NEXT) | instid1(SALU_CYCLE_1)
	s_lshl_b32 s5, s5, 9
	s_add_i32 s7, s7, s5
	s_mul_i32 s5, s13, s6
	v_or_b32_e32 v1, s7, v0
	s_add_i32 s10, s5, s6
	s_delay_alu instid0(VALU_DEP_1) | instskip(NEXT) | instid1(VALU_DEP_1)
	v_ashrrev_i32_e32 v2, 31, v1
	v_lshlrev_b64 v[1:2], 2, v[1:2]
	s_waitcnt lgkmcnt(0)
	s_delay_alu instid0(VALU_DEP_1) | instskip(NEXT) | instid1(VALU_DEP_2)
	v_add_co_u32 v1, vcc_lo, s0, v1
	v_add_co_ci_u32_e32 v2, vcc_lo, s1, v2, vcc_lo
	s_add_i32 s0, s9, s15
	s_lshl_b32 s1, s10, 5
	s_delay_alu instid0(SALU_CYCLE_1) | instskip(SKIP_2) | instid1(SALU_CYCLE_1)
	s_add_i32 s0, s0, s1
	global_load_b32 v5, v[1:2], off
	s_sub_i32 s0, s0, 32
	s_ashr_i32 s1, s0, 31
	s_delay_alu instid0(SALU_CYCLE_1) | instskip(NEXT) | instid1(SALU_CYCLE_1)
	s_lshl_b64 s[0:1], s[0:1], 3
	s_add_u32 s0, s2, s0
	s_addc_u32 s1, s3, s1
	s_add_i32 s7, s10, -2
	s_load_b32 s11, s[0:1], 0x4
	s_cmp_lt_i32 s7, s5
	s_cbranch_scc1 .LBB2_4
; %bb.2:
	s_lshl_b32 s16, s4, 7
	s_load_b32 s12, s[0:1], 0x0
	s_ashr_i32 s17, s16, 31
	s_delay_alu instid0(SALU_CYCLE_1) | instskip(NEXT) | instid1(SALU_CYCLE_1)
	s_lshl_b64 s[0:1], s[16:17], 2
	s_add_u32 s7, s2, s0
	s_addc_u32 s8, s3, s1
	s_add_i32 s13, s13, 1
	s_lshl_b32 s0, s14, 13
	s_lshl_b32 s1, s15, 9
	s_mul_i32 s6, s6, s13
	s_add_i32 s0, s1, s0
	s_lshl_b32 s1, s6, 14
	s_delay_alu instid0(SALU_CYCLE_1)
	s_add_i32 s0, s0, s1
	s_lshl_b32 s1, s6, 5
	v_or_b32_e32 v0, s0, v0
	s_lshl_b32 s0, s4, 5
	s_add_i32 s1, s15, s1
	s_waitcnt lgkmcnt(0)
	v_mov_b32_e32 v6, s11
	s_add_i32 s0, s1, s0
	v_dual_mov_b32 v0, s12 :: v_dual_add_nc_u32 v3, 0xffff8000, v0
	s_add_i32 s0, s0, s9
	s_add_i32 s4, s10, -1
	s_sub_i32 s0, s0, 64
.LBB2_3:                                ; =>This Inner Loop Header: Depth=1
	s_delay_alu instid0(VALU_DEP_1) | instskip(SKIP_1) | instid1(SALU_CYCLE_1)
	v_ashrrev_i32_e32 v4, 31, v3
	s_ashr_i32 s1, s0, 31
	s_lshl_b64 s[10:11], s[0:1], 3
	s_delay_alu instid0(SALU_CYCLE_1) | instskip(NEXT) | instid1(VALU_DEP_1)
	s_add_u32 s10, s2, s10
	v_lshlrev_b64 v[7:8], 2, v[3:4]
	s_addc_u32 s11, s3, s11
	s_add_i32 s4, s4, -1
	s_sub_i32 s0, s0, 32
	s_cmp_le_i32 s4, s5
	s_load_b64 s[10:11], s[10:11], 0x0
	v_add_co_u32 v7, vcc_lo, s7, v7
	v_add_co_ci_u32_e32 v8, vcc_lo, s8, v8, vcc_lo
	global_load_b32 v4, v[7:8], off
	v_max_f32_e32 v7, v0, v0
	s_waitcnt lgkmcnt(0)
	v_max_f32_e64 v8, s10, s10
	s_delay_alu instid0(VALU_DEP_1) | instskip(NEXT) | instid1(VALU_DEP_1)
	v_max_f32_e32 v7, v7, v8
	v_sub_f32_e32 v8, s10, v7
	s_delay_alu instid0(VALU_DEP_1) | instskip(NEXT) | instid1(VALU_DEP_1)
	v_dual_sub_f32 v0, v0, v7 :: v_dual_mul_f32 v9, 0x3fb8aa3b, v8
	v_fma_f32 v10, 0x3fb8aa3b, v8, -v9
	v_rndne_f32_e32 v11, v9
	s_delay_alu instid0(VALU_DEP_3) | instskip(NEXT) | instid1(VALU_DEP_2)
	v_mul_f32_e32 v12, 0x3fb8aa3b, v0
	v_dual_fmac_f32 v10, 0x32a5705f, v8 :: v_dual_sub_f32 v9, v9, v11
	v_cvt_i32_f32_e32 v11, v11
	s_delay_alu instid0(VALU_DEP_3) | instskip(SKIP_1) | instid1(VALU_DEP_4)
	v_fma_f32 v13, 0x3fb8aa3b, v0, -v12
	v_rndne_f32_e32 v14, v12
	v_add_f32_e32 v9, v9, v10
	v_cmp_ngt_f32_e32 vcc_lo, 0xc2ce8ed0, v8
	s_delay_alu instid0(VALU_DEP_3) | instskip(NEXT) | instid1(VALU_DEP_3)
	v_sub_f32_e32 v10, v12, v14
	v_exp_f32_e32 v9, v9
	s_waitcnt_depctr 0xfff
	v_ldexp_f32 v9, v9, v11
	v_cvt_i32_f32_e32 v11, v14
	s_delay_alu instid0(VALU_DEP_2) | instskip(SKIP_1) | instid1(VALU_DEP_2)
	v_cndmask_b32_e32 v9, 0, v9, vcc_lo
	v_cmp_nlt_f32_e32 vcc_lo, 0x42b17218, v8
	v_cndmask_b32_e32 v9, 0x7f800000, v9, vcc_lo
	v_cmp_ngt_f32_e32 vcc_lo, 0xc2ce8ed0, v0
	v_fmac_f32_e32 v13, 0x32a5705f, v0
	s_delay_alu instid0(VALU_DEP_1) | instskip(NEXT) | instid1(VALU_DEP_1)
	v_add_f32_e32 v10, v10, v13
	v_exp_f32_e32 v10, v10
	s_waitcnt_depctr 0xfff
	v_ldexp_f32 v10, v10, v11
	s_delay_alu instid0(VALU_DEP_1)
	v_dual_mov_b32 v11, v6 :: v_dual_cndmask_b32 v10, 0, v10
	v_cmp_le_f32_e32 vcc_lo, 0xc1a00000, v8
	s_waitcnt vmcnt(1)
	v_dual_cndmask_b32 v8, 0, v9 :: v_dual_mov_b32 v9, v5
	v_cmp_nlt_f32_e32 vcc_lo, 0x42b17218, v0
	v_cndmask_b32_e32 v5, 0x7f800000, v10, vcc_lo
	s_delay_alu instid0(VALU_DEP_3) | instskip(SKIP_2) | instid1(VALU_DEP_3)
	v_mul_f32_e32 v10, s11, v8
	v_cmp_le_f32_e32 vcc_lo, 0xc1a00000, v0
	v_mov_b32_e32 v0, v7
	v_mov_b32_e32 v6, v10
	s_waitcnt vmcnt(0)
	v_dual_cndmask_b32 v12, 0, v5 :: v_dual_mul_f32 v5, v4, v8
	s_delay_alu instid0(VALU_DEP_1) | instskip(NEXT) | instid1(VALU_DEP_2)
	v_dual_fmac_f32 v6, v11, v12 :: v_dual_add_nc_u32 v3, 0xffffc000, v3
	v_fmac_f32_e32 v5, v9, v12
	s_cbranch_scc0 .LBB2_3
	s_branch .LBB2_5
.LBB2_4:
	s_waitcnt lgkmcnt(0)
	v_mov_b32_e32 v6, s11
.LBB2_5:
	s_waitcnt vmcnt(0)
	s_delay_alu instid0(VALU_DEP_1) | instskip(NEXT) | instid1(VALU_DEP_1)
	v_div_scale_f32 v0, null, v6, v6, v5
	v_rcp_f32_e32 v3, v0
	s_waitcnt_depctr 0xfff
	v_fma_f32 v4, -v0, v3, 1.0
	s_delay_alu instid0(VALU_DEP_1) | instskip(SKIP_1) | instid1(VALU_DEP_1)
	v_fmac_f32_e32 v3, v4, v3
	v_div_scale_f32 v4, vcc_lo, v5, v6, v5
	v_mul_f32_e32 v7, v4, v3
	s_delay_alu instid0(VALU_DEP_1) | instskip(NEXT) | instid1(VALU_DEP_1)
	v_fma_f32 v8, -v0, v7, v4
	v_fmac_f32_e32 v7, v8, v3
	s_delay_alu instid0(VALU_DEP_1) | instskip(NEXT) | instid1(VALU_DEP_1)
	v_fma_f32 v0, -v0, v7, v4
	v_div_fmas_f32 v0, v0, v3, v7
	s_delay_alu instid0(VALU_DEP_1)
	v_div_fixup_f32 v0, v0, v6, v5
	global_store_b32 v[1:2], v0, off
.LBB2_6:
	s_nop 0
	s_sendmsg sendmsg(MSG_DEALLOC_VGPRS)
	s_endpgm
	.section	.rodata,"a",@progbits
	.p2align	6, 0x0
	.amdhsa_kernel _ZL33flash_attn_stream_k_fixup_uniformILi512ELi2ELi16EEvPfPK15HIP_vector_typeIfLj2EEiiiiiiS1_IjLj3EES5_S5_
		.amdhsa_group_segment_fixed_size 0
		.amdhsa_private_segment_fixed_size 0
		.amdhsa_kernarg_size 76
		.amdhsa_user_sgpr_count 13
		.amdhsa_user_sgpr_dispatch_ptr 0
		.amdhsa_user_sgpr_queue_ptr 0
		.amdhsa_user_sgpr_kernarg_segment_ptr 1
		.amdhsa_user_sgpr_dispatch_id 0
		.amdhsa_user_sgpr_private_segment_size 0
		.amdhsa_wavefront_size32 1
		.amdhsa_uses_dynamic_stack 0
		.amdhsa_enable_private_segment 0
		.amdhsa_system_sgpr_workgroup_id_x 1
		.amdhsa_system_sgpr_workgroup_id_y 1
		.amdhsa_system_sgpr_workgroup_id_z 1
		.amdhsa_system_sgpr_workgroup_info 0
		.amdhsa_system_vgpr_workitem_id 0
		.amdhsa_next_free_vgpr 15
		.amdhsa_next_free_sgpr 20
		.amdhsa_reserve_vcc 1
		.amdhsa_float_round_mode_32 0
		.amdhsa_float_round_mode_16_64 0
		.amdhsa_float_denorm_mode_32 3
		.amdhsa_float_denorm_mode_16_64 3
		.amdhsa_dx10_clamp 1
		.amdhsa_ieee_mode 1
		.amdhsa_fp16_overflow 0
		.amdhsa_workgroup_processor_mode 1
		.amdhsa_memory_ordered 1
		.amdhsa_forward_progress 0
		.amdhsa_shared_vgpr_count 0
		.amdhsa_exception_fp_ieee_invalid_op 0
		.amdhsa_exception_fp_denorm_src 0
		.amdhsa_exception_fp_ieee_div_zero 0
		.amdhsa_exception_fp_ieee_overflow 0
		.amdhsa_exception_fp_ieee_underflow 0
		.amdhsa_exception_fp_ieee_inexact 0
		.amdhsa_exception_int_div_zero 0
	.end_amdhsa_kernel
	.section	.text._ZL33flash_attn_stream_k_fixup_uniformILi512ELi2ELi16EEvPfPK15HIP_vector_typeIfLj2EEiiiiiiS1_IjLj3EES5_S5_,"axG",@progbits,_ZL33flash_attn_stream_k_fixup_uniformILi512ELi2ELi16EEvPfPK15HIP_vector_typeIfLj2EEiiiiiiS1_IjLj3EES5_S5_,comdat
.Lfunc_end2:
	.size	_ZL33flash_attn_stream_k_fixup_uniformILi512ELi2ELi16EEvPfPK15HIP_vector_typeIfLj2EEiiiiiiS1_IjLj3EES5_S5_, .Lfunc_end2-_ZL33flash_attn_stream_k_fixup_uniformILi512ELi2ELi16EEvPfPK15HIP_vector_typeIfLj2EEiiiiiiS1_IjLj3EES5_S5_
                                        ; -- End function
	.section	.AMDGPU.csdata,"",@progbits
; Kernel info:
; codeLenInByte = 996
; NumSgprs: 22
; NumVgprs: 15
; ScratchSize: 0
; MemoryBound: 0
; FloatMode: 240
; IeeeMode: 1
; LDSByteSize: 0 bytes/workgroup (compile time only)
; SGPRBlocks: 2
; VGPRBlocks: 1
; NumSGPRsForWavesPerEU: 22
; NumVGPRsForWavesPerEU: 15
; Occupancy: 16
; WaveLimiterHint : 0
; COMPUTE_PGM_RSRC2:SCRATCH_EN: 0
; COMPUTE_PGM_RSRC2:USER_SGPR: 13
; COMPUTE_PGM_RSRC2:TRAP_HANDLER: 0
; COMPUTE_PGM_RSRC2:TGID_X_EN: 1
; COMPUTE_PGM_RSRC2:TGID_Y_EN: 1
; COMPUTE_PGM_RSRC2:TGID_Z_EN: 1
; COMPUTE_PGM_RSRC2:TIDIG_COMP_CNT: 0
	.section	.text._ZL33flash_attn_stream_k_fixup_generalILi512ELi2ELi16EEvPfPK15HIP_vector_typeIfLj2EEiiiiS1_IjLj3EES5_S5_S5_,"axG",@progbits,_ZL33flash_attn_stream_k_fixup_generalILi512ELi2ELi16EEvPfPK15HIP_vector_typeIfLj2EEiiiiS1_IjLj3EES5_S5_S5_,comdat
	.globl	_ZL33flash_attn_stream_k_fixup_generalILi512ELi2ELi16EEvPfPK15HIP_vector_typeIfLj2EEiiiiS1_IjLj3EES5_S5_S5_ ; -- Begin function _ZL33flash_attn_stream_k_fixup_generalILi512ELi2ELi16EEvPfPK15HIP_vector_typeIfLj2EEiiiiS1_IjLj3EES5_S5_S5_
	.p2align	8
	.type	_ZL33flash_attn_stream_k_fixup_generalILi512ELi2ELi16EEvPfPK15HIP_vector_typeIfLj2EEiiiiS1_IjLj3EES5_S5_S5_,@function
_ZL33flash_attn_stream_k_fixup_generalILi512ELi2ELi16EEvPfPK15HIP_vector_typeIfLj2EEiiiiS1_IjLj3EES5_S5_S5_: ; @_ZL33flash_attn_stream_k_fixup_generalILi512ELi2ELi16EEvPfPK15HIP_vector_typeIfLj2EEiiiiS1_IjLj3EES5_S5_S5_
; %bb.0:
	s_clause 0x1
	s_load_b128 s[4:7], s[0:1], 0x10
	s_load_b32 s20, s[0:1], 0x50
	s_mov_b32 s2, 0
	s_waitcnt lgkmcnt(0)
	s_mul_hi_i32 s3, s7, s13
	s_mul_i32 s12, s7, s13
	s_cmp_lg_u64 s[2:3], 0
	s_cbranch_scc0 .LBB3_21
; %bb.1:
	v_cvt_f32_ubyte0_e32 v1, 0
	v_cvt_f32_u32_e32 v2, s20
	s_sub_u32 s10, 0, s20
	s_subb_u32 s11, 0, 0
	s_delay_alu instid0(VALU_DEP_1) | instskip(NEXT) | instid1(VALU_DEP_1)
	v_fmamk_f32 v1, v1, 0x4f800000, v2
	v_rcp_f32_e32 v1, v1
	s_waitcnt_depctr 0xfff
	v_mul_f32_e32 v1, 0x5f7ffffc, v1
	s_delay_alu instid0(VALU_DEP_1) | instskip(NEXT) | instid1(VALU_DEP_1)
	v_mul_f32_e32 v2, 0x2f800000, v1
	v_trunc_f32_e32 v2, v2
	s_delay_alu instid0(VALU_DEP_1) | instskip(SKIP_1) | instid1(VALU_DEP_2)
	v_fmamk_f32 v1, v2, 0xcf800000, v1
	v_cvt_u32_f32_e32 v2, v2
	v_cvt_u32_f32_e32 v1, v1
	s_delay_alu instid0(VALU_DEP_2) | instskip(NEXT) | instid1(VALU_DEP_2)
	v_readfirstlane_b32 s8, v2
	v_readfirstlane_b32 s9, v1
	s_delay_alu instid0(VALU_DEP_2) | instskip(NEXT) | instid1(VALU_DEP_1)
	s_mul_i32 s16, s10, s8
	s_mul_hi_u32 s18, s10, s9
	s_mul_i32 s17, s11, s9
	s_add_i32 s16, s18, s16
	s_mul_i32 s19, s10, s9
	s_add_i32 s16, s16, s17
	s_mul_hi_u32 s18, s9, s19
	s_mul_hi_u32 s21, s8, s19
	s_mul_i32 s17, s8, s19
	s_mul_hi_u32 s19, s9, s16
	s_mul_i32 s9, s9, s16
	s_mul_hi_u32 s22, s8, s16
	s_add_u32 s9, s18, s9
	s_addc_u32 s18, 0, s19
	s_add_u32 s9, s9, s17
	s_mul_i32 s16, s8, s16
	s_addc_u32 s9, s18, s21
	s_addc_u32 s17, s22, 0
	s_add_u32 s9, s9, s16
	s_addc_u32 s16, 0, s17
	v_add_co_u32 v1, s9, v1, s9
	s_delay_alu instid0(VALU_DEP_1) | instskip(SKIP_1) | instid1(VALU_DEP_1)
	s_cmp_lg_u32 s9, 0
	s_addc_u32 s8, s8, s16
	v_readfirstlane_b32 s9, v1
	s_mul_i32 s16, s10, s8
	s_delay_alu instid0(VALU_DEP_1)
	s_mul_hi_u32 s17, s10, s9
	s_mul_i32 s11, s11, s9
	s_add_i32 s16, s17, s16
	s_mul_i32 s10, s10, s9
	s_add_i32 s16, s16, s11
	s_mul_hi_u32 s17, s8, s10
	s_mul_i32 s18, s8, s10
	s_mul_hi_u32 s10, s9, s10
	s_mul_hi_u32 s19, s9, s16
	s_mul_i32 s9, s9, s16
	s_mul_hi_u32 s11, s8, s16
	s_add_u32 s9, s10, s9
	s_addc_u32 s10, 0, s19
	s_add_u32 s9, s9, s18
	s_mul_i32 s16, s8, s16
	s_addc_u32 s9, s10, s17
	s_addc_u32 s10, s11, 0
	s_add_u32 s9, s9, s16
	s_addc_u32 s10, 0, s10
	v_add_co_u32 v1, s9, v1, s9
	s_delay_alu instid0(VALU_DEP_1) | instskip(SKIP_2) | instid1(SALU_CYCLE_1)
	s_cmp_lg_u32 s9, 0
	s_addc_u32 s16, s8, s10
	s_ashr_i32 s8, s3, 31
	s_add_u32 s10, s12, s8
	s_addc_u32 s11, s3, s8
	v_readfirstlane_b32 s3, v1
	s_mov_b32 s9, s8
	s_delay_alu instid0(SALU_CYCLE_1) | instskip(NEXT) | instid1(SALU_CYCLE_1)
	s_xor_b64 s[10:11], s[10:11], s[8:9]
	s_mul_i32 s18, s10, s16
	s_delay_alu instid0(VALU_DEP_1)
	s_mul_hi_u32 s19, s10, s3
	s_mul_hi_u32 s17, s10, s16
	;; [unrolled: 1-line block ×3, first 2 shown]
	s_mul_i32 s3, s11, s3
	s_add_u32 s18, s19, s18
	s_addc_u32 s17, 0, s17
	s_mul_hi_u32 s21, s11, s16
	s_add_u32 s3, s18, s3
	s_mul_i32 s16, s11, s16
	s_addc_u32 s3, s17, s22
	s_addc_u32 s17, s21, 0
	s_add_u32 s3, s3, s16
	s_addc_u32 s16, 0, s17
	s_mul_i32 s18, s20, s3
	s_add_u32 s17, s3, 1
	v_sub_co_u32 v1, s10, s10, s18
	s_mul_hi_u32 s18, s20, s3
	s_addc_u32 s19, s16, 0
	s_mul_i32 s21, s20, s16
	s_delay_alu instid0(VALU_DEP_1)
	v_sub_co_u32 v2, s22, v1, s20
	s_add_u32 s23, s3, 2
	s_addc_u32 s24, s16, 0
	s_add_i32 s18, s18, s21
	s_cmp_lg_u32 s10, 0
	v_readfirstlane_b32 s10, v2
	s_subb_u32 s11, s11, s18
	s_cmp_lg_u32 s22, 0
	s_subb_u32 s18, s11, 0
	s_delay_alu instid0(VALU_DEP_1) | instskip(SKIP_4) | instid1(SALU_CYCLE_1)
	s_cmp_ge_u32 s10, s20
	s_cselect_b32 s10, -1, 0
	s_cmp_eq_u32 s18, 0
	v_readfirstlane_b32 s18, v1
	s_cselect_b32 s10, s10, -1
	s_cmp_lg_u32 s10, 0
	s_cselect_b32 s10, s23, s17
	s_cselect_b32 s17, s24, s19
	s_cmp_ge_u32 s18, s20
	s_cselect_b32 s18, -1, 0
	s_cmp_eq_u32 s11, 0
	s_cselect_b32 s11, s18, -1
	s_delay_alu instid0(SALU_CYCLE_1) | instskip(SKIP_2) | instid1(SALU_CYCLE_1)
	s_cmp_lg_u32 s11, 0
	s_cselect_b32 s11, s17, s16
	s_cselect_b32 s10, s10, s3
	s_xor_b64 s[10:11], s[10:11], s[8:9]
	s_delay_alu instid0(SALU_CYCLE_1)
	s_sub_u32 s16, s10, s8
	s_load_b128 s[8:11], s[0:1], 0x44
	s_and_not1_b32 vcc_lo, exec_lo, s2
	s_cbranch_vccnz .LBB3_3
.LBB3_2:
	v_cvt_f32_u32_e32 v1, s20
	s_sub_i32 s3, 0, s20
	s_delay_alu instid0(VALU_DEP_1) | instskip(SKIP_2) | instid1(VALU_DEP_1)
	v_rcp_iflag_f32_e32 v1, v1
	s_waitcnt_depctr 0xfff
	v_mul_f32_e32 v1, 0x4f7ffffe, v1
	v_cvt_u32_f32_e32 v1, v1
	s_delay_alu instid0(VALU_DEP_1) | instskip(NEXT) | instid1(VALU_DEP_1)
	v_readfirstlane_b32 s2, v1
	s_mul_i32 s3, s3, s2
	s_delay_alu instid0(SALU_CYCLE_1) | instskip(NEXT) | instid1(SALU_CYCLE_1)
	s_mul_hi_u32 s3, s2, s3
	s_add_i32 s2, s2, s3
	s_delay_alu instid0(SALU_CYCLE_1) | instskip(NEXT) | instid1(SALU_CYCLE_1)
	s_mul_hi_u32 s2, s12, s2
	s_mul_i32 s3, s2, s20
	s_waitcnt lgkmcnt(0)
	s_add_i32 s11, s2, 1
	s_sub_i32 s3, s12, s3
	s_delay_alu instid0(SALU_CYCLE_1)
	s_sub_i32 s12, s3, s20
	s_cmp_ge_u32 s3, s20
	s_cselect_b32 s2, s11, s2
	s_cselect_b32 s3, s12, s3
	s_add_i32 s11, s2, 1
	s_cmp_ge_u32 s3, s20
	s_cselect_b32 s16, s11, s2
.LBB3_3:
	s_waitcnt lgkmcnt(0)
	s_add_i32 s11, s13, 1
	s_mov_b32 s2, 0
	s_mul_hi_i32 s3, s7, s11
	s_mul_i32 s11, s7, s11
	s_cmp_lg_u64 s[2:3], 0
	s_cbranch_scc0 .LBB3_22
; %bb.4:
	v_cvt_f32_ubyte0_e32 v1, 0
	v_cvt_f32_u32_e32 v2, s20
	s_sub_u32 s18, 0, s20
	s_subb_u32 s19, 0, 0
	s_delay_alu instid0(VALU_DEP_1) | instskip(NEXT) | instid1(VALU_DEP_1)
	v_fmamk_f32 v1, v1, 0x4f800000, v2
	v_rcp_f32_e32 v1, v1
	s_waitcnt_depctr 0xfff
	v_mul_f32_e32 v1, 0x5f7ffffc, v1
	s_delay_alu instid0(VALU_DEP_1) | instskip(NEXT) | instid1(VALU_DEP_1)
	v_mul_f32_e32 v2, 0x2f800000, v1
	v_trunc_f32_e32 v2, v2
	s_delay_alu instid0(VALU_DEP_1) | instskip(SKIP_1) | instid1(VALU_DEP_2)
	v_fmamk_f32 v1, v2, 0xcf800000, v1
	v_cvt_u32_f32_e32 v2, v2
	v_cvt_u32_f32_e32 v1, v1
	s_delay_alu instid0(VALU_DEP_2) | instskip(NEXT) | instid1(VALU_DEP_2)
	v_readfirstlane_b32 s12, v2
	v_readfirstlane_b32 s17, v1
	s_delay_alu instid0(VALU_DEP_2) | instskip(NEXT) | instid1(VALU_DEP_1)
	s_mul_i32 s21, s18, s12
	s_mul_hi_u32 s23, s18, s17
	s_mul_i32 s22, s19, s17
	s_add_i32 s21, s23, s21
	s_mul_i32 s24, s18, s17
	s_add_i32 s21, s21, s22
	s_mul_hi_u32 s23, s17, s24
	s_mul_hi_u32 s25, s12, s24
	s_mul_i32 s22, s12, s24
	s_mul_hi_u32 s24, s17, s21
	s_mul_i32 s17, s17, s21
	s_mul_hi_u32 s26, s12, s21
	s_add_u32 s17, s23, s17
	s_addc_u32 s23, 0, s24
	s_add_u32 s17, s17, s22
	s_mul_i32 s21, s12, s21
	s_addc_u32 s17, s23, s25
	s_addc_u32 s22, s26, 0
	s_add_u32 s17, s17, s21
	s_addc_u32 s21, 0, s22
	v_add_co_u32 v1, s17, v1, s17
	s_delay_alu instid0(VALU_DEP_1) | instskip(SKIP_1) | instid1(VALU_DEP_1)
	s_cmp_lg_u32 s17, 0
	s_addc_u32 s12, s12, s21
	v_readfirstlane_b32 s17, v1
	s_mul_i32 s21, s18, s12
	s_delay_alu instid0(VALU_DEP_1)
	s_mul_hi_u32 s22, s18, s17
	s_mul_i32 s19, s19, s17
	s_add_i32 s21, s22, s21
	s_mul_i32 s18, s18, s17
	s_add_i32 s21, s21, s19
	s_mul_hi_u32 s22, s12, s18
	s_mul_i32 s23, s12, s18
	s_mul_hi_u32 s18, s17, s18
	s_mul_hi_u32 s24, s17, s21
	s_mul_i32 s17, s17, s21
	s_mul_hi_u32 s19, s12, s21
	s_add_u32 s17, s18, s17
	s_addc_u32 s18, 0, s24
	s_add_u32 s17, s17, s23
	s_mul_i32 s21, s12, s21
	s_addc_u32 s17, s18, s22
	s_addc_u32 s18, s19, 0
	s_add_u32 s17, s17, s21
	s_addc_u32 s18, 0, s18
	v_add_co_u32 v1, s17, v1, s17
	s_delay_alu instid0(VALU_DEP_1) | instskip(SKIP_2) | instid1(SALU_CYCLE_1)
	s_cmp_lg_u32 s17, 0
	s_addc_u32 s12, s12, s18
	s_ashr_i32 s18, s3, 31
	s_add_u32 s22, s11, s18
	s_addc_u32 s23, s3, s18
	v_readfirstlane_b32 s3, v1
	s_mov_b32 s19, s18
	s_delay_alu instid0(SALU_CYCLE_1) | instskip(NEXT) | instid1(SALU_CYCLE_1)
	s_xor_b64 s[22:23], s[22:23], s[18:19]
	s_mul_i32 s21, s22, s12
	s_delay_alu instid0(VALU_DEP_1)
	s_mul_hi_u32 s24, s22, s3
	s_mul_hi_u32 s17, s22, s12
	;; [unrolled: 1-line block ×3, first 2 shown]
	s_mul_i32 s3, s23, s3
	s_add_u32 s21, s24, s21
	s_addc_u32 s17, 0, s17
	s_mul_hi_u32 s25, s23, s12
	s_add_u32 s3, s21, s3
	s_mul_i32 s12, s23, s12
	s_addc_u32 s3, s17, s26
	s_addc_u32 s17, s25, 0
	s_add_u32 s3, s3, s12
	s_addc_u32 s12, 0, s17
	s_mul_i32 s21, s20, s3
	s_add_u32 s17, s3, 1
	v_sub_co_u32 v1, s21, s22, s21
	s_mul_hi_u32 s22, s20, s3
	s_addc_u32 s24, s12, 0
	s_mul_i32 s25, s20, s12
	s_delay_alu instid0(VALU_DEP_1)
	v_sub_co_u32 v2, s26, v1, s20
	s_add_u32 s27, s3, 2
	s_addc_u32 s28, s12, 0
	s_add_i32 s22, s22, s25
	s_cmp_lg_u32 s21, 0
	v_readfirstlane_b32 s21, v2
	s_subb_u32 s22, s23, s22
	s_cmp_lg_u32 s26, 0
	s_subb_u32 s23, s22, 0
	s_delay_alu instid0(VALU_DEP_1) | instskip(SKIP_4) | instid1(SALU_CYCLE_1)
	s_cmp_ge_u32 s21, s20
	s_cselect_b32 s21, -1, 0
	s_cmp_eq_u32 s23, 0
	v_readfirstlane_b32 s23, v1
	s_cselect_b32 s21, s21, -1
	s_cmp_lg_u32 s21, 0
	s_cselect_b32 s17, s27, s17
	s_cselect_b32 s21, s28, s24
	s_cmp_ge_u32 s23, s20
	s_cselect_b32 s23, -1, 0
	s_cmp_eq_u32 s22, 0
	s_cselect_b32 s22, s23, -1
	s_delay_alu instid0(SALU_CYCLE_1) | instskip(SKIP_2) | instid1(SALU_CYCLE_1)
	s_cmp_lg_u32 s22, 0
	s_cselect_b32 s23, s21, s12
	s_cselect_b32 s22, s17, s3
	s_xor_b64 s[22:23], s[22:23], s[18:19]
	s_delay_alu instid0(SALU_CYCLE_1)
	s_sub_u32 s18, s22, s18
	s_and_not1_b32 vcc_lo, exec_lo, s2
	s_cbranch_vccnz .LBB3_6
.LBB3_5:
	v_cvt_f32_u32_e32 v1, s20
	s_sub_i32 s3, 0, s20
	s_delay_alu instid0(VALU_DEP_1) | instskip(SKIP_2) | instid1(VALU_DEP_1)
	v_rcp_iflag_f32_e32 v1, v1
	s_waitcnt_depctr 0xfff
	v_mul_f32_e32 v1, 0x4f7ffffe, v1
	v_cvt_u32_f32_e32 v1, v1
	s_delay_alu instid0(VALU_DEP_1) | instskip(NEXT) | instid1(VALU_DEP_1)
	v_readfirstlane_b32 s2, v1
	s_mul_i32 s3, s3, s2
	s_delay_alu instid0(SALU_CYCLE_1) | instskip(NEXT) | instid1(SALU_CYCLE_1)
	s_mul_hi_u32 s3, s2, s3
	s_add_i32 s2, s2, s3
	s_delay_alu instid0(SALU_CYCLE_1) | instskip(NEXT) | instid1(SALU_CYCLE_1)
	s_mul_hi_u32 s2, s11, s2
	s_mul_i32 s3, s2, s20
	s_delay_alu instid0(SALU_CYCLE_1)
	s_sub_i32 s3, s11, s3
	s_add_i32 s11, s2, 1
	s_sub_i32 s12, s3, s20
	s_cmp_ge_u32 s3, s20
	s_cselect_b32 s2, s11, s2
	s_cselect_b32 s3, s12, s3
	s_add_i32 s11, s2, 1
	s_cmp_ge_u32 s3, s20
	s_cselect_b32 s18, s11, s2
.LBB3_6:
	s_delay_alu instid0(SALU_CYCLE_1) | instskip(SKIP_3) | instid1(SALU_CYCLE_1)
	s_cmp_eq_u32 s16, s18
	s_mul_hi_u32 s2, s16, s8
	s_cselect_b32 s3, -1, 0
	s_add_i32 s2, s2, s16
	s_lshr_b32 s11, s2, s9
	s_delay_alu instid0(SALU_CYCLE_1) | instskip(NEXT) | instid1(SALU_CYCLE_1)
	s_mul_i32 s2, s11, s10
	s_cmp_eq_u32 s2, s16
	s_mul_hi_u32 s2, s18, s8
	s_cselect_b32 s12, -1, 0
	s_add_i32 s2, s2, s18
	s_delay_alu instid0(SALU_CYCLE_1) | instskip(NEXT) | instid1(SALU_CYCLE_1)
	s_lshr_b32 s2, s2, s9
	s_cmp_eq_u32 s11, s2
	s_mul_i32 s2, s2, s10
	s_cselect_b32 s17, -1, 0
	s_cmp_lg_u32 s2, s18
	s_cselect_b32 s2, -1, 0
	s_or_b32 s3, s3, s12
	s_and_b32 s2, s17, s2
	s_delay_alu instid0(SALU_CYCLE_1) | instskip(NEXT) | instid1(SALU_CYCLE_1)
	s_or_b32 s2, s3, s2
	s_and_b32 vcc_lo, exec_lo, s2
	s_cbranch_vccnz .LBB3_24
; %bb.7:
	s_load_b256 s[24:31], s[0:1], 0x20
	s_waitcnt lgkmcnt(0)
	s_mul_hi_u32 s2, s16, s24
	s_delay_alu instid0(SALU_CYCLE_1) | instskip(NEXT) | instid1(SALU_CYCLE_1)
	s_add_i32 s2, s2, s16
	s_lshr_b32 s17, s2, s25
	s_load_b32 s2, s[0:1], 0x40
	s_mul_i32 s3, s17, s26
	s_delay_alu instid0(SALU_CYCLE_1) | instskip(NEXT) | instid1(SALU_CYCLE_1)
	s_sub_i32 s3, s16, s3
	s_mul_hi_u32 s12, s3, s27
	s_delay_alu instid0(SALU_CYCLE_1) | instskip(NEXT) | instid1(SALU_CYCLE_1)
	s_add_i32 s12, s3, s12
	s_lshr_b32 s21, s12, s28
	s_delay_alu instid0(SALU_CYCLE_1) | instskip(NEXT) | instid1(SALU_CYCLE_1)
	s_mul_i32 s12, s21, s29
	s_sub_i32 s3, s3, s12
	s_delay_alu instid0(SALU_CYCLE_1) | instskip(NEXT) | instid1(SALU_CYCLE_1)
	s_mul_hi_u32 s12, s3, s30
	s_add_i32 s12, s3, s12
	s_delay_alu instid0(SALU_CYCLE_1)
	s_lshr_b32 s12, s12, s31
	s_waitcnt lgkmcnt(0)
	s_mul_i32 s2, s12, s2
	s_lshl_b32 s23, s12, 4
	s_sub_i32 s2, s3, s2
	s_mov_b32 s12, 0
	s_mul_hi_u32 s3, s2, s8
	s_delay_alu instid0(SALU_CYCLE_1) | instskip(NEXT) | instid1(SALU_CYCLE_1)
	s_add_i32 s2, s2, s3
	s_lshr_b32 s22, s2, s9
	s_delay_alu instid0(SALU_CYCLE_1) | instskip(NEXT) | instid1(SALU_CYCLE_1)
	s_lshl_b32 s2, s22, 1
	s_add_i32 s2, s2, s14
	s_delay_alu instid0(SALU_CYCLE_1) | instskip(SKIP_2) | instid1(SALU_CYCLE_1)
	s_cmp_lt_i32 s2, s4
	s_cselect_b32 s2, -1, 0
	s_add_i32 s3, s23, s15
	s_cmp_lt_i32 s3, s6
	s_cselect_b32 s3, -1, 0
	s_delay_alu instid0(SALU_CYCLE_1) | instskip(NEXT) | instid1(SALU_CYCLE_1)
	s_and_b32 s2, s2, s3
	s_and_not1_b32 vcc_lo, exec_lo, s2
	s_cbranch_vccnz .LBB3_24
; %bb.8:
	s_load_b128 s[0:3], s[0:1], 0x0
	s_lshl_b32 s18, s20, 7
	s_mov_b32 s19, s12
	s_lshl_b32 s24, s14, 4
	s_lshl_b64 s[18:19], s[18:19], 2
	s_mul_i32 s4, s17, s4
	s_add_i32 s17, s24, s15
	s_mul_i32 s21, s21, s6
	v_cvt_f32_ubyte0_e32 v4, 0
	v_cvt_f32_u32_e32 v5, s20
	s_waitcnt lgkmcnt(0)
	s_add_u32 s18, s2, s18
	s_addc_u32 s19, s3, s19
	s_add_i32 s4, s4, s14
	s_delay_alu instid0(SALU_CYCLE_1) | instskip(SKIP_4) | instid1(SALU_CYCLE_1)
	s_mul_i32 s4, s4, s5
	s_mul_i32 s5, s5, s22
	s_add_i32 s4, s4, s15
	s_lshl_b32 s5, s5, 10
	s_add_i32 s4, s4, s21
	s_add_i32 s4, s4, s23
	s_delay_alu instid0(SALU_CYCLE_1) | instskip(NEXT) | instid1(SALU_CYCLE_1)
	s_lshl_b32 s4, s4, 9
	s_add_i32 s5, s5, s4
	s_delay_alu instid0(SALU_CYCLE_1) | instskip(SKIP_1) | instid1(VALU_DEP_2)
	v_or_b32_e32 v1, s5, v0
	v_lshl_or_b32 v0, s17, 9, v0
	v_ashrrev_i32_e32 v2, 31, v1
	s_delay_alu instid0(VALU_DEP_1) | instskip(NEXT) | instid1(VALU_DEP_1)
	v_lshlrev_b64 v[1:2], 2, v[1:2]
	v_add_co_u32 v1, vcc_lo, s0, v1
	s_delay_alu instid0(VALU_DEP_2) | instskip(SKIP_1) | instid1(SALU_CYCLE_1)
	v_add_co_ci_u32_e32 v2, vcc_lo, s1, v2, vcc_lo
	s_lshl_b32 s0, s13, 5
	s_add_i32 s0, s17, s0
	global_load_b32 v3, v[1:2], off
	s_ashr_i32 s1, s0, 31
	s_delay_alu instid0(SALU_CYCLE_1) | instskip(NEXT) | instid1(SALU_CYCLE_1)
	s_lshl_b64 s[0:1], s[0:1], 3
	s_add_u32 s0, s2, s0
	s_addc_u32 s1, s3, s1
	s_add_i32 s14, s13, -1
	s_load_b64 s[0:1], s[0:1], 0x0
	v_fmac_f32_e32 v5, 0x4f800000, v4
	s_sub_i32 s6, 0, s20
	s_waitcnt lgkmcnt(0)
	v_mov_b32_e32 v8, s0
	s_delay_alu instid0(VALU_DEP_2) | instskip(SKIP_2) | instid1(VALU_DEP_2)
	v_rcp_f32_e32 v4, v5
	v_cvt_f32_u32_e32 v5, s20
	v_mov_b32_e32 v7, s1
	v_rcp_iflag_f32_e32 v5, v5
	s_waitcnt_depctr 0xfff
	v_mul_f32_e32 v4, 0x5f7ffffc, v4
	s_delay_alu instid0(VALU_DEP_1) | instskip(SKIP_1) | instid1(VALU_DEP_2)
	v_mul_f32_e32 v6, 0x2f800000, v4
	v_mul_f32_e32 v9, 0x4f7ffffe, v5
	v_trunc_f32_e32 v6, v6
	s_delay_alu instid0(VALU_DEP_1) | instskip(SKIP_1) | instid1(VALU_DEP_4)
	v_fmac_f32_e32 v4, 0xcf800000, v6
	v_cvt_u32_f32_e32 v5, v6
	v_cvt_u32_f32_e32 v6, v9
	s_delay_alu instid0(VALU_DEP_3)
	v_cvt_u32_f32_e32 v4, v4
.LBB3_9:                                ; =>This Inner Loop Header: Depth=1
	s_mul_hi_i32 s13, s14, s7
	s_mul_i32 s4, s14, s7
	s_cmp_lg_u64 s[12:13], 0
	s_mov_b32 s5, -1
                                        ; implicit-def: $sgpr0_sgpr1
	s_cbranch_scc0 .LBB3_11
; %bb.10:                               ;   in Loop: Header=BB3_9 Depth=1
	v_readfirstlane_b32 s0, v4
	v_readfirstlane_b32 s1, v5
	s_sub_u32 s5, 0, s20
	s_subb_u32 s15, 0, 0
	s_delay_alu instid0(VALU_DEP_2) | instskip(NEXT) | instid1(VALU_DEP_1)
	s_mul_hi_u32 s21, s5, s0
	s_mul_i32 s22, s5, s1
	s_mul_i32 s23, s15, s0
	s_add_i32 s21, s21, s22
	s_mul_i32 s22, s5, s0
	s_add_i32 s21, s21, s23
	s_mul_hi_u32 s23, s0, s22
	s_mul_i32 s24, s0, s21
	s_mul_hi_u32 s0, s0, s21
	s_add_u32 s23, s23, s24
	s_mul_i32 s25, s1, s22
	s_addc_u32 s0, 0, s0
	s_mul_hi_u32 s22, s1, s22
	s_mul_hi_u32 s24, s1, s21
	s_add_u32 s23, s23, s25
	s_addc_u32 s0, s0, s22
	s_mul_i32 s21, s1, s21
	s_addc_u32 s22, s24, 0
	s_add_u32 s0, s0, s21
	s_addc_u32 s21, 0, s22
	v_add_co_u32 v9, s0, v4, s0
	s_delay_alu instid0(VALU_DEP_1) | instskip(SKIP_1) | instid1(VALU_DEP_1)
	s_cmp_lg_u32 s0, 0
	s_addc_u32 s1, s1, s21
	v_readfirstlane_b32 s0, v9
	s_mul_i32 s21, s5, s1
	s_delay_alu instid0(VALU_DEP_1)
	s_mul_hi_u32 s22, s5, s0
	s_mul_i32 s15, s15, s0
	s_add_i32 s21, s22, s21
	s_mul_i32 s5, s5, s0
	s_add_i32 s21, s21, s15
	s_mul_hi_u32 s15, s1, s5
	s_mul_i32 s23, s1, s5
	s_mul_i32 s24, s0, s21
	s_mul_hi_u32 s5, s0, s5
	s_mul_hi_u32 s0, s0, s21
	s_add_u32 s5, s5, s24
	s_addc_u32 s0, 0, s0
	s_mul_hi_u32 s22, s1, s21
	s_add_u32 s5, s5, s23
	s_addc_u32 s0, s0, s15
	s_mul_i32 s5, s1, s21
	s_addc_u32 s15, s22, 0
	s_add_u32 s0, s0, s5
	s_addc_u32 s5, 0, s15
	v_add_co_u32 v9, s0, v9, s0
	s_delay_alu instid0(VALU_DEP_1) | instskip(SKIP_2) | instid1(SALU_CYCLE_1)
	s_cmp_lg_u32 s0, 0
	s_addc_u32 s5, s1, s5
	s_ashr_i32 s0, s13, 31
	s_add_u32 s22, s4, s0
	s_addc_u32 s23, s13, s0
	v_readfirstlane_b32 s13, v9
	s_mov_b32 s1, s0
	s_delay_alu instid0(SALU_CYCLE_1) | instskip(NEXT) | instid1(SALU_CYCLE_1)
	s_xor_b64 s[22:23], s[22:23], s[0:1]
	s_mul_i32 s15, s22, s5
	s_delay_alu instid0(VALU_DEP_1)
	s_mul_hi_u32 s21, s22, s13
	s_mul_hi_u32 s24, s22, s5
	s_add_u32 s15, s21, s15
	s_mul_i32 s25, s23, s13
	s_addc_u32 s21, 0, s24
	s_mul_hi_u32 s13, s23, s13
	s_mul_hi_u32 s24, s23, s5
	s_add_u32 s15, s15, s25
	s_addc_u32 s13, s21, s13
	s_mul_i32 s5, s23, s5
	s_addc_u32 s15, s24, 0
	s_add_u32 s5, s13, s5
	s_addc_u32 s13, 0, s15
	s_mul_i32 s21, s20, s5
	s_add_u32 s15, s5, 1
	v_sub_co_u32 v9, s21, s22, s21
	s_addc_u32 s22, s13, 0
	s_mul_i32 s25, s20, s13
	s_mul_hi_u32 s27, s20, s5
	s_delay_alu instid0(VALU_DEP_1)
	v_sub_co_u32 v10, s26, v9, s20
	s_add_u32 s24, s5, 2
	s_addc_u32 s28, s13, 0
	s_add_i32 s27, s27, s25
	s_cmp_lg_u32 s21, 0
	v_readfirstlane_b32 s21, v10
	s_subb_u32 s23, s23, s27
	s_cmp_lg_u32 s26, 0
	s_subb_u32 s25, s23, 0
	s_delay_alu instid0(VALU_DEP_1) | instskip(SKIP_4) | instid1(SALU_CYCLE_1)
	s_cmp_ge_u32 s21, s20
	s_cselect_b32 s21, -1, 0
	s_cmp_eq_u32 s25, 0
	v_readfirstlane_b32 s25, v9
	s_cselect_b32 s21, s21, -1
	s_cmp_lg_u32 s21, 0
	s_cselect_b32 s15, s24, s15
	s_cselect_b32 s21, s28, s22
	s_cmp_ge_u32 s25, s20
	s_cselect_b32 s22, -1, 0
	s_cmp_eq_u32 s23, 0
	s_cselect_b32 s22, s22, -1
	s_delay_alu instid0(SALU_CYCLE_1) | instskip(SKIP_4) | instid1(SALU_CYCLE_1)
	s_cmp_lg_u32 s22, 0
	s_cselect_b32 s23, s21, s13
	s_cselect_b32 s22, s15, s5
	s_mov_b32 s5, 0
	s_xor_b64 s[22:23], s[22:23], s[0:1]
	s_sub_u32 s0, s22, s0
.LBB3_11:                               ;   in Loop: Header=BB3_9 Depth=1
	s_and_not1_b32 vcc_lo, exec_lo, s5
	s_cbranch_vccnz .LBB3_13
; %bb.12:                               ;   in Loop: Header=BB3_9 Depth=1
	v_readfirstlane_b32 s0, v6
	s_delay_alu instid0(VALU_DEP_1) | instskip(NEXT) | instid1(SALU_CYCLE_1)
	s_mul_i32 s1, s6, s0
	s_mul_hi_u32 s1, s0, s1
	s_delay_alu instid0(SALU_CYCLE_1) | instskip(NEXT) | instid1(SALU_CYCLE_1)
	s_add_i32 s0, s0, s1
	s_mul_hi_u32 s0, s4, s0
	s_delay_alu instid0(SALU_CYCLE_1) | instskip(NEXT) | instid1(SALU_CYCLE_1)
	s_mul_i32 s1, s0, s20
	s_sub_i32 s1, s4, s1
	s_add_i32 s4, s0, 1
	s_sub_i32 s5, s1, s20
	s_cmp_ge_u32 s1, s20
	s_cselect_b32 s0, s4, s0
	s_cselect_b32 s1, s5, s1
	s_add_i32 s4, s0, 1
	s_cmp_ge_u32 s1, s20
	s_cselect_b32 s0, s4, s0
.LBB3_13:                               ;   in Loop: Header=BB3_9 Depth=1
	s_delay_alu instid0(SALU_CYCLE_1)
	s_cmp_lg_u32 s16, s0
	s_cbranch_scc0 .LBB3_17
; %bb.14:                               ;   in Loop: Header=BB3_9 Depth=1
	s_add_i32 s1, s14, s20
	s_mov_b32 s5, s12
	s_lshl_b32 s1, s1, 5
	s_mov_b32 s15, s16
	s_add_i32 s4, s1, s17
	s_mul_hi_u32 s1, s0, s8
	s_lshl_b64 s[4:5], s[4:5], 3
	s_delay_alu instid0(SALU_CYCLE_1) | instskip(SKIP_2) | instid1(SALU_CYCLE_1)
	s_add_u32 s4, s2, s4
	s_addc_u32 s5, s3, s5
	s_add_i32 s1, s1, s0
	s_lshr_b32 s1, s1, s9
	s_delay_alu instid0(SALU_CYCLE_1) | instskip(NEXT) | instid1(SALU_CYCLE_1)
	s_mul_i32 s13, s1, s10
	s_cmp_eq_u32 s13, s0
	s_cselect_b32 s13, -1, 0
	s_cmp_lt_u32 s1, s11
	s_cselect_b32 s1, -1, 0
	s_delay_alu instid0(SALU_CYCLE_1)
	s_or_b32 s1, s1, s13
	s_mov_b32 s13, -1
	s_and_b32 vcc_lo, exec_lo, s1
	s_mov_b32 s1, s14
	s_cbranch_vccnz .LBB3_16
; %bb.15:                               ;   in Loop: Header=BB3_9 Depth=1
	s_add_i32 s1, s14, -1
	s_mov_b32 s13, 0
	s_mov_b32 s15, s0
.LBB3_16:                               ;   in Loop: Header=BB3_9 Depth=1
	v_lshl_add_u32 v9, s14, 14, v0
	s_load_b64 s[4:5], s[4:5], 0x0
	s_delay_alu instid0(VALU_DEP_1) | instskip(NEXT) | instid1(VALU_DEP_1)
	v_ashrrev_i32_e32 v10, 31, v9
	v_lshlrev_b64 v[9:10], 2, v[9:10]
	s_delay_alu instid0(VALU_DEP_1) | instskip(NEXT) | instid1(VALU_DEP_2)
	v_add_co_u32 v9, vcc_lo, s18, v9
	v_add_co_ci_u32_e32 v10, vcc_lo, s19, v10, vcc_lo
	s_waitcnt lgkmcnt(0)
	v_max_f32_e64 v11, s4, s4
	global_load_b32 v10, v[9:10], off
	v_max_f32_e32 v9, v8, v8
	s_delay_alu instid0(VALU_DEP_1) | instskip(NEXT) | instid1(VALU_DEP_1)
	v_max_f32_e32 v9, v9, v11
	v_sub_f32_e32 v12, v8, v9
	s_delay_alu instid0(VALU_DEP_1) | instskip(NEXT) | instid1(VALU_DEP_1)
	v_dual_mul_f32 v14, 0x3fb8aa3b, v12 :: v_dual_sub_f32 v11, s4, v9
	v_rndne_f32_e32 v18, v14
	s_delay_alu instid0(VALU_DEP_2) | instskip(SKIP_2) | instid1(VALU_DEP_4)
	v_mul_f32_e32 v13, 0x3fb8aa3b, v11
	v_fma_f32 v17, 0x3fb8aa3b, v12, -v14
	v_cmp_ngt_f32_e32 vcc_lo, 0xc2ce8ed0, v11
	v_sub_f32_e32 v14, v14, v18
	s_delay_alu instid0(VALU_DEP_4) | instskip(SKIP_2) | instid1(VALU_DEP_3)
	v_fma_f32 v15, 0x3fb8aa3b, v11, -v13
	v_rndne_f32_e32 v16, v13
	v_fmac_f32_e32 v17, 0x32a5705f, v12
	v_fmac_f32_e32 v15, 0x32a5705f, v11
	s_delay_alu instid0(VALU_DEP_2) | instskip(NEXT) | instid1(VALU_DEP_1)
	v_dual_sub_f32 v13, v13, v16 :: v_dual_add_f32 v14, v14, v17
	v_add_f32_e32 v13, v13, v15
	s_delay_alu instid0(VALU_DEP_2) | instskip(SKIP_2) | instid1(VALU_DEP_3)
	v_exp_f32_e32 v14, v14
	v_cvt_i32_f32_e32 v15, v16
	v_cvt_i32_f32_e32 v16, v18
	v_exp_f32_e32 v13, v13
	s_waitcnt_depctr 0xfff
	v_ldexp_f32 v14, v14, v16
	v_ldexp_f32 v13, v13, v15
	s_delay_alu instid0(VALU_DEP_1) | instskip(SKIP_1) | instid1(VALU_DEP_4)
	v_cndmask_b32_e32 v13, 0, v13, vcc_lo
	v_cmp_ngt_f32_e32 vcc_lo, 0xc2ce8ed0, v12
	v_cndmask_b32_e32 v14, 0, v14, vcc_lo
	v_cmp_nlt_f32_e32 vcc_lo, 0x42b17218, v11
	s_delay_alu instid0(VALU_DEP_4) | instskip(SKIP_1) | instid1(VALU_DEP_4)
	v_cndmask_b32_e32 v13, 0x7f800000, v13, vcc_lo
	v_cmp_nlt_f32_e32 vcc_lo, 0x42b17218, v12
	v_cndmask_b32_e32 v14, 0x7f800000, v14, vcc_lo
	v_cmp_le_f32_e32 vcc_lo, 0xc1a00000, v11
	s_delay_alu instid0(VALU_DEP_4) | instskip(SKIP_1) | instid1(VALU_DEP_4)
	v_cndmask_b32_e32 v11, 0, v13, vcc_lo
	v_cmp_le_f32_e32 vcc_lo, 0xc1a00000, v12
	v_cndmask_b32_e32 v12, 0, v14, vcc_lo
	s_waitcnt vmcnt(0)
	s_delay_alu instid0(VALU_DEP_3) | instskip(NEXT) | instid1(VALU_DEP_1)
	v_mul_f32_e32 v10, v10, v11
	v_dual_mul_f32 v11, s5, v11 :: v_dual_fmac_f32 v10, v3, v12
	s_delay_alu instid0(VALU_DEP_1)
	v_fmac_f32_e32 v11, v7, v12
	s_cbranch_execz .LBB3_18
	s_branch .LBB3_19
.LBB3_17:                               ;   in Loop: Header=BB3_9 Depth=1
                                        ; implicit-def: $sgpr13
                                        ; implicit-def: $vgpr10
                                        ; implicit-def: $vgpr9
                                        ; implicit-def: $vgpr11
                                        ; implicit-def: $sgpr1
                                        ; implicit-def: $sgpr15
.LBB3_18:                               ;   in Loop: Header=BB3_9 Depth=1
	v_mov_b32_e32 v11, v7
	s_waitcnt vmcnt(0)
	v_dual_mov_b32 v9, v8 :: v_dual_mov_b32 v10, v3
	s_add_i32 s1, s14, -1
	s_mov_b32 s13, 0
	s_mov_b32 s15, s16
.LBB3_19:                               ;   in Loop: Header=BB3_9 Depth=1
	s_and_not1_b32 vcc_lo, exec_lo, s13
	s_cbranch_vccz .LBB3_23
; %bb.20:                               ;   in Loop: Header=BB3_9 Depth=1
	v_dual_mov_b32 v7, v11 :: v_dual_mov_b32 v8, v9
	s_waitcnt vmcnt(0)
	v_mov_b32_e32 v3, v10
	s_mov_b32 s16, s15
	s_mov_b32 s14, s1
	s_branch .LBB3_9
.LBB3_21:
                                        ; implicit-def: $sgpr16_sgpr17
	s_load_b128 s[8:11], s[0:1], 0x44
	s_branch .LBB3_2
.LBB3_22:
                                        ; implicit-def: $sgpr18_sgpr19
	s_branch .LBB3_5
.LBB3_23:
	v_div_scale_f32 v0, null, v11, v11, v10
	s_waitcnt vmcnt(0)
	s_delay_alu instid0(VALU_DEP_1) | instskip(SKIP_2) | instid1(VALU_DEP_1)
	v_rcp_f32_e32 v3, v0
	s_waitcnt_depctr 0xfff
	v_fma_f32 v4, -v0, v3, 1.0
	v_fmac_f32_e32 v3, v4, v3
	v_div_scale_f32 v4, vcc_lo, v10, v11, v10
	s_delay_alu instid0(VALU_DEP_1) | instskip(NEXT) | instid1(VALU_DEP_1)
	v_mul_f32_e32 v5, v4, v3
	v_fma_f32 v6, -v0, v5, v4
	s_delay_alu instid0(VALU_DEP_1) | instskip(NEXT) | instid1(VALU_DEP_1)
	v_fmac_f32_e32 v5, v6, v3
	v_fma_f32 v0, -v0, v5, v4
	s_delay_alu instid0(VALU_DEP_1) | instskip(NEXT) | instid1(VALU_DEP_1)
	v_div_fmas_f32 v0, v0, v3, v5
	v_div_fixup_f32 v0, v0, v11, v10
	global_store_b32 v[1:2], v0, off
.LBB3_24:
	s_nop 0
	s_sendmsg sendmsg(MSG_DEALLOC_VGPRS)
	s_endpgm
	.section	.rodata,"a",@progbits
	.p2align	6, 0x0
	.amdhsa_kernel _ZL33flash_attn_stream_k_fixup_generalILi512ELi2ELi16EEvPfPK15HIP_vector_typeIfLj2EEiiiiS1_IjLj3EES5_S5_S5_
		.amdhsa_group_segment_fixed_size 0
		.amdhsa_private_segment_fixed_size 0
		.amdhsa_kernarg_size 336
		.amdhsa_user_sgpr_count 13
		.amdhsa_user_sgpr_dispatch_ptr 0
		.amdhsa_user_sgpr_queue_ptr 0
		.amdhsa_user_sgpr_kernarg_segment_ptr 1
		.amdhsa_user_sgpr_dispatch_id 0
		.amdhsa_user_sgpr_private_segment_size 0
		.amdhsa_wavefront_size32 1
		.amdhsa_uses_dynamic_stack 0
		.amdhsa_enable_private_segment 0
		.amdhsa_system_sgpr_workgroup_id_x 1
		.amdhsa_system_sgpr_workgroup_id_y 1
		.amdhsa_system_sgpr_workgroup_id_z 1
		.amdhsa_system_sgpr_workgroup_info 0
		.amdhsa_system_vgpr_workitem_id 0
		.amdhsa_next_free_vgpr 19
		.amdhsa_next_free_sgpr 32
		.amdhsa_reserve_vcc 1
		.amdhsa_float_round_mode_32 0
		.amdhsa_float_round_mode_16_64 0
		.amdhsa_float_denorm_mode_32 3
		.amdhsa_float_denorm_mode_16_64 3
		.amdhsa_dx10_clamp 1
		.amdhsa_ieee_mode 1
		.amdhsa_fp16_overflow 0
		.amdhsa_workgroup_processor_mode 1
		.amdhsa_memory_ordered 1
		.amdhsa_forward_progress 0
		.amdhsa_shared_vgpr_count 0
		.amdhsa_exception_fp_ieee_invalid_op 0
		.amdhsa_exception_fp_denorm_src 0
		.amdhsa_exception_fp_ieee_div_zero 0
		.amdhsa_exception_fp_ieee_overflow 0
		.amdhsa_exception_fp_ieee_underflow 0
		.amdhsa_exception_fp_ieee_inexact 0
		.amdhsa_exception_int_div_zero 0
	.end_amdhsa_kernel
	.section	.text._ZL33flash_attn_stream_k_fixup_generalILi512ELi2ELi16EEvPfPK15HIP_vector_typeIfLj2EEiiiiS1_IjLj3EES5_S5_S5_,"axG",@progbits,_ZL33flash_attn_stream_k_fixup_generalILi512ELi2ELi16EEvPfPK15HIP_vector_typeIfLj2EEiiiiS1_IjLj3EES5_S5_S5_,comdat
.Lfunc_end3:
	.size	_ZL33flash_attn_stream_k_fixup_generalILi512ELi2ELi16EEvPfPK15HIP_vector_typeIfLj2EEiiiiS1_IjLj3EES5_S5_S5_, .Lfunc_end3-_ZL33flash_attn_stream_k_fixup_generalILi512ELi2ELi16EEvPfPK15HIP_vector_typeIfLj2EEiiiiS1_IjLj3EES5_S5_S5_
                                        ; -- End function
	.section	.AMDGPU.csdata,"",@progbits
; Kernel info:
; codeLenInByte = 3224
; NumSgprs: 34
; NumVgprs: 19
; ScratchSize: 0
; MemoryBound: 0
; FloatMode: 240
; IeeeMode: 1
; LDSByteSize: 0 bytes/workgroup (compile time only)
; SGPRBlocks: 4
; VGPRBlocks: 2
; NumSGPRsForWavesPerEU: 34
; NumVGPRsForWavesPerEU: 19
; Occupancy: 16
; WaveLimiterHint : 0
; COMPUTE_PGM_RSRC2:SCRATCH_EN: 0
; COMPUTE_PGM_RSRC2:USER_SGPR: 13
; COMPUTE_PGM_RSRC2:TRAP_HANDLER: 0
; COMPUTE_PGM_RSRC2:TGID_X_EN: 1
; COMPUTE_PGM_RSRC2:TGID_Y_EN: 1
; COMPUTE_PGM_RSRC2:TGID_Z_EN: 1
; COMPUTE_PGM_RSRC2:TIDIG_COMP_CNT: 0
	.section	.text._ZL26flash_attn_combine_resultsILi512EEvPKfPK15HIP_vector_typeIfLj2EEPfi,"axG",@progbits,_ZL26flash_attn_combine_resultsILi512EEvPKfPK15HIP_vector_typeIfLj2EEPfi,comdat
	.globl	_ZL26flash_attn_combine_resultsILi512EEvPKfPK15HIP_vector_typeIfLj2EEPfi ; -- Begin function _ZL26flash_attn_combine_resultsILi512EEvPKfPK15HIP_vector_typeIfLj2EEPfi
	.p2align	8
	.type	_ZL26flash_attn_combine_resultsILi512EEvPKfPK15HIP_vector_typeIfLj2EEPfi,@function
_ZL26flash_attn_combine_resultsILi512EEvPKfPK15HIP_vector_typeIfLj2EEPfi: ; @_ZL26flash_attn_combine_resultsILi512EEvPKfPK15HIP_vector_typeIfLj2EEPfi
; %bb.0:
	s_clause 0x3
	s_load_b64 s[2:3], s[0:1], 0x20
	s_load_b32 s11, s[0:1], 0x18
	s_load_b128 s[4:7], s[0:1], 0x0
	s_load_b64 s[8:9], s[0:1], 0x10
	v_lshlrev_b32_e32 v5, 2, v0
	s_mov_b32 s12, exec_lo
	s_waitcnt lgkmcnt(0)
	s_mul_i32 s0, s2, s15
	s_lshl_b32 s1, s11, 1
	s_add_i32 s0, s0, s13
	s_delay_alu instid0(SALU_CYCLE_1) | instskip(NEXT) | instid1(SALU_CYCLE_1)
	s_mul_i32 s10, s0, s3
	s_add_i32 s10, s10, s14
	s_delay_alu instid0(SALU_CYCLE_1)
	s_mul_i32 s2, s10, s11
	v_cmpx_gt_i32_e64 s1, v0
	s_cbranch_execz .LBB4_3
; %bb.1:
	s_ashr_i32 s3, s2, 31
	v_dual_mov_b32 v4, v0 :: v_dual_add_nc_u32 v3, 0, v5
	s_lshl_b64 s[14:15], s[2:3], 3
	s_delay_alu instid0(SALU_CYCLE_1) | instskip(SKIP_2) | instid1(VALU_DEP_1)
	s_add_u32 s0, s6, s14
	s_addc_u32 s3, s7, s15
	v_add_co_u32 v1, s0, s0, v5
	v_add_co_ci_u32_e64 v2, null, s3, 0, s0
	s_mov_b32 s3, 0
	.p2align	6
.LBB4_2:                                ; =>This Inner Loop Header: Depth=1
	global_load_b32 v6, v[1:2], off
	v_add_nc_u32_e32 v4, 0x200, v4
	v_add_co_u32 v1, vcc_lo, 0x800, v1
	v_add_co_ci_u32_e32 v2, vcc_lo, 0, v2, vcc_lo
	s_delay_alu instid0(VALU_DEP_3) | instskip(NEXT) | instid1(VALU_DEP_1)
	v_cmp_le_i32_e64 s0, s1, v4
	s_or_b32 s3, s0, s3
	s_waitcnt vmcnt(0)
	ds_store_b32 v3, v6
	v_add_nc_u32_e32 v3, 0x800, v3
	s_and_not1_b32 exec_lo, exec_lo, s3
	s_cbranch_execnz .LBB4_2
.LBB4_3:
	s_or_b32 exec_lo, exec_lo, s12
	v_mov_b32_e32 v1, 0
	s_waitcnt lgkmcnt(0)
	s_barrier
	buffer_gl0_inv
	s_cmp_lt_i32 s11, 2
	ds_load_b32 v6, v1
	s_cbranch_scc1 .LBB4_11
; %bb.4:
	s_add_i32 s1, s11, -2
	s_add_i32 s0, s11, -1
	s_cmp_lt_u32 s1, 7
	s_cbranch_scc1 .LBB4_8
; %bb.5:
	s_mov_b32 s3, 0
	s_add_i32 s1, 0, 8
	s_and_b32 s6, s0, -8
	.p2align	6
.LBB4_6:                                ; =>This Inner Loop Header: Depth=1
	v_mov_b32_e32 v9, s1
	s_mov_b32 s7, s3
	s_add_i32 s3, s3, 8
	s_add_i32 s1, s1, 64
	s_cmp_eq_u32 s6, s3
	ds_load_2addr_b32 v[1:2], v9 offset1:2
	ds_load_2addr_b32 v[3:4], v9 offset0:4 offset1:6
	ds_load_2addr_b32 v[7:8], v9 offset0:8 offset1:10
	;; [unrolled: 1-line block ×3, first 2 shown]
	s_waitcnt lgkmcnt(3)
	v_max3_f32 v1, v6, v1, v2
	s_waitcnt lgkmcnt(2)
	s_delay_alu instid0(VALU_DEP_1) | instskip(SKIP_1) | instid1(VALU_DEP_1)
	v_max3_f32 v1, v1, v3, v4
	s_waitcnt lgkmcnt(1)
	v_max3_f32 v1, v1, v7, v8
	s_waitcnt lgkmcnt(0)
	s_delay_alu instid0(VALU_DEP_1)
	v_max3_f32 v6, v1, v9, v10
	s_cbranch_scc0 .LBB4_6
; %bb.7:
	s_add_i32 s1, s7, 9
	s_and_b32 s0, s0, 7
	s_delay_alu instid0(SALU_CYCLE_1)
	s_cmp_eq_u32 s0, 0
	s_cbranch_scc0 .LBB4_9
	s_branch .LBB4_11
.LBB4_8:
	s_mov_b32 s1, 1
	s_and_b32 s0, s0, 7
	s_delay_alu instid0(SALU_CYCLE_1)
	s_cmp_eq_u32 s0, 0
	s_cbranch_scc1 .LBB4_11
.LBB4_9:
	s_lshl_b32 s1, s1, 3
	s_delay_alu instid0(SALU_CYCLE_1)
	s_add_i32 s1, s1, 0
.LBB4_10:                               ; =>This Inner Loop Header: Depth=1
	s_waitcnt lgkmcnt(0)
	s_delay_alu instid0(VALU_DEP_1)
	v_dual_mov_b32 v1, s1 :: v_dual_max_f32 v2, v6, v6
	s_add_i32 s0, s0, -1
	s_add_i32 s1, s1, 8
	s_cmp_lg_u32 s0, 0
	ds_load_b32 v1, v1
	s_waitcnt lgkmcnt(0)
	v_max_f32_e32 v1, v1, v1
	s_delay_alu instid0(VALU_DEP_1)
	v_max_f32_e32 v6, v2, v1
	s_cbranch_scc1 .LBB4_10
.LBB4_11:
	s_cmp_lt_i32 s11, 1
	s_cbranch_scc1 .LBB4_16
; %bb.12:
	s_lshl_b32 s0, s2, 9
	v_mov_b32_e32 v7, 0
	s_ashr_i32 s1, s0, 31
	s_mov_b32 s13, 0
	s_lshl_b64 s[0:1], s[0:1], 2
	s_delay_alu instid0(SALU_CYCLE_1)
	s_add_u32 s6, s4, s0
	s_addc_u32 s7, s5, s1
	s_cmp_lt_u32 s11, 8
	s_cbranch_scc1 .LBB4_17
; %bb.13:
	v_or_b32_e32 v1, 0xe00, v0
	v_dual_mov_b32 v4, 0 :: v_dual_mov_b32 v7, 0
	v_mov_b32_e32 v8, 0
	s_and_b32 s12, s11, 0x7ffffff8
	s_mov_b32 s14, 0
.LBB4_14:                               ; =>This Inner Loop Header: Depth=1
	s_delay_alu instid0(VALU_DEP_2) | instskip(SKIP_3) | instid1(VALU_DEP_2)
	v_dual_mov_b32 v2, v4 :: v_dual_add_nc_u32 v3, 0xfffff200, v1
	v_mov_b32_e32 v21, s13
	s_add_i32 s14, s14, 8
	s_add_i32 s13, s13, 64
	v_lshlrev_b64 v[9:10], 2, v[3:4]
	v_add_nc_u32_e32 v3, 0xfffff400, v1
	v_lshlrev_b64 v[11:12], 2, v[1:2]
	s_cmp_eq_u32 s12, s14
	s_delay_alu instid0(VALU_DEP_2) | instskip(NEXT) | instid1(VALU_DEP_4)
	v_lshlrev_b64 v[13:14], 2, v[3:4]
	v_add_co_u32 v9, vcc_lo, s6, v9
	v_add_co_ci_u32_e32 v10, vcc_lo, s7, v10, vcc_lo
	v_add_nc_u32_e32 v3, 0xfffff600, v1
	s_delay_alu instid0(VALU_DEP_4)
	v_add_co_u32 v13, vcc_lo, s6, v13
	global_load_b32 v25, v[9:10], off
	v_add_co_ci_u32_e32 v14, vcc_lo, s7, v14, vcc_lo
	v_lshlrev_b64 v[15:16], 2, v[3:4]
	v_add_nc_u32_e32 v3, 0xfffff800, v1
	global_load_b32 v26, v[13:14], off
	v_add_co_u32 v13, vcc_lo, s6, v15
	v_add_co_ci_u32_e32 v14, vcc_lo, s7, v16, vcc_lo
	v_lshlrev_b64 v[9:10], 2, v[3:4]
	v_add_nc_u32_e32 v3, 0xfffffa00, v1
	global_load_b32 v27, v[13:14], off
	v_add_co_u32 v9, vcc_lo, s6, v9
	v_lshlrev_b64 v[15:16], 2, v[3:4]
	v_add_nc_u32_e32 v3, 0xfffffc00, v1
	v_add_co_ci_u32_e32 v10, vcc_lo, s7, v10, vcc_lo
	global_load_b32 v28, v[9:10], off
	v_lshlrev_b64 v[13:14], 2, v[3:4]
	v_add_nc_u32_e32 v3, 0xfffffe00, v1
	v_add_co_u32 v9, vcc_lo, s6, v15
	v_add_co_ci_u32_e32 v10, vcc_lo, s7, v16, vcc_lo
	s_delay_alu instid0(VALU_DEP_4) | instskip(NEXT) | instid1(VALU_DEP_4)
	v_add_co_u32 v13, vcc_lo, s6, v13
	v_lshlrev_b64 v[2:3], 2, v[3:4]
	v_add_co_ci_u32_e32 v14, vcc_lo, s7, v14, vcc_lo
	s_clause 0x1
	global_load_b32 v29, v[9:10], off
	global_load_b32 v30, v[13:14], off
	v_add_co_u32 v2, vcc_lo, s6, v2
	v_add_co_ci_u32_e32 v3, vcc_lo, s7, v3, vcc_lo
	v_add_co_u32 v9, vcc_lo, s6, v11
	v_add_co_ci_u32_e32 v10, vcc_lo, s7, v12, vcc_lo
	s_clause 0x1
	global_load_b32 v2, v[2:3], off
	global_load_b32 v3, v[9:10], off
	ds_load_2addr_b64 v[9:12], v21 offset1:1
	ds_load_2addr_b64 v[13:16], v21 offset0:2 offset1:3
	ds_load_2addr_b64 v[17:20], v21 offset0:4 offset1:5
	;; [unrolled: 1-line block ×3, first 2 shown]
	v_add_nc_u32_e32 v1, 0x1000, v1
	s_waitcnt lgkmcnt(1)
	v_sub_f32_e32 v19, v19, v6
	v_sub_f32_e32 v11, v11, v6
	s_waitcnt lgkmcnt(0)
	v_sub_f32_e32 v23, v23, v6
	s_delay_alu instid0(VALU_DEP_3) | instskip(NEXT) | instid1(VALU_DEP_3)
	v_dual_sub_f32 v13, v13, v6 :: v_dual_mul_f32 v36, 0x3fb8aa3b, v19
	v_mul_f32_e32 v32, 0x3fb8aa3b, v11
	s_delay_alu instid0(VALU_DEP_2) | instskip(SKIP_1) | instid1(VALU_DEP_4)
	v_dual_mul_f32 v38, 0x3fb8aa3b, v23 :: v_dual_mul_f32 v33, 0x3fb8aa3b, v13
	v_cmp_ngt_f32_e32 vcc_lo, 0xc2ce8ed0, v13
	v_fma_f32 v49, 0x3fb8aa3b, v19, -v36
	s_delay_alu instid0(VALU_DEP_4) | instskip(SKIP_4) | instid1(VALU_DEP_4)
	v_fma_f32 v41, 0x3fb8aa3b, v11, -v32
	v_rndne_f32_e32 v42, v32
	v_fma_f32 v43, 0x3fb8aa3b, v13, -v33
	v_rndne_f32_e32 v44, v33
	v_rndne_f32_e32 v50, v36
	v_dual_fmac_f32 v41, 0x32a5705f, v11 :: v_dual_sub_f32 v32, v32, v42
	v_sub_f32_e32 v15, v15, v6
	v_fmac_f32_e32 v43, 0x32a5705f, v13
	v_sub_f32_e32 v33, v33, v44
	v_cvt_i32_f32_e32 v42, v42
	v_dual_add_f32 v32, v32, v41 :: v_dual_sub_f32 v9, v9, v6
	v_mul_f32_e32 v34, 0x3fb8aa3b, v15
	s_delay_alu instid0(VALU_DEP_4) | instskip(SKIP_1) | instid1(VALU_DEP_4)
	v_add_f32_e32 v33, v33, v43
	v_cvt_i32_f32_e32 v44, v44
	v_exp_f32_e32 v32, v32
	v_mul_f32_e32 v31, 0x3fb8aa3b, v9
	v_fma_f32 v45, 0x3fb8aa3b, v15, -v34
	v_rndne_f32_e32 v46, v34
	v_exp_f32_e32 v33, v33
	v_cmp_ngt_f32_e64 s5, 0xc2ce8ed0, v9
	v_fma_f32 v39, 0x3fb8aa3b, v9, -v31
	v_rndne_f32_e32 v40, v31
	v_dual_fmac_f32 v45, 0x32a5705f, v15 :: v_dual_sub_f32 v34, v34, v46
	v_sub_f32_e32 v17, v17, v6
	s_delay_alu instid0(VALU_DEP_4) | instskip(NEXT) | instid1(VALU_DEP_4)
	v_fmac_f32_e32 v39, 0x32a5705f, v9
	v_sub_f32_e32 v31, v31, v40
	v_cvt_i32_f32_e32 v40, v40
	v_add_f32_e32 v34, v34, v45
	v_ldexp_f32 v32, v32, v42
	v_ldexp_f32 v33, v33, v44
	v_add_f32_e32 v31, v31, v39
	v_cvt_i32_f32_e32 v46, v46
	v_exp_f32_e32 v34, v34
	v_cmp_ngt_f32_e64 s0, 0xc2ce8ed0, v15
	v_fmac_f32_e32 v49, 0x32a5705f, v19
	v_exp_f32_e32 v31, v31
	v_sub_f32_e32 v36, v36, v50
	v_cvt_i32_f32_e32 v50, v50
	v_cmp_ngt_f32_e64 s1, 0xc2ce8ed0, v17
	v_rndne_f32_e32 v54, v38
	s_delay_alu instid0(VALU_DEP_4) | instskip(NEXT) | instid1(TRANS32_DEP_2)
	v_add_f32_e32 v36, v36, v49
	v_ldexp_f32 v34, v34, v46
	v_cmp_ngt_f32_e64 s2, 0xc2ce8ed0, v19
	s_delay_alu instid0(TRANS32_DEP_1) | instskip(NEXT) | instid1(VALU_DEP_4)
	v_ldexp_f32 v31, v31, v40
	v_exp_f32_e32 v36, v36
	s_delay_alu instid0(VALU_DEP_1) | instskip(SKIP_1) | instid1(VALU_DEP_1)
	v_cndmask_b32_e64 v31, 0, v31, s5
	v_cmp_ngt_f32_e64 s5, 0xc2ce8ed0, v11
	v_cndmask_b32_e64 v32, 0, v32, s5
	v_cmp_nlt_f32_e64 s5, 0x42b17218, v9
	s_waitcnt_depctr 0xfff
	v_ldexp_f32 v36, v36, v50
	v_cndmask_b32_e64 v9, 0x7f800000, v31, s5
	v_cndmask_b32_e32 v31, 0, v33, vcc_lo
	v_cmp_nlt_f32_e32 vcc_lo, 0x42b17218, v11
	s_delay_alu instid0(VALU_DEP_3) | instskip(SKIP_1) | instid1(VALU_DEP_2)
	v_dual_fmac_f32 v8, v9, v10 :: v_dual_cndmask_b32 v11, 0x7f800000, v32
	v_cmp_nlt_f32_e32 vcc_lo, 0x42b17218, v13
	v_fmac_f32_e32 v8, v11, v12
	v_cndmask_b32_e32 v10, 0x7f800000, v31, vcc_lo
	v_cmp_nlt_f32_e32 vcc_lo, 0x42b17218, v15
	v_fma_f32 v53, 0x3fb8aa3b, v23, -v38
	v_sub_f32_e32 v38, v38, v54
	v_cvt_i32_f32_e32 v54, v54
	v_fmac_f32_e32 v8, v10, v14
	v_cmp_ngt_f32_e64 s4, 0xc2ce8ed0, v23
	v_fmac_f32_e32 v53, 0x32a5705f, v23
	s_delay_alu instid0(VALU_DEP_1) | instskip(NEXT) | instid1(VALU_DEP_1)
	v_dual_sub_f32 v21, v21, v6 :: v_dual_add_f32 v38, v38, v53
	v_cmp_ngt_f32_e64 s3, 0xc2ce8ed0, v21
	s_delay_alu instid0(VALU_DEP_2)
	v_exp_f32_e32 v38, v38
	s_waitcnt_depctr 0xfff
	v_ldexp_f32 v38, v38, v54
	s_waitcnt vmcnt(7)
	v_fmac_f32_e32 v7, v25, v9
	v_cndmask_b32_e64 v9, 0, v34, s0
	s_delay_alu instid0(VALU_DEP_1) | instskip(SKIP_1) | instid1(VALU_DEP_3)
	v_cndmask_b32_e32 v9, 0x7f800000, v9, vcc_lo
	s_waitcnt vmcnt(6)
	v_fmac_f32_e32 v7, v26, v11
	v_cmp_nlt_f32_e32 vcc_lo, 0x42b17218, v17
	s_delay_alu instid0(VALU_DEP_3) | instskip(SKIP_1) | instid1(VALU_DEP_3)
	v_dual_fmac_f32 v8, v9, v16 :: v_dual_mul_f32 v35, 0x3fb8aa3b, v17
	s_waitcnt vmcnt(5)
	v_fmac_f32_e32 v7, v27, v10
	s_delay_alu instid0(VALU_DEP_2) | instskip(SKIP_2) | instid1(VALU_DEP_3)
	v_fma_f32 v47, 0x3fb8aa3b, v17, -v35
	v_rndne_f32_e32 v48, v35
	v_cndmask_b32_e64 v10, 0, v36, s2
	v_fmac_f32_e32 v47, 0x32a5705f, v17
	s_delay_alu instid0(VALU_DEP_3) | instskip(SKIP_1) | instid1(VALU_DEP_2)
	v_sub_f32_e32 v35, v35, v48
	v_cvt_i32_f32_e32 v48, v48
	v_add_f32_e32 v35, v35, v47
	s_waitcnt vmcnt(4)
	v_fmac_f32_e32 v7, v28, v9
	s_delay_alu instid0(VALU_DEP_2) | instskip(SKIP_2) | instid1(VALU_DEP_1)
	v_exp_f32_e32 v35, v35
	s_waitcnt_depctr 0xfff
	v_ldexp_f32 v35, v35, v48
	v_cndmask_b32_e64 v11, 0, v35, s1
	s_delay_alu instid0(VALU_DEP_1) | instskip(SKIP_1) | instid1(VALU_DEP_2)
	v_cndmask_b32_e32 v11, 0x7f800000, v11, vcc_lo
	v_cmp_nlt_f32_e32 vcc_lo, 0x42b17218, v19
	v_fmac_f32_e32 v8, v11, v18
	v_cndmask_b32_e32 v10, 0x7f800000, v10, vcc_lo
	v_mul_f32_e32 v37, 0x3fb8aa3b, v21
	s_waitcnt vmcnt(3)
	v_fmac_f32_e32 v7, v29, v11
	v_cmp_nlt_f32_e32 vcc_lo, 0x42b17218, v21
	v_cndmask_b32_e64 v11, 0, v38, s4
	v_fmac_f32_e32 v8, v10, v20
	v_fma_f32 v51, 0x3fb8aa3b, v21, -v37
	v_rndne_f32_e32 v52, v37
	s_waitcnt vmcnt(2)
	v_fmac_f32_e32 v7, v30, v10
	s_delay_alu instid0(VALU_DEP_3) | instskip(NEXT) | instid1(VALU_DEP_3)
	v_fmac_f32_e32 v51, 0x32a5705f, v21
	v_sub_f32_e32 v37, v37, v52
	v_cvt_i32_f32_e32 v52, v52
	s_delay_alu instid0(VALU_DEP_2) | instskip(NEXT) | instid1(VALU_DEP_1)
	v_add_f32_e32 v37, v37, v51
	v_exp_f32_e32 v37, v37
	s_waitcnt_depctr 0xfff
	v_ldexp_f32 v37, v37, v52
	s_delay_alu instid0(VALU_DEP_1) | instskip(NEXT) | instid1(VALU_DEP_1)
	v_cndmask_b32_e64 v9, 0, v37, s3
	v_cndmask_b32_e32 v9, 0x7f800000, v9, vcc_lo
	v_cmp_nlt_f32_e32 vcc_lo, 0x42b17218, v23
	s_delay_alu instid0(VALU_DEP_2) | instskip(SKIP_3) | instid1(VALU_DEP_1)
	v_fmac_f32_e32 v8, v9, v22
	s_waitcnt vmcnt(1)
	v_dual_cndmask_b32 v10, 0x7f800000, v11 :: v_dual_fmac_f32 v7, v2, v9
	s_waitcnt vmcnt(0)
	v_dual_fmac_f32 v8, v10, v24 :: v_dual_fmac_f32 v7, v3, v10
	s_cbranch_scc0 .LBB4_14
; %bb.15:
	s_and_b32 s0, s11, 7
	s_delay_alu instid0(SALU_CYCLE_1)
	s_cmp_eq_u32 s0, 0
	s_cbranch_scc0 .LBB4_18
	s_branch .LBB4_20
.LBB4_16:
	v_mov_b32_e32 v0, 0x7fc00000
	s_branch .LBB4_21
.LBB4_17:
	v_mov_b32_e32 v8, 0
	s_mov_b32 s12, 0
	s_and_b32 s0, s11, 7
	s_delay_alu instid0(SALU_CYCLE_1)
	s_cmp_eq_u32 s0, 0
	s_cbranch_scc1 .LBB4_20
.LBB4_18:
	v_lshl_or_b32 v0, s12, 9, v0
	v_mov_b32_e32 v1, 0
	s_lshl_b32 s1, s12, 3
	s_delay_alu instid0(SALU_CYCLE_1)
	s_add_i32 s1, s1, 0
	s_set_inst_prefetch_distance 0x1
	.p2align	6
.LBB4_19:                               ; =>This Inner Loop Header: Depth=1
	s_delay_alu instid0(VALU_DEP_1) | instskip(SKIP_2) | instid1(VALU_DEP_2)
	v_lshlrev_b64 v[2:3], 2, v[0:1]
	s_add_i32 s0, s0, -1
	v_add_nc_u32_e32 v0, 0x200, v0
	v_add_co_u32 v2, vcc_lo, s6, v2
	s_delay_alu instid0(VALU_DEP_3)
	v_add_co_ci_u32_e32 v3, vcc_lo, s7, v3, vcc_lo
	global_load_b32 v4, v[2:3], off
	v_mov_b32_e32 v2, s1
	s_add_i32 s1, s1, 8
	s_cmp_lg_u32 s0, 0
	ds_load_b64 v[2:3], v2
	s_waitcnt lgkmcnt(0)
	v_sub_f32_e32 v2, v2, v6
	s_delay_alu instid0(VALU_DEP_1) | instskip(SKIP_1) | instid1(VALU_DEP_2)
	v_mul_f32_e32 v9, 0x3fb8aa3b, v2
	v_cmp_ngt_f32_e32 vcc_lo, 0xc2ce8ed0, v2
	v_fma_f32 v10, 0x3fb8aa3b, v2, -v9
	v_rndne_f32_e32 v11, v9
	s_delay_alu instid0(VALU_DEP_1) | instskip(NEXT) | instid1(VALU_DEP_1)
	v_dual_fmac_f32 v10, 0x32a5705f, v2 :: v_dual_sub_f32 v9, v9, v11
	v_add_f32_e32 v9, v9, v10
	v_cvt_i32_f32_e32 v10, v11
	s_delay_alu instid0(VALU_DEP_2) | instskip(SKIP_2) | instid1(VALU_DEP_1)
	v_exp_f32_e32 v9, v9
	s_waitcnt_depctr 0xfff
	v_ldexp_f32 v9, v9, v10
	v_cndmask_b32_e32 v9, 0, v9, vcc_lo
	v_cmp_nlt_f32_e32 vcc_lo, 0x42b17218, v2
	s_delay_alu instid0(VALU_DEP_2) | instskip(SKIP_1) | instid1(VALU_DEP_1)
	v_cndmask_b32_e32 v2, 0x7f800000, v9, vcc_lo
	s_waitcnt vmcnt(0)
	v_dual_fmac_f32 v8, v2, v3 :: v_dual_fmac_f32 v7, v4, v2
	s_cbranch_scc1 .LBB4_19
.LBB4_20:
	s_set_inst_prefetch_distance 0x2
	s_delay_alu instid0(VALU_DEP_1) | instskip(NEXT) | instid1(VALU_DEP_1)
	v_div_scale_f32 v0, null, v8, v8, v7
	v_rcp_f32_e32 v1, v0
	s_waitcnt_depctr 0xfff
	v_fma_f32 v2, -v0, v1, 1.0
	s_delay_alu instid0(VALU_DEP_1) | instskip(SKIP_1) | instid1(VALU_DEP_1)
	v_fmac_f32_e32 v1, v2, v1
	v_div_scale_f32 v2, vcc_lo, v7, v8, v7
	v_mul_f32_e32 v3, v2, v1
	s_delay_alu instid0(VALU_DEP_1) | instskip(NEXT) | instid1(VALU_DEP_1)
	v_fma_f32 v4, -v0, v3, v2
	v_fmac_f32_e32 v3, v4, v1
	s_delay_alu instid0(VALU_DEP_1) | instskip(NEXT) | instid1(VALU_DEP_1)
	v_fma_f32 v0, -v0, v3, v2
	v_div_fmas_f32 v0, v0, v1, v3
	s_delay_alu instid0(VALU_DEP_1)
	v_div_fixup_f32 v0, v0, v8, v7
.LBB4_21:
	s_lshl_b32 s0, s10, 9
	s_delay_alu instid0(SALU_CYCLE_1) | instskip(NEXT) | instid1(SALU_CYCLE_1)
	s_ashr_i32 s1, s0, 31
	s_lshl_b64 s[0:1], s[0:1], 2
	s_delay_alu instid0(SALU_CYCLE_1)
	s_add_u32 s0, s8, s0
	s_addc_u32 s1, s9, s1
	global_store_b32 v5, v0, s[0:1]
	s_nop 0
	s_sendmsg sendmsg(MSG_DEALLOC_VGPRS)
	s_endpgm
	.section	.rodata,"a",@progbits
	.p2align	6, 0x0
	.amdhsa_kernel _ZL26flash_attn_combine_resultsILi512EEvPKfPK15HIP_vector_typeIfLj2EEPfi
		.amdhsa_group_segment_fixed_size 0
		.amdhsa_private_segment_fixed_size 0
		.amdhsa_kernarg_size 288
		.amdhsa_user_sgpr_count 13
		.amdhsa_user_sgpr_dispatch_ptr 0
		.amdhsa_user_sgpr_queue_ptr 0
		.amdhsa_user_sgpr_kernarg_segment_ptr 1
		.amdhsa_user_sgpr_dispatch_id 0
		.amdhsa_user_sgpr_private_segment_size 0
		.amdhsa_wavefront_size32 1
		.amdhsa_uses_dynamic_stack 0
		.amdhsa_enable_private_segment 0
		.amdhsa_system_sgpr_workgroup_id_x 1
		.amdhsa_system_sgpr_workgroup_id_y 1
		.amdhsa_system_sgpr_workgroup_id_z 1
		.amdhsa_system_sgpr_workgroup_info 0
		.amdhsa_system_vgpr_workitem_id 0
		.amdhsa_next_free_vgpr 55
		.amdhsa_next_free_sgpr 16
		.amdhsa_reserve_vcc 1
		.amdhsa_float_round_mode_32 0
		.amdhsa_float_round_mode_16_64 0
		.amdhsa_float_denorm_mode_32 3
		.amdhsa_float_denorm_mode_16_64 3
		.amdhsa_dx10_clamp 1
		.amdhsa_ieee_mode 1
		.amdhsa_fp16_overflow 0
		.amdhsa_workgroup_processor_mode 1
		.amdhsa_memory_ordered 1
		.amdhsa_forward_progress 0
		.amdhsa_shared_vgpr_count 0
		.amdhsa_exception_fp_ieee_invalid_op 0
		.amdhsa_exception_fp_denorm_src 0
		.amdhsa_exception_fp_ieee_div_zero 0
		.amdhsa_exception_fp_ieee_overflow 0
		.amdhsa_exception_fp_ieee_underflow 0
		.amdhsa_exception_fp_ieee_inexact 0
		.amdhsa_exception_int_div_zero 0
	.end_amdhsa_kernel
	.section	.text._ZL26flash_attn_combine_resultsILi512EEvPKfPK15HIP_vector_typeIfLj2EEPfi,"axG",@progbits,_ZL26flash_attn_combine_resultsILi512EEvPKfPK15HIP_vector_typeIfLj2EEPfi,comdat
.Lfunc_end4:
	.size	_ZL26flash_attn_combine_resultsILi512EEvPKfPK15HIP_vector_typeIfLj2EEPfi, .Lfunc_end4-_ZL26flash_attn_combine_resultsILi512EEvPKfPK15HIP_vector_typeIfLj2EEPfi
                                        ; -- End function
	.section	.AMDGPU.csdata,"",@progbits
; Kernel info:
; codeLenInByte = 2352
; NumSgprs: 18
; NumVgprs: 55
; ScratchSize: 0
; MemoryBound: 0
; FloatMode: 240
; IeeeMode: 1
; LDSByteSize: 0 bytes/workgroup (compile time only)
; SGPRBlocks: 2
; VGPRBlocks: 6
; NumSGPRsForWavesPerEU: 18
; NumVGPRsForWavesPerEU: 55
; Occupancy: 16
; WaveLimiterHint : 0
; COMPUTE_PGM_RSRC2:SCRATCH_EN: 0
; COMPUTE_PGM_RSRC2:USER_SGPR: 13
; COMPUTE_PGM_RSRC2:TRAP_HANDLER: 0
; COMPUTE_PGM_RSRC2:TGID_X_EN: 1
; COMPUTE_PGM_RSRC2:TGID_Y_EN: 1
; COMPUTE_PGM_RSRC2:TGID_Z_EN: 1
; COMPUTE_PGM_RSRC2:TIDIG_COMP_CNT: 0
	.section	.text._ZL15flash_attn_tileILi576ELi512ELi1ELi16ELb0EEvPKcS1_S1_S1_S1_PKiPfP15HIP_vector_typeIfLj2EEffffjfiS5_IjLj3EEiiiiiiiiiiiliiliiiiil,"axG",@progbits,_ZL15flash_attn_tileILi576ELi512ELi1ELi16ELb0EEvPKcS1_S1_S1_S1_PKiPfP15HIP_vector_typeIfLj2EEffffjfiS5_IjLj3EEiiiiiiiiiiiliiliiiiil,comdat
	.globl	_ZL15flash_attn_tileILi576ELi512ELi1ELi16ELb0EEvPKcS1_S1_S1_S1_PKiPfP15HIP_vector_typeIfLj2EEffffjfiS5_IjLj3EEiiiiiiiiiiiliiliiiiil ; -- Begin function _ZL15flash_attn_tileILi576ELi512ELi1ELi16ELb0EEvPKcS1_S1_S1_S1_PKiPfP15HIP_vector_typeIfLj2EEffffjfiS5_IjLj3EEiiiiiiiiiiiliiliiiiil
	.p2align	8
	.type	_ZL15flash_attn_tileILi576ELi512ELi1ELi16ELb0EEvPKcS1_S1_S1_S1_PKiPfP15HIP_vector_typeIfLj2EEffffjfiS5_IjLj3EEiiiiiiiiiiiliiliiiiil,@function
_ZL15flash_attn_tileILi576ELi512ELi1ELi16ELb0EEvPKcS1_S1_S1_S1_PKiPfP15HIP_vector_typeIfLj2EEffffjfiS5_IjLj3EEiiiiiiiiiiiliiliiiiil: ; @_ZL15flash_attn_tileILi576ELi512ELi1ELi16ELb0EEvPKcS1_S1_S1_S1_PKiPfP15HIP_vector_typeIfLj2EEffffjfiS5_IjLj3EEiiiiiiiiiiiliiliiiiil
; %bb.0:
	s_clause 0x1
	s_load_b128 s[36:39], s[0:1], 0x5c
	s_load_b64 s[34:35], s[0:1], 0x80
	s_mov_b64 s[40:41], 0
	s_waitcnt lgkmcnt(0)
	s_ashr_i32 s2, s39, 31
	s_delay_alu instid0(SALU_CYCLE_1) | instskip(NEXT) | instid1(SALU_CYCLE_1)
	s_lshr_b32 s2, s2, 28
	s_add_i32 s2, s39, s2
	s_delay_alu instid0(SALU_CYCLE_1) | instskip(NEXT) | instid1(SALU_CYCLE_1)
	s_ashr_i32 s2, s2, 4
	v_cvt_f32_u32_e32 v1, s2
	s_sub_i32 s4, 0, s2
	s_delay_alu instid0(VALU_DEP_1) | instskip(SKIP_2) | instid1(VALU_DEP_1)
	v_rcp_iflag_f32_e32 v1, v1
	s_waitcnt_depctr 0xfff
	v_mul_f32_e32 v1, 0x4f7ffffe, v1
	v_cvt_u32_f32_e32 v1, v1
	s_delay_alu instid0(VALU_DEP_1) | instskip(NEXT) | instid1(VALU_DEP_1)
	v_readfirstlane_b32 s3, v1
	s_mul_i32 s4, s4, s3
	s_delay_alu instid0(SALU_CYCLE_1) | instskip(NEXT) | instid1(SALU_CYCLE_1)
	s_mul_hi_u32 s4, s3, s4
	s_add_i32 s3, s3, s4
	s_delay_alu instid0(SALU_CYCLE_1) | instskip(NEXT) | instid1(SALU_CYCLE_1)
	s_mul_hi_u32 s3, s15, s3
	s_mul_i32 s4, s3, s2
	s_add_i32 s5, s3, 1
	s_sub_i32 s4, s15, s4
	s_delay_alu instid0(SALU_CYCLE_1)
	s_sub_i32 s6, s4, s2
	s_cmp_ge_u32 s4, s2
	s_cselect_b32 s3, s5, s3
	s_cselect_b32 s4, s6, s4
	s_add_i32 s5, s3, 1
	s_cmp_ge_u32 s4, s2
	s_cselect_b32 s33, s5, s3
	s_abs_i32 s2, s35
	s_abs_i32 s7, s39
	v_cvt_f32_u32_e32 v1, s2
	s_sub_i32 s4, 0, s2
	s_lshl_b32 s5, s15, 4
	s_mul_i32 s6, s33, s39
	s_delay_alu instid0(VALU_DEP_1) | instskip(SKIP_3) | instid1(VALU_DEP_1)
	v_rcp_iflag_f32_e32 v1, v1
	s_sub_i32 s15, s5, s6
	s_waitcnt_depctr 0xfff
	v_mul_f32_e32 v1, 0x4f7ffffe, v1
	v_cvt_u32_f32_e32 v1, v1
	s_delay_alu instid0(VALU_DEP_1) | instskip(NEXT) | instid1(VALU_DEP_1)
	v_readfirstlane_b32 s3, v1
	s_mul_i32 s4, s4, s3
	s_delay_alu instid0(SALU_CYCLE_1) | instskip(NEXT) | instid1(SALU_CYCLE_1)
	s_mul_hi_u32 s4, s3, s4
	s_add_i32 s3, s3, s4
	s_xor_b32 s4, s39, s35
	s_mul_hi_u32 s3, s7, s3
	s_ashr_i32 s4, s4, 31
	s_mul_i32 s5, s3, s2
	s_add_i32 s6, s3, 1
	s_sub_i32 s5, s7, s5
	s_delay_alu instid0(SALU_CYCLE_1)
	s_sub_i32 s7, s5, s2
	s_cmp_ge_u32 s5, s2
	s_cselect_b32 s3, s6, s3
	s_cselect_b32 s5, s7, s5
	s_add_i32 s6, s3, 1
	s_cmp_ge_u32 s5, s2
	s_cselect_b32 s2, s6, s3
	s_delay_alu instid0(SALU_CYCLE_1) | instskip(NEXT) | instid1(SALU_CYCLE_1)
	s_xor_b32 s2, s2, s4
	s_sub_i32 s9, s2, s4
	s_clause 0x1
	s_load_b512 s[16:31], s[0:1], 0x0
	s_load_b64 s[2:3], s[0:1], 0xb8
	s_abs_i32 s8, s9
	s_delay_alu instid0(SALU_CYCLE_1) | instskip(NEXT) | instid1(VALU_DEP_1)
	v_cvt_f32_u32_e32 v1, s8
	v_rcp_iflag_f32_e32 v1, v1
	s_waitcnt_depctr 0xfff
	v_mul_f32_e32 v1, 0x4f7ffffe, v1
	s_waitcnt lgkmcnt(0)
	s_cmp_eq_u64 s[22:23], 0
	s_delay_alu instid0(VALU_DEP_1) | instskip(NEXT) | instid1(VALU_DEP_1)
	v_cvt_u32_f32_e32 v1, v1
	v_readfirstlane_b32 s10, v1
	s_cbranch_scc1 .LBB5_2
; %bb.1:
	s_abs_i32 s2, s2
	s_abs_i32 s6, s33
	v_cvt_f32_u32_e32 v1, s2
	s_sub_i32 s5, 0, s2
	s_delay_alu instid0(VALU_DEP_1) | instskip(SKIP_2) | instid1(VALU_DEP_1)
	v_rcp_iflag_f32_e32 v1, v1
	s_waitcnt_depctr 0xfff
	v_mul_f32_e32 v1, 0x4f7ffffe, v1
	v_cvt_u32_f32_e32 v1, v1
	s_delay_alu instid0(VALU_DEP_1) | instskip(NEXT) | instid1(VALU_DEP_1)
	v_readfirstlane_b32 s4, v1
	s_mul_i32 s5, s5, s4
	s_delay_alu instid0(SALU_CYCLE_1) | instskip(NEXT) | instid1(SALU_CYCLE_1)
	s_mul_hi_u32 s5, s4, s5
	s_add_i32 s7, s4, s5
	s_load_b64 s[4:5], s[0:1], 0xc8
	s_mul_hi_u32 s7, s6, s7
	s_delay_alu instid0(SALU_CYCLE_1) | instskip(NEXT) | instid1(SALU_CYCLE_1)
	s_mul_i32 s7, s7, s2
	s_sub_i32 s6, s6, s7
	s_ashr_i32 s7, s33, 31
	s_sub_i32 s11, s6, s2
	s_cmp_ge_u32 s6, s2
	s_cselect_b32 s6, s11, s6
	s_delay_alu instid0(SALU_CYCLE_1) | instskip(SKIP_2) | instid1(SALU_CYCLE_1)
	s_sub_i32 s11, s6, s2
	s_cmp_ge_u32 s6, s2
	s_cselect_b32 s2, s11, s6
	s_xor_b32 s2, s2, s7
	s_delay_alu instid0(SALU_CYCLE_1)
	s_sub_i32 s2, s2, s7
	s_waitcnt lgkmcnt(0)
	s_mul_i32 s5, s2, s5
	s_mul_hi_u32 s6, s2, s4
	s_ashr_i32 s7, s2, 31
	s_add_i32 s5, s6, s5
	s_mul_i32 s7, s7, s4
	s_mul_i32 s2, s2, s4
	s_add_i32 s5, s5, s7
	s_add_u32 s40, s22, s2
	s_addc_u32 s41, s23, s5
.LBB5_2:
	v_bfe_u32 v2, v0, 10, 10
	s_load_b128 s[4:7], s[0:1], 0x70
	v_and_b32_e32 v101, 0x3ff, v0
	s_delay_alu instid0(VALU_DEP_2) | instskip(SKIP_1) | instid1(VALU_DEP_2)
	v_lshrrev_b32_e32 v1, 3, v2
	v_lshlrev_b32_e32 v4, 1, v2
	v_add_nc_u32_e32 v100, s13, v1
	s_delay_alu instid0(VALU_DEP_2) | instskip(NEXT) | instid1(VALU_DEP_2)
	v_and_b32_e32 v110, 14, v4
	v_mul_hi_u32 v1, s36, v100
	s_waitcnt lgkmcnt(0)
	s_mul_i32 s2, s33, s6
	s_mul_i32 s6, s15, s5
	s_delay_alu instid0(VALU_DEP_1)
	v_add_nc_u32_e32 v1, v100, v1
	s_ashr_i32 s7, s2, 31
	s_add_u32 s2, s16, s2
	s_addc_u32 s7, s17, s7
	s_ashr_i32 s11, s6, 31
	v_lshrrev_b32_e32 v1, s37, v1
	s_add_u32 s2, s2, s6
	s_addc_u32 s6, s7, s11
	s_ashr_i32 s7, s4, 31
	s_ashr_i32 s17, s5, 31
	v_mul_lo_u32 v1, v1, s38
	v_alignbit_b32 v7, s7, s4, 2
	v_alignbit_b32 v9, s17, s5, 2
	s_lshr_b32 s4, s7, 2
	s_mov_b32 s16, s5
	s_delay_alu instid0(VALU_DEP_3) | instskip(NEXT) | instid1(VALU_DEP_1)
	v_sub_nc_u32_e32 v3, v100, v1
	v_mad_u64_u32 v[5:6], null, v7, v3, 0
	v_mad_u64_u32 v[7:8], null, v9, v110, 0
	s_delay_alu instid0(VALU_DEP_2) | instskip(NEXT) | instid1(VALU_DEP_1)
	v_mov_b32_e32 v1, v6
	v_mad_u64_u32 v[9:10], null, s4, v3, v[1:2]
	s_delay_alu instid0(VALU_DEP_3) | instskip(SKIP_1) | instid1(VALU_DEP_2)
	v_mov_b32_e32 v1, v8
	s_lshr_b32 s4, s17, 2
	v_mov_b32_e32 v6, v9
	s_delay_alu instid0(VALU_DEP_2) | instskip(SKIP_1) | instid1(VALU_DEP_2)
	v_mad_u64_u32 v[8:9], null, s4, v110, v[1:2]
	s_lshr_b64 s[4:5], s[16:17], 2
	v_lshlrev_b64 v[0:1], 2, v[5:6]
	v_lshlrev_b32_e32 v5, 4, v101
	s_delay_alu instid0(VALU_DEP_2) | instskip(NEXT) | instid1(VALU_DEP_3)
	v_add_co_u32 v6, vcc_lo, s2, v0
	v_add_co_ci_u32_e32 v9, vcc_lo, s6, v1, vcc_lo
	v_lshlrev_b64 v[0:1], 2, v[7:8]
	s_delay_alu instid0(VALU_DEP_3) | instskip(NEXT) | instid1(VALU_DEP_3)
	v_add_co_u32 v5, vcc_lo, v6, v5
	v_add_co_ci_u32_e32 v6, vcc_lo, 0, v9, vcc_lo
	s_load_b32 s6, s[0:1], 0x40
	s_delay_alu instid0(VALU_DEP_2) | instskip(NEXT) | instid1(VALU_DEP_2)
	v_add_co_u32 v0, vcc_lo, v5, v0
	v_add_co_ci_u32_e32 v1, vcc_lo, v6, v1, vcc_lo
	v_lshlrev_b32_e32 v7, 1, v101
	v_mul_u32_u24_e32 v8, 0x240, v2
	v_cmp_gt_u32_e32 vcc_lo, 16, v101
	s_clause 0x3
	global_load_b128 v[9:12], v[0:1], off
	global_load_b128 v[13:16], v[0:1], off offset:512
	global_load_b128 v[17:20], v[0:1], off offset:1024
	;; [unrolled: 1-line block ×3, first 2 shown]
	v_add_lshl_u32 v8, v8, v7, 2
	s_waitcnt vmcnt(3) lgkmcnt(0)
	v_fma_mixlo_f16 v25, v9, s6, 0
	v_fma_mixlo_f16 v26, v11, s6, 0
	s_waitcnt vmcnt(2)
	v_fma_mixlo_f16 v27, v13, s6, 0
	v_fma_mixlo_f16 v28, v15, s6, 0
	s_waitcnt vmcnt(1)
	;; [unrolled: 3-line block ×3, first 2 shown]
	v_fma_mixlo_f16 v31, v21, s6, 0
	v_fma_mixlo_f16 v32, v23, s6, 0
	v_fma_mixhi_f16 v26, v12, s6, 0
	v_fma_mixhi_f16 v25, v10, s6, 0
	v_fma_mixhi_f16 v28, v16, s6, 0
	v_fma_mixhi_f16 v27, v14, s6, 0
	v_fma_mixhi_f16 v30, v20, s6, 0
	v_fma_mixhi_f16 v29, v18, s6, 0
	v_fma_mixhi_f16 v32, v24, s6, 0
	v_fma_mixhi_f16 v31, v22, s6, 0
	ds_store_2addr_b64 v8, v[25:26], v[27:28] offset1:32
	ds_store_2addr_b64 v8, v[29:30], v[31:32] offset0:64 offset1:96
	s_and_saveexec_b32 s2, vcc_lo
	s_cbranch_execz .LBB5_4
; %bb.3:
	global_load_b128 v[9:12], v[0:1], off offset:2048
	s_waitcnt vmcnt(0)
	v_fma_mixlo_f16 v1, v11, s6, 0
	v_fma_mixlo_f16 v0, v9, s6, 0
	s_delay_alu instid0(VALU_DEP_2) | instskip(NEXT) | instid1(VALU_DEP_2)
	v_fma_mixhi_f16 v1, v12, s6, 0
	v_fma_mixhi_f16 v0, v10, s6, 0
	ds_store_b64 v8, v[0:1] offset:1024
.LBB5_4:
	s_or_b32 exec_lo, exec_lo, s2
	v_or_b32_e32 v4, 1, v4
	s_delay_alu instid0(VALU_DEP_1) | instskip(SKIP_1) | instid1(VALU_DEP_2)
	v_and_b32_e32 v10, 15, v4
	v_mul_u32_u24_e32 v4, 0x120, v4
	v_mad_u64_u32 v[0:1], null, s4, v10, 0
	s_delay_alu instid0(VALU_DEP_2) | instskip(NEXT) | instid1(VALU_DEP_2)
	v_add_lshl_u32 v4, v4, v7, 2
	v_mad_u64_u32 v[8:9], null, s5, v10, v[1:2]
	s_delay_alu instid0(VALU_DEP_1) | instskip(NEXT) | instid1(VALU_DEP_1)
	v_mov_b32_e32 v1, v8
	v_lshlrev_b64 v[0:1], 2, v[0:1]
	s_delay_alu instid0(VALU_DEP_1) | instskip(NEXT) | instid1(VALU_DEP_1)
	v_add_co_u32 v0, s2, v5, v0
	v_add_co_ci_u32_e64 v1, s2, v6, v1, s2
	s_clause 0x3
	global_load_b128 v[8:11], v[0:1], off
	global_load_b128 v[12:15], v[0:1], off offset:512
	global_load_b128 v[16:19], v[0:1], off offset:1024
	;; [unrolled: 1-line block ×3, first 2 shown]
	s_waitcnt vmcnt(3)
	v_fma_mixlo_f16 v5, v8, s6, 0
	v_fma_mixlo_f16 v6, v10, s6, 0
	s_waitcnt vmcnt(2)
	v_fma_mixlo_f16 v7, v12, s6, 0
	v_fma_mixlo_f16 v8, v14, s6, 0
	;; [unrolled: 3-line block ×4, first 2 shown]
	v_fma_mixhi_f16 v6, v11, s6, 0
	v_fma_mixhi_f16 v5, v9, s6, 0
	;; [unrolled: 1-line block ×8, first 2 shown]
	ds_store_2addr_b64 v4, v[5:6], v[7:8] offset1:32
	ds_store_2addr_b64 v4, v[24:25], v[26:27] offset0:64 offset1:96
	s_and_saveexec_b32 s2, vcc_lo
	s_cbranch_execz .LBB5_6
; %bb.5:
	global_load_b128 v[5:8], v[0:1], off offset:2048
	s_waitcnt vmcnt(0)
	v_fma_mixlo_f16 v1, v7, s6, 0
	v_fma_mixlo_f16 v0, v5, s6, 0
	s_delay_alu instid0(VALU_DEP_2) | instskip(NEXT) | instid1(VALU_DEP_2)
	v_fma_mixhi_f16 v1, v8, s6, 0
	v_fma_mixhi_f16 v0, v6, s6, 0
	ds_store_b64 v4, v[0:1] offset:1024
.LBB5_6:
	s_or_b32 exec_lo, exec_lo, s2
	s_cmp_eq_u64 s[26:27], 0
	s_waitcnt lgkmcnt(0)
	s_barrier
	buffer_gl0_inv
	s_cbranch_scc1 .LBB5_8
; %bb.7:
	s_load_b32 s2, s[0:1], 0xd0
	s_mov_b32 s5, 0
	s_waitcnt lgkmcnt(0)
	s_mul_i32 s2, s2, s33
	s_delay_alu instid0(SALU_CYCLE_1) | instskip(NEXT) | instid1(SALU_CYCLE_1)
	s_add_i32 s4, s2, s13
	s_lshl_b64 s[4:5], s[4:5], 2
	s_delay_alu instid0(SALU_CYCLE_1)
	s_add_u32 s4, s26, s4
	s_addc_u32 s5, s27, s5
	s_load_b32 s34, s[4:5], 0x0
.LBB5_8:
	v_lshlrev_b32_e32 v109, 2, v101
	v_mbcnt_lo_u32_b32 v111, -1, 0
	s_lshl_b32 s13, s14, 6
	s_waitcnt lgkmcnt(0)
	s_cmp_lt_i32 s13, s34
	s_cbranch_scc1 .LBB5_10
; %bb.9:
	v_mbcnt_lo_u32_b32 v1, -1, 0
	v_mov_b32_e32 v0, 32
	s_mov_b32 s2, 0
	s_mov_b32 s4, 0xfeffffff
	s_delay_alu instid0(VALU_DEP_2)
	v_xor_b32_e32 v116, 16, v1
	v_xor_b32_e32 v115, 8, v1
	;; [unrolled: 1-line block ×5, first 2 shown]
	s_branch .LBB5_11
.LBB5_10:
	s_mov_b32 s2, -1
                                        ; implicit-def: $sgpr4
                                        ; implicit-def: $vgpr1
                                        ; implicit-def: $vgpr0
                                        ; implicit-def: $vgpr116
                                        ; implicit-def: $vgpr115
                                        ; implicit-def: $vgpr114
                                        ; implicit-def: $vgpr113
                                        ; implicit-def: $vgpr112
.LBB5_11:
	s_delay_alu instid0(SALU_CYCLE_1) | instskip(SKIP_2) | instid1(VALU_DEP_3)
	v_cndmask_b32_e64 v4, 0, 1, s2
	v_dual_mov_b32 v108, s4 :: v_dual_mov_b32 v117, s2
	v_dual_mov_b32 v25, s2 :: v_dual_mov_b32 v118, s2
	v_cmp_ne_u32_e32 vcc_lo, 1, v4
	v_dual_mov_b32 v107, s4 :: v_dual_mov_b32 v28, s2
	v_dual_mov_b32 v27, s2 :: v_dual_mov_b32 v24, s2
	;; [unrolled: 1-line block ×8, first 2 shown]
	s_cbranch_vccnz .LBB5_15
; %bb.12:
	s_clause 0x1
	s_load_b128 s[4:7], s[0:1], 0x98
	s_load_b64 s[16:17], s[0:1], 0x8c
	s_sub_i32 s2, 0, s8
	s_abs_i32 s11, s15
	s_mul_i32 s2, s2, s10
	s_ashr_i32 s12, s15, 31
	s_mul_hi_u32 s2, s10, s2
	s_ashr_i32 s9, s9, 31
	s_add_i32 s10, s10, s2
	s_ashr_i32 s2, s3, 1
	s_mul_hi_u32 s3, s11, s10
	s_ashr_i32 s10, s33, 31
	s_load_b64 s[26:27], s[0:1], 0xa8
	s_mul_i32 s35, s3, s8
	v_lshrrev_b32_e32 v0, 3, v101
	v_dual_mov_b32 v107, 0xfeffffff :: v_dual_and_b32 v8, 28, v109
	v_mov_b32_e32 v15, 0
	v_dual_mov_b32 v16, 0 :: v_dual_lshlrev_b32 v9, 2, v109
	s_waitcnt lgkmcnt(0)
	s_ashr_i32 s22, s6, 2
	s_mul_i32 s5, s33, s5
	s_mul_hi_u32 s6, s33, s4
	s_ashr_i32 s23, s16, 2
	s_mul_i32 s16, s10, s4
	s_add_i32 s5, s6, s5
	s_mul_i32 s4, s33, s4
	s_add_i32 s5, s5, s16
	s_add_u32 s4, s18, s4
	s_addc_u32 s5, s19, s5
	s_xor_b32 s6, s12, s9
	s_sub_i32 s9, s11, s35
	s_add_i32 s11, s3, 1
	s_sub_i32 s12, s9, s8
	s_cmp_ge_u32 s9, s8
	v_lshl_add_u32 v1, v2, 2, v0
	v_lshlrev_b32_e32 v4, 2, v8
	s_cselect_b32 s3, s11, s3
	s_cselect_b32 s9, s12, s9
	s_add_i32 s11, s3, 1
	s_cmp_ge_u32 s9, s8
	v_mad_u32_u24 v5, 0x90, v1, v4
	v_mul_lo_u32 v4, s22, v2
	s_cselect_b32 s3, s11, s3
	v_mul_lo_u32 v0, s23, v1
	s_xor_b32 s3, s3, s6
	v_dual_mov_b32 v14, 0 :: v_dual_add_nc_u32 v119, 0x4800, v5
	s_sub_i32 s3, s3, s6
	v_dual_mov_b32 v17, 0 :: v_dual_add_nc_u32 v120, 0x5a00, v5
	s_mul_i32 s9, s3, s17
	v_ashrrev_i32_e32 v5, 31, v4
	s_mul_i32 s8, s33, s27
	s_mul_hi_u32 s6, s33, s26
	s_ashr_i32 s11, s9, 31
	s_add_u32 s18, s4, s9
	s_mul_i32 s10, s10, s26
	s_addc_u32 s19, s5, s11
	s_add_i32 s4, s6, s8
	s_mul_i32 s5, s33, s26
	v_lshlrev_b64 v[4:5], 2, v[4:5]
	s_add_i32 s4, s4, s10
	s_mul_i32 s3, s3, s7
	s_add_u32 s5, s20, s5
	v_lshl_add_u32 v6, s23, 5, v0
	s_addc_u32 s4, s21, s4
	s_ashr_i32 s6, s3, 31
	s_add_u32 s3, s5, s3
	s_addc_u32 s4, s4, s6
	v_mul_u32_u24_e32 v122, 0x900, v2
	v_lshl_add_u32 v10, v2, 10, v9
	v_lshl_add_u32 v123, v2, 8, 0x6c00
	v_add_co_u32 v2, vcc_lo, s3, v4
	v_ashrrev_i32_e32 v1, 31, v0
	v_ashrrev_i32_e32 v7, 31, v6
	v_mad_u64_u32 v[102:103], null, v3, s2, v[101:102]
	v_add_co_ci_u32_e32 v3, vcc_lo, s4, v5, vcc_lo
	v_lshl_add_u32 v126, v101, 3, 0x4800
	v_add_co_u32 v127, vcc_lo, v2, v9
	v_lshlrev_b64 v[103:104], 2, v[0:1]
	v_lshlrev_b64 v[105:106], 2, v[6:7]
	v_mul_u32_u24_e32 v121, 0x90, v101
	v_dual_mov_b32 v19, 0 :: v_dual_add_nc_u32 v124, 0x4800, v10
	v_dual_mov_b32 v20, 0 :: v_dual_add_nc_u32 v125, 0x4a00, v10
	v_add_co_ci_u32_e32 v128, vcc_lo, 0, v3, vcc_lo
	v_dual_mov_b32 v18, 0 :: v_dual_lshlrev_b32 v129, 2, v8
	v_xor_b32_e32 v116, 16, v111
	v_xor_b32_e32 v115, 8, v111
	;; [unrolled: 1-line block ×5, first 2 shown]
	v_dual_mov_b32 v21, 0 :: v_dual_add_nc_u32 v130, v123, v109
	v_dual_mov_b32 v22, 0 :: v_dual_add_nc_u32 v131, 0x800, v126
	v_dual_mov_b32 v23, 0 :: v_dual_add_nc_u32 v132, 0x1000, v126
	v_dual_mov_b32 v26, 0 :: v_dual_add_nc_u32 v133, 0x1800, v126
	v_dual_mov_b32 v24, 0 :: v_dual_mov_b32 v29, 0
	v_dual_mov_b32 v28, 0 :: v_dual_mov_b32 v27, 0
	;; [unrolled: 1-line block ×4, first 2 shown]
	s_add_u32 s16, s0, 0xd0
	s_addc_u32 s17, s1, 0
.LBB5_13:                               ; =>This Inner Loop Header: Depth=1
	s_mul_hi_i32 s7, s13, s23
	s_mul_i32 s6, s13, s23
	v_cmp_gt_i32_e64 s4, 32, v113
	v_cmp_gt_i32_e64 s5, 32, v112
	;; [unrolled: 1-line block ×4, first 2 shown]
	v_cmp_gt_i32_e32 vcc_lo, 32, v116
	s_lshl_b64 s[10:11], s[6:7], 2
	s_mul_hi_i32 s9, s13, s22
	s_mul_i32 s8, s13, s22
	s_add_u32 s7, s18, s10
	v_cndmask_b32_e64 v5, v111, v113, s4
	v_cndmask_b32_e64 v8, v111, v112, s5
	s_addc_u32 s6, s19, s11
	s_lshl_b64 s[4:5], s[8:9], 2
	s_or_b32 s8, s13, 8
	v_cndmask_b32_e64 v3, v111, v115, s2
	v_cndmask_b32_e64 v4, v111, v114, s3
	v_add_co_u32 v11, s2, s7, v103
	s_delay_alu instid0(VALU_DEP_3)
	v_dual_cndmask_b32 v2, v111, v116 :: v_dual_lshlrev_b32 v39, 2, v3
	v_add_co_u32 v10, vcc_lo, s7, v105
	s_mul_hi_i32 s27, s8, s22
	s_mul_i32 s26, s8, s22
	v_add_co_ci_u32_e64 v13, s2, s6, v104, s2
	v_add_co_u32 v6, s3, v127, s4
	v_add_co_ci_u32_e32 v41, vcc_lo, s6, v106, vcc_lo
	s_lshl_b64 s[6:7], s[26:27], 2
	v_add_co_ci_u32_e64 v7, vcc_lo, s5, v128, s3
	v_lshlrev_b32_e32 v38, 2, v4
	v_add_co_u32 v4, s2, v127, s6
	v_add_co_u32 v12, s6, v11, v129
	v_add_co_u32 v10, vcc_lo, v10, v129
	v_lshlrev_b32_e32 v37, 2, v5
	v_add_co_ci_u32_e64 v5, s2, s7, v128, s2
	v_add_co_ci_u32_e64 v13, s2, 0, v13, s6
	v_add_co_ci_u32_e32 v11, vcc_lo, 0, v41, vcc_lo
	s_clause 0x1
	global_load_b128 v[41:44], v[12:13], off
	global_load_b128 v[50:53], v[10:11], off
	v_dual_mov_b32 v32, 0 :: v_dual_mov_b32 v33, 0
	v_dual_mov_b32 v34, 0 :: v_dual_mov_b32 v35, 0
	s_or_b32 s9, s13, 16
	s_or_b32 s10, s13, 24
	;; [unrolled: 1-line block ×3, first 2 shown]
	s_mul_hi_i32 s37, s9, s22
	s_mul_i32 s36, s9, s22
	s_mul_hi_i32 s9, s10, s22
	s_mul_i32 s8, s10, s22
	;; [unrolled: 2-line block ×3, first 2 shown]
	v_lshlrev_b32_e32 v36, 2, v8
	s_lshl_b64 s[10:11], s[10:11], 2
	v_dual_mov_b32 v30, v108 :: v_dual_mov_b32 v31, v107
	v_add_co_u32 v48, s5, v127, s10
	s_delay_alu instid0(VALU_DEP_1)
	v_add_co_ci_u32_e64 v49, vcc_lo, s11, v128, s5
	s_lshl_b64 s[26:27], s[36:37], 2
	s_lshl_b64 s[8:9], s[8:9], 2
	s_or_b32 s20, s13, 40
	s_waitcnt vmcnt(1)
	ds_store_b128 v119, v[41:44]
	s_waitcnt vmcnt(0)
	ds_store_b128 v120, v[50:53]
	s_waitcnt lgkmcnt(0)
	s_barrier
	buffer_gl0_inv
	ds_load_b128 v[41:44], v121 offset:18432
	ds_load_b128 v[50:53], v122
	ds_load_b128 v[54:57], v122 offset:1152
	ds_load_b128 v[58:61], v121 offset:23040
	s_waitcnt lgkmcnt(2)
	;;#ASMSTART
	v_dot2_f32_f16 v32, v41, v50, v32
	;;#ASMEND
	;;#ASMSTART
	v_dot2_f32_f16 v32, v42, v51, v32
	;;#ASMEND
	;;#ASMSTART
	v_dot2_f32_f16 v32, v43, v52, v32
	;;#ASMEND
	;;#ASMSTART
	v_dot2_f32_f16 v32, v44, v53, v32
	;;#ASMEND
	s_waitcnt lgkmcnt(1)
	;;#ASMSTART
	v_dot2_f32_f16 v33, v41, v54, v33
	;;#ASMEND
	;;#ASMSTART
	v_dot2_f32_f16 v33, v42, v55, v33
	;;#ASMEND
	;;#ASMSTART
	v_dot2_f32_f16 v33, v43, v56, v33
	;;#ASMEND
	;;#ASMSTART
	v_dot2_f32_f16 v33, v44, v57, v33
	;;#ASMEND
	s_waitcnt lgkmcnt(0)
	;;#ASMSTART
	v_dot2_f32_f16 v34, v58, v50, v34
	;;#ASMEND
	;;#ASMSTART
	v_dot2_f32_f16 v34, v59, v51, v34
	;;#ASMEND
	;;#ASMSTART
	v_dot2_f32_f16 v34, v60, v52, v34
	;;#ASMEND
	;;#ASMSTART
	v_dot2_f32_f16 v34, v61, v53, v34
	;;#ASMEND
	;;#ASMSTART
	v_dot2_f32_f16 v35, v58, v54, v35
	;;#ASMEND
	;;#ASMSTART
	v_dot2_f32_f16 v35, v59, v55, v35
	;;#ASMEND
	;;#ASMSTART
	v_dot2_f32_f16 v35, v60, v56, v35
	;;#ASMEND
	;;#ASMSTART
	v_dot2_f32_f16 v35, v61, v57, v35
	;;#ASMEND
	ds_load_b128 v[41:44], v121 offset:18448
	ds_load_b128 v[50:53], v122 offset:16
	ds_load_b128 v[54:57], v122 offset:1168
	ds_load_b128 v[58:61], v121 offset:23056
	s_waitcnt lgkmcnt(2)
	;;#ASMSTART
	v_dot2_f32_f16 v32, v41, v50, v32
	;;#ASMEND
	;;#ASMSTART
	v_dot2_f32_f16 v32, v42, v51, v32
	;;#ASMEND
	;;#ASMSTART
	v_dot2_f32_f16 v32, v43, v52, v32
	;;#ASMEND
	;;#ASMSTART
	v_dot2_f32_f16 v32, v44, v53, v32
	;;#ASMEND
	s_waitcnt lgkmcnt(1)
	;;#ASMSTART
	v_dot2_f32_f16 v33, v41, v54, v33
	;;#ASMEND
	;;#ASMSTART
	v_dot2_f32_f16 v33, v42, v55, v33
	;;#ASMEND
	;;#ASMSTART
	v_dot2_f32_f16 v33, v43, v56, v33
	;;#ASMEND
	;;#ASMSTART
	v_dot2_f32_f16 v33, v44, v57, v33
	;;#ASMEND
	s_waitcnt lgkmcnt(0)
	;;#ASMSTART
	v_dot2_f32_f16 v34, v58, v50, v34
	;;#ASMEND
	;;#ASMSTART
	v_dot2_f32_f16 v34, v59, v51, v34
	;;#ASMEND
	;;#ASMSTART
	v_dot2_f32_f16 v34, v60, v52, v34
	;;#ASMEND
	;;#ASMSTART
	v_dot2_f32_f16 v34, v61, v53, v34
	;;#ASMEND
	;;#ASMSTART
	v_dot2_f32_f16 v35, v58, v54, v35
	;;#ASMEND
	;;#ASMSTART
	v_dot2_f32_f16 v35, v59, v55, v35
	;;#ASMEND
	;;#ASMSTART
	v_dot2_f32_f16 v35, v60, v56, v35
	;;#ASMEND
	;;#ASMSTART
	v_dot2_f32_f16 v35, v61, v57, v35
	;;#ASMEND
	ds_load_b128 v[41:44], v121 offset:18464
	ds_load_b128 v[50:53], v122 offset:32
	ds_load_b128 v[54:57], v122 offset:1184
	ds_load_b128 v[58:61], v121 offset:23072
	s_waitcnt lgkmcnt(2)
	;;#ASMSTART
	v_dot2_f32_f16 v32, v41, v50, v32
	;;#ASMEND
	;;#ASMSTART
	v_dot2_f32_f16 v32, v42, v51, v32
	;;#ASMEND
	;;#ASMSTART
	v_dot2_f32_f16 v32, v43, v52, v32
	;;#ASMEND
	;;#ASMSTART
	v_dot2_f32_f16 v32, v44, v53, v32
	;;#ASMEND
	s_waitcnt lgkmcnt(1)
	;;#ASMSTART
	v_dot2_f32_f16 v33, v41, v54, v33
	;;#ASMEND
	;;#ASMSTART
	v_dot2_f32_f16 v33, v42, v55, v33
	;;#ASMEND
	;;#ASMSTART
	v_dot2_f32_f16 v33, v43, v56, v33
	;;#ASMEND
	;;#ASMSTART
	v_dot2_f32_f16 v33, v44, v57, v33
	;;#ASMEND
	s_waitcnt lgkmcnt(0)
	;;#ASMSTART
	v_dot2_f32_f16 v34, v58, v50, v34
	;;#ASMEND
	;;#ASMSTART
	v_dot2_f32_f16 v34, v59, v51, v34
	;;#ASMEND
	;;#ASMSTART
	v_dot2_f32_f16 v34, v60, v52, v34
	;;#ASMEND
	;;#ASMSTART
	v_dot2_f32_f16 v34, v61, v53, v34
	;;#ASMEND
	;;#ASMSTART
	v_dot2_f32_f16 v35, v58, v54, v35
	;;#ASMEND
	;;#ASMSTART
	v_dot2_f32_f16 v35, v59, v55, v35
	;;#ASMEND
	;;#ASMSTART
	v_dot2_f32_f16 v35, v60, v56, v35
	;;#ASMEND
	;;#ASMSTART
	v_dot2_f32_f16 v35, v61, v57, v35
	;;#ASMEND
	ds_load_b128 v[41:44], v121 offset:18480
	ds_load_b128 v[50:53], v122 offset:48
	ds_load_b128 v[54:57], v122 offset:1200
	ds_load_b128 v[58:61], v121 offset:23088
	s_waitcnt lgkmcnt(2)
	;;#ASMSTART
	v_dot2_f32_f16 v32, v41, v50, v32
	;;#ASMEND
	;;#ASMSTART
	v_dot2_f32_f16 v32, v42, v51, v32
	;;#ASMEND
	;;#ASMSTART
	v_dot2_f32_f16 v32, v43, v52, v32
	;;#ASMEND
	;;#ASMSTART
	v_dot2_f32_f16 v32, v44, v53, v32
	;;#ASMEND
	s_waitcnt lgkmcnt(1)
	;;#ASMSTART
	v_dot2_f32_f16 v33, v41, v54, v33
	;;#ASMEND
	;;#ASMSTART
	v_dot2_f32_f16 v33, v42, v55, v33
	;;#ASMEND
	;;#ASMSTART
	v_dot2_f32_f16 v33, v43, v56, v33
	;;#ASMEND
	;;#ASMSTART
	v_dot2_f32_f16 v33, v44, v57, v33
	;;#ASMEND
	s_waitcnt lgkmcnt(0)
	;;#ASMSTART
	v_dot2_f32_f16 v34, v58, v50, v34
	;;#ASMEND
	;;#ASMSTART
	v_dot2_f32_f16 v34, v59, v51, v34
	;;#ASMEND
	;;#ASMSTART
	v_dot2_f32_f16 v34, v60, v52, v34
	;;#ASMEND
	;;#ASMSTART
	v_dot2_f32_f16 v34, v61, v53, v34
	;;#ASMEND
	;;#ASMSTART
	v_dot2_f32_f16 v35, v58, v54, v35
	;;#ASMEND
	;;#ASMSTART
	v_dot2_f32_f16 v35, v59, v55, v35
	;;#ASMEND
	;;#ASMSTART
	v_dot2_f32_f16 v35, v60, v56, v35
	;;#ASMEND
	;;#ASMSTART
	v_dot2_f32_f16 v35, v61, v57, v35
	;;#ASMEND
	ds_load_b128 v[41:44], v121 offset:18496
	ds_load_b128 v[50:53], v122 offset:64
	ds_load_b128 v[54:57], v122 offset:1216
	ds_load_b128 v[58:61], v121 offset:23104
	s_waitcnt lgkmcnt(2)
	;;#ASMSTART
	v_dot2_f32_f16 v32, v41, v50, v32
	;;#ASMEND
	;;#ASMSTART
	v_dot2_f32_f16 v32, v42, v51, v32
	;;#ASMEND
	;;#ASMSTART
	v_dot2_f32_f16 v32, v43, v52, v32
	;;#ASMEND
	;;#ASMSTART
	v_dot2_f32_f16 v32, v44, v53, v32
	;;#ASMEND
	s_waitcnt lgkmcnt(1)
	;;#ASMSTART
	v_dot2_f32_f16 v33, v41, v54, v33
	;;#ASMEND
	;;#ASMSTART
	v_dot2_f32_f16 v33, v42, v55, v33
	;;#ASMEND
	;;#ASMSTART
	v_dot2_f32_f16 v33, v43, v56, v33
	;;#ASMEND
	;;#ASMSTART
	v_dot2_f32_f16 v33, v44, v57, v33
	;;#ASMEND
	s_waitcnt lgkmcnt(0)
	;;#ASMSTART
	v_dot2_f32_f16 v34, v58, v50, v34
	;;#ASMEND
	;;#ASMSTART
	v_dot2_f32_f16 v34, v59, v51, v34
	;;#ASMEND
	;;#ASMSTART
	v_dot2_f32_f16 v34, v60, v52, v34
	;;#ASMEND
	;;#ASMSTART
	v_dot2_f32_f16 v34, v61, v53, v34
	;;#ASMEND
	;;#ASMSTART
	v_dot2_f32_f16 v35, v58, v54, v35
	;;#ASMEND
	;;#ASMSTART
	v_dot2_f32_f16 v35, v59, v55, v35
	;;#ASMEND
	;;#ASMSTART
	v_dot2_f32_f16 v35, v60, v56, v35
	;;#ASMEND
	;;#ASMSTART
	v_dot2_f32_f16 v35, v61, v57, v35
	;;#ASMEND
	ds_load_b128 v[41:44], v121 offset:18512
	ds_load_b128 v[50:53], v122 offset:80
	ds_load_b128 v[54:57], v122 offset:1232
	ds_load_b128 v[58:61], v121 offset:23120
	s_waitcnt lgkmcnt(2)
	;;#ASMSTART
	v_dot2_f32_f16 v32, v41, v50, v32
	;;#ASMEND
	;;#ASMSTART
	v_dot2_f32_f16 v32, v42, v51, v32
	;;#ASMEND
	;;#ASMSTART
	v_dot2_f32_f16 v32, v43, v52, v32
	;;#ASMEND
	;;#ASMSTART
	v_dot2_f32_f16 v32, v44, v53, v32
	;;#ASMEND
	s_waitcnt lgkmcnt(1)
	;;#ASMSTART
	v_dot2_f32_f16 v33, v41, v54, v33
	;;#ASMEND
	;;#ASMSTART
	v_dot2_f32_f16 v33, v42, v55, v33
	;;#ASMEND
	;;#ASMSTART
	v_dot2_f32_f16 v33, v43, v56, v33
	;;#ASMEND
	;;#ASMSTART
	v_dot2_f32_f16 v33, v44, v57, v33
	;;#ASMEND
	s_waitcnt lgkmcnt(0)
	;;#ASMSTART
	v_dot2_f32_f16 v34, v58, v50, v34
	;;#ASMEND
	;;#ASMSTART
	v_dot2_f32_f16 v34, v59, v51, v34
	;;#ASMEND
	;;#ASMSTART
	v_dot2_f32_f16 v34, v60, v52, v34
	;;#ASMEND
	;;#ASMSTART
	v_dot2_f32_f16 v34, v61, v53, v34
	;;#ASMEND
	;;#ASMSTART
	v_dot2_f32_f16 v35, v58, v54, v35
	;;#ASMEND
	;;#ASMSTART
	v_dot2_f32_f16 v35, v59, v55, v35
	;;#ASMEND
	;;#ASMSTART
	v_dot2_f32_f16 v35, v60, v56, v35
	;;#ASMEND
	;;#ASMSTART
	v_dot2_f32_f16 v35, v61, v57, v35
	;;#ASMEND
	ds_load_b128 v[41:44], v121 offset:18528
	ds_load_b128 v[50:53], v122 offset:96
	ds_load_b128 v[54:57], v122 offset:1248
	ds_load_b128 v[58:61], v121 offset:23136
	s_waitcnt lgkmcnt(2)
	;;#ASMSTART
	v_dot2_f32_f16 v32, v41, v50, v32
	;;#ASMEND
	;;#ASMSTART
	v_dot2_f32_f16 v32, v42, v51, v32
	;;#ASMEND
	;;#ASMSTART
	v_dot2_f32_f16 v32, v43, v52, v32
	;;#ASMEND
	;;#ASMSTART
	v_dot2_f32_f16 v32, v44, v53, v32
	;;#ASMEND
	s_waitcnt lgkmcnt(1)
	;;#ASMSTART
	v_dot2_f32_f16 v33, v41, v54, v33
	;;#ASMEND
	;;#ASMSTART
	v_dot2_f32_f16 v33, v42, v55, v33
	;;#ASMEND
	;;#ASMSTART
	v_dot2_f32_f16 v33, v43, v56, v33
	;;#ASMEND
	;;#ASMSTART
	v_dot2_f32_f16 v33, v44, v57, v33
	;;#ASMEND
	s_waitcnt lgkmcnt(0)
	;;#ASMSTART
	v_dot2_f32_f16 v34, v58, v50, v34
	;;#ASMEND
	;;#ASMSTART
	v_dot2_f32_f16 v34, v59, v51, v34
	;;#ASMEND
	;;#ASMSTART
	v_dot2_f32_f16 v34, v60, v52, v34
	;;#ASMEND
	;;#ASMSTART
	v_dot2_f32_f16 v34, v61, v53, v34
	;;#ASMEND
	;;#ASMSTART
	v_dot2_f32_f16 v35, v58, v54, v35
	;;#ASMEND
	;;#ASMSTART
	v_dot2_f32_f16 v35, v59, v55, v35
	;;#ASMEND
	;;#ASMSTART
	v_dot2_f32_f16 v35, v60, v56, v35
	;;#ASMEND
	;;#ASMSTART
	v_dot2_f32_f16 v35, v61, v57, v35
	;;#ASMEND
	ds_load_b128 v[41:44], v121 offset:18544
	ds_load_b128 v[50:53], v122 offset:112
	ds_load_b128 v[54:57], v122 offset:1264
	ds_load_b128 v[58:61], v121 offset:23152
	s_waitcnt lgkmcnt(2)
	;;#ASMSTART
	v_dot2_f32_f16 v32, v41, v50, v32
	;;#ASMEND
	;;#ASMSTART
	v_dot2_f32_f16 v32, v42, v51, v32
	;;#ASMEND
	;;#ASMSTART
	v_dot2_f32_f16 v32, v43, v52, v32
	;;#ASMEND
	;;#ASMSTART
	v_dot2_f32_f16 v32, v44, v53, v32
	;;#ASMEND
	s_waitcnt lgkmcnt(1)
	;;#ASMSTART
	v_dot2_f32_f16 v33, v41, v54, v33
	;;#ASMEND
	;;#ASMSTART
	v_dot2_f32_f16 v33, v42, v55, v33
	;;#ASMEND
	;;#ASMSTART
	v_dot2_f32_f16 v33, v43, v56, v33
	;;#ASMEND
	;;#ASMSTART
	v_dot2_f32_f16 v33, v44, v57, v33
	;;#ASMEND
	;; [unrolled: 13-line block ×3, first 2 shown]
	;;#ASMSTART
	v_dot2_f32_f16 v35, v58, v54, v35
	;;#ASMEND
	;;#ASMSTART
	v_dot2_f32_f16 v35, v59, v55, v35
	;;#ASMEND
	;; [unrolled: 3-line block ×4, first 2 shown]
	s_barrier
	buffer_gl0_inv
	s_clause 0x1
	global_load_b128 v[41:44], v[12:13], off offset:128
	global_load_b128 v[50:53], v[10:11], off offset:128
	s_waitcnt vmcnt(1)
	ds_store_b128 v119, v[41:44]
	s_waitcnt vmcnt(0)
	ds_store_b128 v120, v[50:53]
	s_waitcnt lgkmcnt(0)
	s_barrier
	buffer_gl0_inv
	ds_load_b128 v[41:44], v121 offset:18432
	ds_load_b128 v[50:53], v122 offset:128
	ds_load_b128 v[54:57], v122 offset:1280
	ds_load_b128 v[58:61], v121 offset:23040
	s_waitcnt lgkmcnt(2)
	;;#ASMSTART
	v_dot2_f32_f16 v32, v41, v50, v32
	;;#ASMEND
	;;#ASMSTART
	v_dot2_f32_f16 v32, v42, v51, v32
	;;#ASMEND
	;;#ASMSTART
	v_dot2_f32_f16 v32, v43, v52, v32
	;;#ASMEND
	;;#ASMSTART
	v_dot2_f32_f16 v32, v44, v53, v32
	;;#ASMEND
	s_waitcnt lgkmcnt(1)
	;;#ASMSTART
	v_dot2_f32_f16 v33, v41, v54, v33
	;;#ASMEND
	;;#ASMSTART
	v_dot2_f32_f16 v33, v42, v55, v33
	;;#ASMEND
	;;#ASMSTART
	v_dot2_f32_f16 v33, v43, v56, v33
	;;#ASMEND
	;;#ASMSTART
	v_dot2_f32_f16 v33, v44, v57, v33
	;;#ASMEND
	s_waitcnt lgkmcnt(0)
	;;#ASMSTART
	v_dot2_f32_f16 v34, v58, v50, v34
	;;#ASMEND
	;;#ASMSTART
	v_dot2_f32_f16 v34, v59, v51, v34
	;;#ASMEND
	;;#ASMSTART
	v_dot2_f32_f16 v34, v60, v52, v34
	;;#ASMEND
	;;#ASMSTART
	v_dot2_f32_f16 v34, v61, v53, v34
	;;#ASMEND
	;;#ASMSTART
	v_dot2_f32_f16 v35, v58, v54, v35
	;;#ASMEND
	;;#ASMSTART
	v_dot2_f32_f16 v35, v59, v55, v35
	;;#ASMEND
	;;#ASMSTART
	v_dot2_f32_f16 v35, v60, v56, v35
	;;#ASMEND
	;;#ASMSTART
	v_dot2_f32_f16 v35, v61, v57, v35
	;;#ASMEND
	ds_load_b128 v[41:44], v121 offset:18448
	ds_load_b128 v[50:53], v122 offset:144
	ds_load_b128 v[54:57], v122 offset:1296
	ds_load_b128 v[58:61], v121 offset:23056
	s_waitcnt lgkmcnt(2)
	;;#ASMSTART
	v_dot2_f32_f16 v32, v41, v50, v32
	;;#ASMEND
	;;#ASMSTART
	v_dot2_f32_f16 v32, v42, v51, v32
	;;#ASMEND
	;;#ASMSTART
	v_dot2_f32_f16 v32, v43, v52, v32
	;;#ASMEND
	;;#ASMSTART
	v_dot2_f32_f16 v32, v44, v53, v32
	;;#ASMEND
	s_waitcnt lgkmcnt(1)
	;;#ASMSTART
	v_dot2_f32_f16 v33, v41, v54, v33
	;;#ASMEND
	;;#ASMSTART
	v_dot2_f32_f16 v33, v42, v55, v33
	;;#ASMEND
	;;#ASMSTART
	v_dot2_f32_f16 v33, v43, v56, v33
	;;#ASMEND
	;;#ASMSTART
	v_dot2_f32_f16 v33, v44, v57, v33
	;;#ASMEND
	s_waitcnt lgkmcnt(0)
	;;#ASMSTART
	v_dot2_f32_f16 v34, v58, v50, v34
	;;#ASMEND
	;;#ASMSTART
	v_dot2_f32_f16 v34, v59, v51, v34
	;;#ASMEND
	;;#ASMSTART
	v_dot2_f32_f16 v34, v60, v52, v34
	;;#ASMEND
	;;#ASMSTART
	v_dot2_f32_f16 v34, v61, v53, v34
	;;#ASMEND
	;;#ASMSTART
	v_dot2_f32_f16 v35, v58, v54, v35
	;;#ASMEND
	;;#ASMSTART
	v_dot2_f32_f16 v35, v59, v55, v35
	;;#ASMEND
	;;#ASMSTART
	v_dot2_f32_f16 v35, v60, v56, v35
	;;#ASMEND
	;;#ASMSTART
	v_dot2_f32_f16 v35, v61, v57, v35
	;;#ASMEND
	;; [unrolled: 55-line block ×8, first 2 shown]
	s_barrier
	buffer_gl0_inv
	s_clause 0x1
	global_load_b128 v[41:44], v[12:13], off offset:256
	global_load_b128 v[50:53], v[10:11], off offset:256
	s_waitcnt vmcnt(1)
	ds_store_b128 v119, v[41:44]
	s_waitcnt vmcnt(0)
	ds_store_b128 v120, v[50:53]
	s_waitcnt lgkmcnt(0)
	s_barrier
	buffer_gl0_inv
	ds_load_b128 v[41:44], v121 offset:18432
	ds_load_b128 v[50:53], v122 offset:256
	ds_load_b128 v[54:57], v122 offset:1408
	ds_load_b128 v[58:61], v121 offset:23040
	s_waitcnt lgkmcnt(2)
	;;#ASMSTART
	v_dot2_f32_f16 v32, v41, v50, v32
	;;#ASMEND
	;;#ASMSTART
	v_dot2_f32_f16 v32, v42, v51, v32
	;;#ASMEND
	;;#ASMSTART
	v_dot2_f32_f16 v32, v43, v52, v32
	;;#ASMEND
	;;#ASMSTART
	v_dot2_f32_f16 v32, v44, v53, v32
	;;#ASMEND
	s_waitcnt lgkmcnt(1)
	;;#ASMSTART
	v_dot2_f32_f16 v33, v41, v54, v33
	;;#ASMEND
	;;#ASMSTART
	v_dot2_f32_f16 v33, v42, v55, v33
	;;#ASMEND
	;;#ASMSTART
	v_dot2_f32_f16 v33, v43, v56, v33
	;;#ASMEND
	;;#ASMSTART
	v_dot2_f32_f16 v33, v44, v57, v33
	;;#ASMEND
	s_waitcnt lgkmcnt(0)
	;;#ASMSTART
	v_dot2_f32_f16 v34, v58, v50, v34
	;;#ASMEND
	;;#ASMSTART
	v_dot2_f32_f16 v34, v59, v51, v34
	;;#ASMEND
	;;#ASMSTART
	v_dot2_f32_f16 v34, v60, v52, v34
	;;#ASMEND
	;;#ASMSTART
	v_dot2_f32_f16 v34, v61, v53, v34
	;;#ASMEND
	;;#ASMSTART
	v_dot2_f32_f16 v35, v58, v54, v35
	;;#ASMEND
	;;#ASMSTART
	v_dot2_f32_f16 v35, v59, v55, v35
	;;#ASMEND
	;;#ASMSTART
	v_dot2_f32_f16 v35, v60, v56, v35
	;;#ASMEND
	;;#ASMSTART
	v_dot2_f32_f16 v35, v61, v57, v35
	;;#ASMEND
	ds_load_b128 v[41:44], v121 offset:18448
	ds_load_b128 v[50:53], v122 offset:272
	ds_load_b128 v[54:57], v122 offset:1424
	ds_load_b128 v[58:61], v121 offset:23056
	s_waitcnt lgkmcnt(2)
	;;#ASMSTART
	v_dot2_f32_f16 v32, v41, v50, v32
	;;#ASMEND
	;;#ASMSTART
	v_dot2_f32_f16 v32, v42, v51, v32
	;;#ASMEND
	;;#ASMSTART
	v_dot2_f32_f16 v32, v43, v52, v32
	;;#ASMEND
	;;#ASMSTART
	v_dot2_f32_f16 v32, v44, v53, v32
	;;#ASMEND
	s_waitcnt lgkmcnt(1)
	;;#ASMSTART
	v_dot2_f32_f16 v33, v41, v54, v33
	;;#ASMEND
	;;#ASMSTART
	v_dot2_f32_f16 v33, v42, v55, v33
	;;#ASMEND
	;;#ASMSTART
	v_dot2_f32_f16 v33, v43, v56, v33
	;;#ASMEND
	;;#ASMSTART
	v_dot2_f32_f16 v33, v44, v57, v33
	;;#ASMEND
	s_waitcnt lgkmcnt(0)
	;;#ASMSTART
	v_dot2_f32_f16 v34, v58, v50, v34
	;;#ASMEND
	;;#ASMSTART
	v_dot2_f32_f16 v34, v59, v51, v34
	;;#ASMEND
	;;#ASMSTART
	v_dot2_f32_f16 v34, v60, v52, v34
	;;#ASMEND
	;;#ASMSTART
	v_dot2_f32_f16 v34, v61, v53, v34
	;;#ASMEND
	;;#ASMSTART
	v_dot2_f32_f16 v35, v58, v54, v35
	;;#ASMEND
	;;#ASMSTART
	v_dot2_f32_f16 v35, v59, v55, v35
	;;#ASMEND
	;;#ASMSTART
	v_dot2_f32_f16 v35, v60, v56, v35
	;;#ASMEND
	;;#ASMSTART
	v_dot2_f32_f16 v35, v61, v57, v35
	;;#ASMEND
	;; [unrolled: 55-line block ×8, first 2 shown]
	s_barrier
	buffer_gl0_inv
	s_clause 0x1
	global_load_b128 v[41:44], v[12:13], off offset:384
	global_load_b128 v[50:53], v[10:11], off offset:384
	s_waitcnt vmcnt(1)
	ds_store_b128 v119, v[41:44]
	s_waitcnt vmcnt(0)
	ds_store_b128 v120, v[50:53]
	s_waitcnt lgkmcnt(0)
	s_barrier
	buffer_gl0_inv
	ds_load_b128 v[41:44], v121 offset:18432
	ds_load_b128 v[50:53], v122 offset:384
	ds_load_b128 v[54:57], v122 offset:1536
	ds_load_b128 v[58:61], v121 offset:23040
	s_waitcnt lgkmcnt(2)
	;;#ASMSTART
	v_dot2_f32_f16 v32, v41, v50, v32
	;;#ASMEND
	;;#ASMSTART
	v_dot2_f32_f16 v32, v42, v51, v32
	;;#ASMEND
	;;#ASMSTART
	v_dot2_f32_f16 v32, v43, v52, v32
	;;#ASMEND
	;;#ASMSTART
	v_dot2_f32_f16 v32, v44, v53, v32
	;;#ASMEND
	s_waitcnt lgkmcnt(1)
	;;#ASMSTART
	v_dot2_f32_f16 v33, v41, v54, v33
	;;#ASMEND
	;;#ASMSTART
	v_dot2_f32_f16 v33, v42, v55, v33
	;;#ASMEND
	;;#ASMSTART
	v_dot2_f32_f16 v33, v43, v56, v33
	;;#ASMEND
	;;#ASMSTART
	v_dot2_f32_f16 v33, v44, v57, v33
	;;#ASMEND
	s_waitcnt lgkmcnt(0)
	;;#ASMSTART
	v_dot2_f32_f16 v34, v58, v50, v34
	;;#ASMEND
	;;#ASMSTART
	v_dot2_f32_f16 v34, v59, v51, v34
	;;#ASMEND
	;;#ASMSTART
	v_dot2_f32_f16 v34, v60, v52, v34
	;;#ASMEND
	;;#ASMSTART
	v_dot2_f32_f16 v34, v61, v53, v34
	;;#ASMEND
	;;#ASMSTART
	v_dot2_f32_f16 v35, v58, v54, v35
	;;#ASMEND
	;;#ASMSTART
	v_dot2_f32_f16 v35, v59, v55, v35
	;;#ASMEND
	;;#ASMSTART
	v_dot2_f32_f16 v35, v60, v56, v35
	;;#ASMEND
	;;#ASMSTART
	v_dot2_f32_f16 v35, v61, v57, v35
	;;#ASMEND
	ds_load_b128 v[41:44], v121 offset:18448
	ds_load_b128 v[50:53], v122 offset:400
	ds_load_b128 v[54:57], v122 offset:1552
	ds_load_b128 v[58:61], v121 offset:23056
	s_waitcnt lgkmcnt(2)
	;;#ASMSTART
	v_dot2_f32_f16 v32, v41, v50, v32
	;;#ASMEND
	;;#ASMSTART
	v_dot2_f32_f16 v32, v42, v51, v32
	;;#ASMEND
	;;#ASMSTART
	v_dot2_f32_f16 v32, v43, v52, v32
	;;#ASMEND
	;;#ASMSTART
	v_dot2_f32_f16 v32, v44, v53, v32
	;;#ASMEND
	s_waitcnt lgkmcnt(1)
	;;#ASMSTART
	v_dot2_f32_f16 v33, v41, v54, v33
	;;#ASMEND
	;;#ASMSTART
	v_dot2_f32_f16 v33, v42, v55, v33
	;;#ASMEND
	;;#ASMSTART
	v_dot2_f32_f16 v33, v43, v56, v33
	;;#ASMEND
	;;#ASMSTART
	v_dot2_f32_f16 v33, v44, v57, v33
	;;#ASMEND
	s_waitcnt lgkmcnt(0)
	;;#ASMSTART
	v_dot2_f32_f16 v34, v58, v50, v34
	;;#ASMEND
	;;#ASMSTART
	v_dot2_f32_f16 v34, v59, v51, v34
	;;#ASMEND
	;;#ASMSTART
	v_dot2_f32_f16 v34, v60, v52, v34
	;;#ASMEND
	;;#ASMSTART
	v_dot2_f32_f16 v34, v61, v53, v34
	;;#ASMEND
	;;#ASMSTART
	v_dot2_f32_f16 v35, v58, v54, v35
	;;#ASMEND
	;;#ASMSTART
	v_dot2_f32_f16 v35, v59, v55, v35
	;;#ASMEND
	;;#ASMSTART
	v_dot2_f32_f16 v35, v60, v56, v35
	;;#ASMEND
	;;#ASMSTART
	v_dot2_f32_f16 v35, v61, v57, v35
	;;#ASMEND
	;; [unrolled: 55-line block ×8, first 2 shown]
	s_barrier
	buffer_gl0_inv
	s_clause 0x1
	global_load_b128 v[41:44], v[12:13], off offset:512
	global_load_b128 v[50:53], v[10:11], off offset:512
	s_waitcnt vmcnt(1)
	ds_store_b128 v119, v[41:44]
	s_waitcnt vmcnt(0)
	ds_store_b128 v120, v[50:53]
	s_waitcnt lgkmcnt(0)
	s_barrier
	buffer_gl0_inv
	ds_load_b128 v[41:44], v121 offset:18432
	ds_load_b128 v[50:53], v122 offset:512
	ds_load_b128 v[54:57], v122 offset:1664
	ds_load_b128 v[58:61], v121 offset:23040
	s_waitcnt lgkmcnt(2)
	;;#ASMSTART
	v_dot2_f32_f16 v32, v41, v50, v32
	;;#ASMEND
	;;#ASMSTART
	v_dot2_f32_f16 v32, v42, v51, v32
	;;#ASMEND
	;;#ASMSTART
	v_dot2_f32_f16 v32, v43, v52, v32
	;;#ASMEND
	;;#ASMSTART
	v_dot2_f32_f16 v32, v44, v53, v32
	;;#ASMEND
	s_waitcnt lgkmcnt(1)
	;;#ASMSTART
	v_dot2_f32_f16 v33, v41, v54, v33
	;;#ASMEND
	;;#ASMSTART
	v_dot2_f32_f16 v33, v42, v55, v33
	;;#ASMEND
	;;#ASMSTART
	v_dot2_f32_f16 v33, v43, v56, v33
	;;#ASMEND
	;;#ASMSTART
	v_dot2_f32_f16 v33, v44, v57, v33
	;;#ASMEND
	s_waitcnt lgkmcnt(0)
	;;#ASMSTART
	v_dot2_f32_f16 v34, v58, v50, v34
	;;#ASMEND
	;;#ASMSTART
	v_dot2_f32_f16 v34, v59, v51, v34
	;;#ASMEND
	;;#ASMSTART
	v_dot2_f32_f16 v34, v60, v52, v34
	;;#ASMEND
	;;#ASMSTART
	v_dot2_f32_f16 v34, v61, v53, v34
	;;#ASMEND
	;;#ASMSTART
	v_dot2_f32_f16 v35, v58, v54, v35
	;;#ASMEND
	;;#ASMSTART
	v_dot2_f32_f16 v35, v59, v55, v35
	;;#ASMEND
	;;#ASMSTART
	v_dot2_f32_f16 v35, v60, v56, v35
	;;#ASMEND
	;;#ASMSTART
	v_dot2_f32_f16 v35, v61, v57, v35
	;;#ASMEND
	ds_load_b128 v[41:44], v121 offset:18448
	ds_load_b128 v[50:53], v122 offset:528
	ds_load_b128 v[54:57], v122 offset:1680
	ds_load_b128 v[58:61], v121 offset:23056
	s_waitcnt lgkmcnt(2)
	;;#ASMSTART
	v_dot2_f32_f16 v32, v41, v50, v32
	;;#ASMEND
	;;#ASMSTART
	v_dot2_f32_f16 v32, v42, v51, v32
	;;#ASMEND
	;;#ASMSTART
	v_dot2_f32_f16 v32, v43, v52, v32
	;;#ASMEND
	;;#ASMSTART
	v_dot2_f32_f16 v32, v44, v53, v32
	;;#ASMEND
	s_waitcnt lgkmcnt(1)
	;;#ASMSTART
	v_dot2_f32_f16 v33, v41, v54, v33
	;;#ASMEND
	;;#ASMSTART
	v_dot2_f32_f16 v33, v42, v55, v33
	;;#ASMEND
	;;#ASMSTART
	v_dot2_f32_f16 v33, v43, v56, v33
	;;#ASMEND
	;;#ASMSTART
	v_dot2_f32_f16 v33, v44, v57, v33
	;;#ASMEND
	s_waitcnt lgkmcnt(0)
	;;#ASMSTART
	v_dot2_f32_f16 v34, v58, v50, v34
	;;#ASMEND
	;;#ASMSTART
	v_dot2_f32_f16 v34, v59, v51, v34
	;;#ASMEND
	;;#ASMSTART
	v_dot2_f32_f16 v34, v60, v52, v34
	;;#ASMEND
	;;#ASMSTART
	v_dot2_f32_f16 v34, v61, v53, v34
	;;#ASMEND
	;;#ASMSTART
	v_dot2_f32_f16 v35, v58, v54, v35
	;;#ASMEND
	;;#ASMSTART
	v_dot2_f32_f16 v35, v59, v55, v35
	;;#ASMEND
	;;#ASMSTART
	v_dot2_f32_f16 v35, v60, v56, v35
	;;#ASMEND
	;;#ASMSTART
	v_dot2_f32_f16 v35, v61, v57, v35
	;;#ASMEND
	;; [unrolled: 55-line block ×8, first 2 shown]
	s_barrier
	buffer_gl0_inv
	s_clause 0x1
	global_load_b128 v[41:44], v[12:13], off offset:640
	global_load_b128 v[50:53], v[10:11], off offset:640
	s_waitcnt vmcnt(1)
	ds_store_b128 v119, v[41:44]
	s_waitcnt vmcnt(0)
	ds_store_b128 v120, v[50:53]
	s_waitcnt lgkmcnt(0)
	s_barrier
	buffer_gl0_inv
	ds_load_b128 v[41:44], v121 offset:18432
	ds_load_b128 v[50:53], v122 offset:640
	ds_load_b128 v[54:57], v122 offset:1792
	ds_load_b128 v[58:61], v121 offset:23040
	s_waitcnt lgkmcnt(2)
	;;#ASMSTART
	v_dot2_f32_f16 v32, v41, v50, v32
	;;#ASMEND
	;;#ASMSTART
	v_dot2_f32_f16 v32, v42, v51, v32
	;;#ASMEND
	;;#ASMSTART
	v_dot2_f32_f16 v32, v43, v52, v32
	;;#ASMEND
	;;#ASMSTART
	v_dot2_f32_f16 v32, v44, v53, v32
	;;#ASMEND
	s_waitcnt lgkmcnt(1)
	;;#ASMSTART
	v_dot2_f32_f16 v33, v41, v54, v33
	;;#ASMEND
	;;#ASMSTART
	v_dot2_f32_f16 v33, v42, v55, v33
	;;#ASMEND
	;;#ASMSTART
	v_dot2_f32_f16 v33, v43, v56, v33
	;;#ASMEND
	;;#ASMSTART
	v_dot2_f32_f16 v33, v44, v57, v33
	;;#ASMEND
	s_waitcnt lgkmcnt(0)
	;;#ASMSTART
	v_dot2_f32_f16 v34, v58, v50, v34
	;;#ASMEND
	;;#ASMSTART
	v_dot2_f32_f16 v34, v59, v51, v34
	;;#ASMEND
	;;#ASMSTART
	v_dot2_f32_f16 v34, v60, v52, v34
	;;#ASMEND
	;;#ASMSTART
	v_dot2_f32_f16 v34, v61, v53, v34
	;;#ASMEND
	;;#ASMSTART
	v_dot2_f32_f16 v35, v58, v54, v35
	;;#ASMEND
	;;#ASMSTART
	v_dot2_f32_f16 v35, v59, v55, v35
	;;#ASMEND
	;;#ASMSTART
	v_dot2_f32_f16 v35, v60, v56, v35
	;;#ASMEND
	;;#ASMSTART
	v_dot2_f32_f16 v35, v61, v57, v35
	;;#ASMEND
	ds_load_b128 v[41:44], v121 offset:18448
	ds_load_b128 v[50:53], v122 offset:656
	ds_load_b128 v[54:57], v122 offset:1808
	ds_load_b128 v[58:61], v121 offset:23056
	s_waitcnt lgkmcnt(2)
	;;#ASMSTART
	v_dot2_f32_f16 v32, v41, v50, v32
	;;#ASMEND
	;;#ASMSTART
	v_dot2_f32_f16 v32, v42, v51, v32
	;;#ASMEND
	;;#ASMSTART
	v_dot2_f32_f16 v32, v43, v52, v32
	;;#ASMEND
	;;#ASMSTART
	v_dot2_f32_f16 v32, v44, v53, v32
	;;#ASMEND
	s_waitcnt lgkmcnt(1)
	;;#ASMSTART
	v_dot2_f32_f16 v33, v41, v54, v33
	;;#ASMEND
	;;#ASMSTART
	v_dot2_f32_f16 v33, v42, v55, v33
	;;#ASMEND
	;;#ASMSTART
	v_dot2_f32_f16 v33, v43, v56, v33
	;;#ASMEND
	;;#ASMSTART
	v_dot2_f32_f16 v33, v44, v57, v33
	;;#ASMEND
	s_waitcnt lgkmcnt(0)
	;;#ASMSTART
	v_dot2_f32_f16 v34, v58, v50, v34
	;;#ASMEND
	;;#ASMSTART
	v_dot2_f32_f16 v34, v59, v51, v34
	;;#ASMEND
	;;#ASMSTART
	v_dot2_f32_f16 v34, v60, v52, v34
	;;#ASMEND
	;;#ASMSTART
	v_dot2_f32_f16 v34, v61, v53, v34
	;;#ASMEND
	;;#ASMSTART
	v_dot2_f32_f16 v35, v58, v54, v35
	;;#ASMEND
	;;#ASMSTART
	v_dot2_f32_f16 v35, v59, v55, v35
	;;#ASMEND
	;;#ASMSTART
	v_dot2_f32_f16 v35, v60, v56, v35
	;;#ASMEND
	;;#ASMSTART
	v_dot2_f32_f16 v35, v61, v57, v35
	;;#ASMEND
	;; [unrolled: 55-line block ×8, first 2 shown]
	s_barrier
	buffer_gl0_inv
	s_clause 0x1
	global_load_b128 v[41:44], v[12:13], off offset:768
	global_load_b128 v[50:53], v[10:11], off offset:768
	s_waitcnt vmcnt(1)
	ds_store_b128 v119, v[41:44]
	s_waitcnt vmcnt(0)
	ds_store_b128 v120, v[50:53]
	s_waitcnt lgkmcnt(0)
	s_barrier
	buffer_gl0_inv
	ds_load_b128 v[41:44], v121 offset:18432
	ds_load_b128 v[50:53], v122 offset:768
	ds_load_b128 v[54:57], v122 offset:1920
	ds_load_b128 v[58:61], v121 offset:23040
	s_waitcnt lgkmcnt(2)
	;;#ASMSTART
	v_dot2_f32_f16 v32, v41, v50, v32
	;;#ASMEND
	;;#ASMSTART
	v_dot2_f32_f16 v32, v42, v51, v32
	;;#ASMEND
	;;#ASMSTART
	v_dot2_f32_f16 v32, v43, v52, v32
	;;#ASMEND
	;;#ASMSTART
	v_dot2_f32_f16 v32, v44, v53, v32
	;;#ASMEND
	s_waitcnt lgkmcnt(1)
	;;#ASMSTART
	v_dot2_f32_f16 v33, v41, v54, v33
	;;#ASMEND
	;;#ASMSTART
	v_dot2_f32_f16 v33, v42, v55, v33
	;;#ASMEND
	;;#ASMSTART
	v_dot2_f32_f16 v33, v43, v56, v33
	;;#ASMEND
	;;#ASMSTART
	v_dot2_f32_f16 v33, v44, v57, v33
	;;#ASMEND
	s_waitcnt lgkmcnt(0)
	;;#ASMSTART
	v_dot2_f32_f16 v34, v58, v50, v34
	;;#ASMEND
	;;#ASMSTART
	v_dot2_f32_f16 v34, v59, v51, v34
	;;#ASMEND
	;;#ASMSTART
	v_dot2_f32_f16 v34, v60, v52, v34
	;;#ASMEND
	;;#ASMSTART
	v_dot2_f32_f16 v34, v61, v53, v34
	;;#ASMEND
	;;#ASMSTART
	v_dot2_f32_f16 v35, v58, v54, v35
	;;#ASMEND
	;;#ASMSTART
	v_dot2_f32_f16 v35, v59, v55, v35
	;;#ASMEND
	;;#ASMSTART
	v_dot2_f32_f16 v35, v60, v56, v35
	;;#ASMEND
	;;#ASMSTART
	v_dot2_f32_f16 v35, v61, v57, v35
	;;#ASMEND
	ds_load_b128 v[41:44], v121 offset:18448
	ds_load_b128 v[50:53], v122 offset:784
	ds_load_b128 v[54:57], v122 offset:1936
	ds_load_b128 v[58:61], v121 offset:23056
	s_waitcnt lgkmcnt(2)
	;;#ASMSTART
	v_dot2_f32_f16 v32, v41, v50, v32
	;;#ASMEND
	;;#ASMSTART
	v_dot2_f32_f16 v32, v42, v51, v32
	;;#ASMEND
	;;#ASMSTART
	v_dot2_f32_f16 v32, v43, v52, v32
	;;#ASMEND
	;;#ASMSTART
	v_dot2_f32_f16 v32, v44, v53, v32
	;;#ASMEND
	s_waitcnt lgkmcnt(1)
	;;#ASMSTART
	v_dot2_f32_f16 v33, v41, v54, v33
	;;#ASMEND
	;;#ASMSTART
	v_dot2_f32_f16 v33, v42, v55, v33
	;;#ASMEND
	;;#ASMSTART
	v_dot2_f32_f16 v33, v43, v56, v33
	;;#ASMEND
	;;#ASMSTART
	v_dot2_f32_f16 v33, v44, v57, v33
	;;#ASMEND
	s_waitcnt lgkmcnt(0)
	;;#ASMSTART
	v_dot2_f32_f16 v34, v58, v50, v34
	;;#ASMEND
	;;#ASMSTART
	v_dot2_f32_f16 v34, v59, v51, v34
	;;#ASMEND
	;;#ASMSTART
	v_dot2_f32_f16 v34, v60, v52, v34
	;;#ASMEND
	;;#ASMSTART
	v_dot2_f32_f16 v34, v61, v53, v34
	;;#ASMEND
	;;#ASMSTART
	v_dot2_f32_f16 v35, v58, v54, v35
	;;#ASMEND
	;;#ASMSTART
	v_dot2_f32_f16 v35, v59, v55, v35
	;;#ASMEND
	;;#ASMSTART
	v_dot2_f32_f16 v35, v60, v56, v35
	;;#ASMEND
	;;#ASMSTART
	v_dot2_f32_f16 v35, v61, v57, v35
	;;#ASMEND
	;; [unrolled: 55-line block ×8, first 2 shown]
	s_barrier
	buffer_gl0_inv
	s_clause 0x1
	global_load_b128 v[41:44], v[12:13], off offset:896
	global_load_b128 v[50:53], v[10:11], off offset:896
	s_waitcnt vmcnt(1)
	ds_store_b128 v119, v[41:44]
	s_waitcnt vmcnt(0)
	ds_store_b128 v120, v[50:53]
	s_waitcnt lgkmcnt(0)
	s_barrier
	buffer_gl0_inv
	ds_load_b128 v[41:44], v121 offset:18432
	ds_load_b128 v[50:53], v122 offset:896
	ds_load_b128 v[54:57], v122 offset:2048
	ds_load_b128 v[58:61], v121 offset:23040
	s_waitcnt lgkmcnt(2)
	;;#ASMSTART
	v_dot2_f32_f16 v32, v41, v50, v32
	;;#ASMEND
	;;#ASMSTART
	v_dot2_f32_f16 v32, v42, v51, v32
	;;#ASMEND
	;;#ASMSTART
	v_dot2_f32_f16 v32, v43, v52, v32
	;;#ASMEND
	;;#ASMSTART
	v_dot2_f32_f16 v32, v44, v53, v32
	;;#ASMEND
	s_waitcnt lgkmcnt(1)
	;;#ASMSTART
	v_dot2_f32_f16 v33, v41, v54, v33
	;;#ASMEND
	;;#ASMSTART
	v_dot2_f32_f16 v33, v42, v55, v33
	;;#ASMEND
	;;#ASMSTART
	v_dot2_f32_f16 v33, v43, v56, v33
	;;#ASMEND
	;;#ASMSTART
	v_dot2_f32_f16 v33, v44, v57, v33
	;;#ASMEND
	s_waitcnt lgkmcnt(0)
	;;#ASMSTART
	v_dot2_f32_f16 v34, v58, v50, v34
	;;#ASMEND
	;;#ASMSTART
	v_dot2_f32_f16 v34, v59, v51, v34
	;;#ASMEND
	;;#ASMSTART
	v_dot2_f32_f16 v34, v60, v52, v34
	;;#ASMEND
	;;#ASMSTART
	v_dot2_f32_f16 v34, v61, v53, v34
	;;#ASMEND
	;;#ASMSTART
	v_dot2_f32_f16 v35, v58, v54, v35
	;;#ASMEND
	;;#ASMSTART
	v_dot2_f32_f16 v35, v59, v55, v35
	;;#ASMEND
	;;#ASMSTART
	v_dot2_f32_f16 v35, v60, v56, v35
	;;#ASMEND
	;;#ASMSTART
	v_dot2_f32_f16 v35, v61, v57, v35
	;;#ASMEND
	ds_load_b128 v[41:44], v121 offset:18448
	ds_load_b128 v[50:53], v122 offset:912
	ds_load_b128 v[54:57], v122 offset:2064
	ds_load_b128 v[58:61], v121 offset:23056
	s_waitcnt lgkmcnt(2)
	;;#ASMSTART
	v_dot2_f32_f16 v32, v41, v50, v32
	;;#ASMEND
	;;#ASMSTART
	v_dot2_f32_f16 v32, v42, v51, v32
	;;#ASMEND
	;;#ASMSTART
	v_dot2_f32_f16 v32, v43, v52, v32
	;;#ASMEND
	;;#ASMSTART
	v_dot2_f32_f16 v32, v44, v53, v32
	;;#ASMEND
	s_waitcnt lgkmcnt(1)
	;;#ASMSTART
	v_dot2_f32_f16 v33, v41, v54, v33
	;;#ASMEND
	;;#ASMSTART
	v_dot2_f32_f16 v33, v42, v55, v33
	;;#ASMEND
	;;#ASMSTART
	v_dot2_f32_f16 v33, v43, v56, v33
	;;#ASMEND
	;;#ASMSTART
	v_dot2_f32_f16 v33, v44, v57, v33
	;;#ASMEND
	s_waitcnt lgkmcnt(0)
	;;#ASMSTART
	v_dot2_f32_f16 v34, v58, v50, v34
	;;#ASMEND
	;;#ASMSTART
	v_dot2_f32_f16 v34, v59, v51, v34
	;;#ASMEND
	;;#ASMSTART
	v_dot2_f32_f16 v34, v60, v52, v34
	;;#ASMEND
	;;#ASMSTART
	v_dot2_f32_f16 v34, v61, v53, v34
	;;#ASMEND
	;;#ASMSTART
	v_dot2_f32_f16 v35, v58, v54, v35
	;;#ASMEND
	;;#ASMSTART
	v_dot2_f32_f16 v35, v59, v55, v35
	;;#ASMEND
	;;#ASMSTART
	v_dot2_f32_f16 v35, v60, v56, v35
	;;#ASMEND
	;;#ASMSTART
	v_dot2_f32_f16 v35, v61, v57, v35
	;;#ASMEND
	;; [unrolled: 55-line block ×8, first 2 shown]
	s_barrier
	buffer_gl0_inv
	s_clause 0x1
	global_load_b128 v[41:44], v[12:13], off offset:1024
	global_load_b128 v[10:13], v[10:11], off offset:1024
	s_waitcnt vmcnt(1)
	ds_store_b128 v119, v[41:44]
	s_waitcnt vmcnt(0)
	ds_store_b128 v120, v[10:13]
	s_waitcnt lgkmcnt(0)
	s_barrier
	buffer_gl0_inv
	ds_load_b128 v[10:13], v121 offset:18432
	ds_load_b128 v[41:44], v122 offset:1024
	ds_load_b128 v[50:53], v122 offset:2176
	ds_load_b128 v[54:57], v121 offset:23040
	s_waitcnt lgkmcnt(2)
	;;#ASMSTART
	v_dot2_f32_f16 v32, v10, v41, v32
	;;#ASMEND
	;;#ASMSTART
	v_dot2_f32_f16 v32, v11, v42, v32
	;;#ASMEND
	;;#ASMSTART
	v_dot2_f32_f16 v32, v12, v43, v32
	;;#ASMEND
	;;#ASMSTART
	v_dot2_f32_f16 v32, v13, v44, v32
	;;#ASMEND
	s_waitcnt lgkmcnt(1)
	;;#ASMSTART
	v_dot2_f32_f16 v33, v10, v50, v33
	;;#ASMEND
	;;#ASMSTART
	v_dot2_f32_f16 v33, v11, v51, v33
	;;#ASMEND
	;;#ASMSTART
	v_dot2_f32_f16 v33, v12, v52, v33
	;;#ASMEND
	;;#ASMSTART
	v_dot2_f32_f16 v33, v13, v53, v33
	;;#ASMEND
	s_waitcnt lgkmcnt(0)
	;;#ASMSTART
	v_dot2_f32_f16 v34, v54, v41, v34
	;;#ASMEND
	;;#ASMSTART
	v_dot2_f32_f16 v34, v55, v42, v34
	;;#ASMEND
	;;#ASMSTART
	v_dot2_f32_f16 v34, v56, v43, v34
	;;#ASMEND
	;;#ASMSTART
	v_dot2_f32_f16 v34, v57, v44, v34
	;;#ASMEND
	;;#ASMSTART
	v_dot2_f32_f16 v35, v54, v50, v35
	;;#ASMEND
	;;#ASMSTART
	v_dot2_f32_f16 v35, v55, v51, v35
	;;#ASMEND
	;;#ASMSTART
	v_dot2_f32_f16 v35, v56, v52, v35
	;;#ASMEND
	;;#ASMSTART
	v_dot2_f32_f16 v35, v57, v53, v35
	;;#ASMEND
	ds_load_b128 v[10:13], v121 offset:18448
	ds_load_b128 v[41:44], v122 offset:1040
	ds_load_b128 v[50:53], v122 offset:2192
	ds_load_b128 v[54:57], v121 offset:23056
	s_waitcnt lgkmcnt(2)
	;;#ASMSTART
	v_dot2_f32_f16 v32, v10, v41, v32
	;;#ASMEND
	;;#ASMSTART
	v_dot2_f32_f16 v32, v11, v42, v32
	;;#ASMEND
	;;#ASMSTART
	v_dot2_f32_f16 v32, v12, v43, v32
	;;#ASMEND
	;;#ASMSTART
	v_dot2_f32_f16 v32, v13, v44, v32
	;;#ASMEND
	s_waitcnt lgkmcnt(1)
	;;#ASMSTART
	v_dot2_f32_f16 v33, v10, v50, v33
	;;#ASMEND
	;;#ASMSTART
	v_dot2_f32_f16 v33, v11, v51, v33
	;;#ASMEND
	;;#ASMSTART
	v_dot2_f32_f16 v33, v12, v52, v33
	;;#ASMEND
	;;#ASMSTART
	v_dot2_f32_f16 v33, v13, v53, v33
	;;#ASMEND
	s_waitcnt lgkmcnt(0)
	;;#ASMSTART
	v_dot2_f32_f16 v34, v54, v41, v34
	;;#ASMEND
	;;#ASMSTART
	v_dot2_f32_f16 v34, v55, v42, v34
	;;#ASMEND
	;;#ASMSTART
	v_dot2_f32_f16 v34, v56, v43, v34
	;;#ASMEND
	;;#ASMSTART
	v_dot2_f32_f16 v34, v57, v44, v34
	;;#ASMEND
	;;#ASMSTART
	v_dot2_f32_f16 v35, v54, v50, v35
	;;#ASMEND
	;;#ASMSTART
	v_dot2_f32_f16 v35, v55, v51, v35
	;;#ASMEND
	;;#ASMSTART
	v_dot2_f32_f16 v35, v56, v52, v35
	;;#ASMEND
	;;#ASMSTART
	v_dot2_f32_f16 v35, v57, v53, v35
	;;#ASMEND
	;; [unrolled: 55-line block ×7, first 2 shown]
	ds_load_b128 v[10:13], v121 offset:18544
	ds_load_b128 v[41:44], v122 offset:1136
	;; [unrolled: 1-line block ×4, first 2 shown]
	s_waitcnt lgkmcnt(2)
	;;#ASMSTART
	v_dot2_f32_f16 v32, v10, v41, v32
	;;#ASMEND
	;;#ASMSTART
	v_dot2_f32_f16 v32, v11, v42, v32
	;;#ASMEND
	;;#ASMSTART
	v_dot2_f32_f16 v32, v12, v43, v32
	;;#ASMEND
	;;#ASMSTART
	v_dot2_f32_f16 v32, v13, v44, v32
	;;#ASMEND
	s_waitcnt lgkmcnt(1)
	;;#ASMSTART
	v_dot2_f32_f16 v33, v10, v50, v33
	;;#ASMEND
	;;#ASMSTART
	v_dot2_f32_f16 v33, v11, v51, v33
	;;#ASMEND
	;;#ASMSTART
	v_dot2_f32_f16 v33, v12, v52, v33
	;;#ASMEND
	;;#ASMSTART
	v_dot2_f32_f16 v33, v13, v53, v33
	;;#ASMEND
	;; [unrolled: 13-line block ×3, first 2 shown]
	v_add_nc_u32_e32 v0, s13, v102
	;;#ASMSTART
	v_dot2_f32_f16 v35, v54, v50, v35
	;;#ASMEND
	;;#ASMSTART
	v_dot2_f32_f16 v35, v55, v51, v35
	;;#ASMEND
	;; [unrolled: 3-line block ×4, first 2 shown]
	v_ashrrev_i32_e32 v1, 31, v0
	v_mov_b32_e32 v183, v118
	s_delay_alu instid0(VALU_DEP_2) | instskip(SKIP_1) | instid1(VALU_DEP_1)
	v_lshlrev_b64 v[8:9], 1, v[0:1]
	v_add_co_u32 v0, s4, v127, s8
	v_add_co_ci_u32_e64 v1, s2, s9, v128, s4
	s_delay_alu instid0(VALU_DEP_3) | instskip(NEXT) | instid1(VALU_DEP_4)
	v_add_co_u32 v8, vcc_lo, s40, v8
	v_add_co_ci_u32_e32 v9, vcc_lo, s41, v9, vcc_lo
	s_clause 0x1
	flat_load_u16 v12, v[8:9]
	flat_load_u16 v13, v[8:9] offset:64
	s_waitcnt vmcnt(0) lgkmcnt(0)
	s_barrier
	buffer_gl0_inv
	s_clause 0x1
	global_load_b128 v[8:11], v[6:7], off
	global_load_b128 v[41:44], v[6:7], off offset:512
	v_cvt_f32_f16_e32 v6, v12
	v_cvt_f32_f16_e32 v7, v13
	v_lshlrev_b32_e32 v40, 2, v2
	v_add_co_u32 v2, s3, v127, s26
	s_delay_alu instid0(VALU_DEP_3) | instskip(SKIP_2) | instid1(VALU_DEP_3)
	v_dual_add_f32 v12, v32, v6 :: v_dual_add_f32 v13, v34, v7
	v_dual_add_f32 v7, v35, v7 :: v_dual_add_f32 v6, v33, v6
	v_add_co_ci_u32_e64 v3, s2, s27, v128, s3
	v_dual_add_f32 v32, 0x40051340, v12 :: v_dual_add_f32 v33, 0x40051340, v13
	s_delay_alu instid0(VALU_DEP_3) | instskip(NEXT) | instid1(VALU_DEP_2)
	v_dual_add_f32 v34, 0x40051340, v6 :: v_dual_add_f32 v35, 0x40051340, v7
	v_max3_f32 v32, v31, v32, v33
	s_delay_alu instid0(VALU_DEP_2) | instskip(SKIP_4) | instid1(VALU_DEP_1)
	v_max3_f32 v33, v30, v34, v35
	ds_bpermute_b32 v34, v40, v32
	ds_bpermute_b32 v35, v40, v33
	s_waitcnt lgkmcnt(0)
	v_max_f32_e32 v35, v35, v35
	v_max_f32_e32 v33, v33, v35
	ds_bpermute_b32 v35, v39, v33
	s_waitcnt lgkmcnt(0)
	v_dual_max_f32 v35, v35, v35 :: v_dual_max_f32 v34, v34, v34
	s_delay_alu instid0(VALU_DEP_1)
	v_max_f32_e32 v33, v33, v35
	ds_bpermute_b32 v35, v38, v33
	s_waitcnt lgkmcnt(0)
	v_dual_max_f32 v32, v32, v34 :: v_dual_max_f32 v35, v35, v35
	ds_bpermute_b32 v34, v39, v32
	v_max_f32_e32 v33, v33, v35
	ds_bpermute_b32 v35, v37, v33
	s_waitcnt lgkmcnt(1)
	v_max_f32_e32 v34, v34, v34
	s_waitcnt lgkmcnt(0)
	s_delay_alu instid0(VALU_DEP_1)
	v_dual_max_f32 v32, v32, v34 :: v_dual_max_f32 v35, v35, v35
	ds_bpermute_b32 v34, v38, v32
	v_max_f32_e32 v33, v33, v35
	ds_bpermute_b32 v35, v36, v33
	s_waitcnt lgkmcnt(1)
	v_max_f32_e32 v34, v34, v34
	s_waitcnt lgkmcnt(0)
	s_delay_alu instid0(VALU_DEP_1) | instskip(SKIP_2) | instid1(VALU_DEP_1)
	v_dual_max_f32 v32, v32, v34 :: v_dual_max_f32 v35, v35, v35
	ds_bpermute_b32 v34, v37, v32
	v_max_f32_e32 v108, v33, v35
	v_sub_f32_e32 v6, v6, v108
	v_sub_f32_e32 v7, v7, v108
	s_delay_alu instid0(VALU_DEP_2) | instskip(SKIP_1) | instid1(VALU_DEP_3)
	v_mul_f32_e32 v33, 0x3fb8aa3b, v6
	v_cmp_ngt_f32_e32 vcc_lo, 0xc2ce8ed0, v6
	v_cmp_ngt_f32_e64 s4, 0xc2ce8ed0, v7
	v_cmp_nlt_f32_e64 s7, 0x42b17218, v6
	v_cmp_nlt_f32_e64 s10, 0x42b17218, v7
	v_fma_f32 v40, 0x3fb8aa3b, v6, -v33
	s_waitcnt lgkmcnt(0)
	v_max_f32_e32 v34, v34, v34
	v_rndne_f32_e32 v45, v33
	s_delay_alu instid0(VALU_DEP_2) | instskip(SKIP_3) | instid1(VALU_DEP_1)
	v_max_f32_e32 v32, v32, v34
	ds_bpermute_b32 v34, v36, v32
	s_waitcnt lgkmcnt(0)
	v_max_f32_e32 v34, v34, v34
	v_max_f32_e32 v107, v32, v34
	s_delay_alu instid0(VALU_DEP_1) | instskip(SKIP_1) | instid1(VALU_DEP_2)
	v_dual_sub_f32 v31, v31, v107 :: v_dual_sub_f32 v30, v30, v108
	v_sub_f32_e32 v13, v13, v107
	v_mul_f32_e32 v35, 0x3fb8aa3b, v31
	s_delay_alu instid0(VALU_DEP_3) | instskip(SKIP_2) | instid1(VALU_DEP_4)
	v_dual_sub_f32 v12, v12, v107 :: v_dual_mul_f32 v37, 0x3fb8aa3b, v30
	v_cmp_ngt_f32_e64 s5, 0xc2ce8ed0, v30
	v_cmp_nlt_f32_e64 s11, 0x42b17218, v30
	v_fma_f32 v50, 0x3fb8aa3b, v31, -v35
	v_rndne_f32_e32 v51, v35
	v_fma_f32 v54, 0x3fb8aa3b, v30, -v37
	v_rndne_f32_e32 v55, v37
	v_mul_f32_e32 v32, 0x3fb8aa3b, v13
	v_cmp_ngt_f32_e64 s3, 0xc2ce8ed0, v31
	v_cmp_nlt_f32_e64 s9, 0x42b17218, v31
	v_fmac_f32_e32 v54, 0x32a5705f, v30
	v_sub_f32_e32 v30, v37, v55
	v_fmac_f32_e32 v50, 0x32a5705f, v31
	v_sub_f32_e32 v31, v35, v51
	v_fma_f32 v38, 0x3fb8aa3b, v13, -v32
	v_rndne_f32_e32 v39, v32
	v_add_f32_e32 v30, v30, v54
	v_cvt_i32_f32_e32 v37, v55
	v_mul_f32_e32 v34, 0x3fb8aa3b, v12
	v_cmp_ngt_f32_e64 s6, 0xc2ce8ed0, v13
	v_cmp_nlt_f32_e64 s12, 0x42b17218, v13
	v_exp_f32_e32 v30, v30
	v_dual_fmac_f32 v38, 0x32a5705f, v13 :: v_dual_add_f32 v31, v31, v50
	v_sub_f32_e32 v13, v32, v39
	v_mul_f32_e32 v36, 0x3fb8aa3b, v7
	v_fma_f32 v46, 0x3fb8aa3b, v12, -v34
	v_rndne_f32_e32 v47, v34
	v_cmp_ngt_f32_e64 s2, 0xc2ce8ed0, v12
	v_add_f32_e32 v13, v13, v38
	v_fma_f32 v52, 0x3fb8aa3b, v7, -v36
	s_delay_alu instid0(TRANS32_DEP_1)
	v_ldexp_f32 v30, v30, v37
	v_rndne_f32_e32 v53, v36
	v_cmp_nlt_f32_e64 s8, 0x42b17218, v12
	v_fmac_f32_e32 v40, 0x32a5705f, v6
	v_fmac_f32_e32 v46, 0x32a5705f, v12
	v_cndmask_b32_e64 v30, 0, v30, s5
	v_sub_f32_e32 v12, v34, v47
	v_exp_f32_e32 v13, v13
	v_cvt_i32_f32_e32 v32, v39
	v_cvt_i32_f32_e32 v34, v47
	v_cndmask_b32_e64 v134, 0x7f800000, v30, s11
	v_dual_fmac_f32 v52, 0x32a5705f, v7 :: v_dual_sub_f32 v7, v36, v53
	v_sub_f32_e32 v6, v33, v45
	v_add_f32_e32 v12, v12, v46
	v_cvt_i32_f32_e32 v33, v45
	v_cvt_i32_f32_e32 v36, v53
	v_add_f32_e32 v7, v7, v52
	v_add_f32_e32 v6, v6, v40
	v_exp_f32_e32 v12, v12
	v_exp_f32_e32 v31, v31
	v_cvt_i32_f32_e32 v35, v51
	v_exp_f32_e32 v7, v7
	v_exp_f32_e32 v6, v6
	v_ldexp_f32 v13, v13, v32
	v_cvt_f16_f32_e64 v95, v134
	v_ldexp_f32 v12, v12, v34
	s_delay_alu instid0(TRANS32_DEP_3) | instskip(NEXT) | instid1(VALU_DEP_4)
	v_ldexp_f32 v31, v31, v35
	v_cndmask_b32_e64 v13, 0, v13, s6
	s_delay_alu instid0(TRANS32_DEP_2) | instskip(NEXT) | instid1(TRANS32_DEP_1)
	v_ldexp_f32 v7, v7, v36
	v_ldexp_f32 v6, v6, v33
	v_cndmask_b32_e64 v12, 0, v12, s2
	v_cndmask_b32_e64 v31, 0, v31, s3
	;; [unrolled: 1-line block ×4, first 2 shown]
	v_cndmask_b32_e32 v6, 0, v6, vcc_lo
	v_cndmask_b32_e64 v139, 0x7f800000, v12, s8
	v_cndmask_b32_e64 v135, 0x7f800000, v31, s9
	v_pk_mul_f16 v99, v95, v21 op_sel_hi:[0,1]
	v_cndmask_b32_e64 v137, 0x7f800000, v7, s10
	v_cndmask_b32_e64 v136, 0x7f800000, v6, s7
	v_cvt_f16_f32_e64 v6, v138
	v_cvt_f16_f32_e64 v12, v139
	;; [unrolled: 1-line block ×5, first 2 shown]
	v_pk_mul_f16 v140, v95, v19 op_sel_hi:[0,1]
	v_pk_mul_f16 v141, v95, v20 op_sel_hi:[0,1]
	;; [unrolled: 1-line block ×3, first 2 shown]
	v_pack_b32_f16 v6, v6, v13
	v_pack_b32_f16 v7, v12, v7
	v_pk_mul_f16 v97, v94, v29 op_sel_hi:[0,1]
	v_pk_mul_f16 v98, v94, v22 op_sel_hi:[0,1]
	;; [unrolled: 1-line block ×6, first 2 shown]
	ds_store_2addr_b32 v130, v7, v6 offset1:32
	s_waitcnt vmcnt(1)
	ds_store_b128 v124, v[8:11]
	s_waitcnt vmcnt(0)
	ds_store_b128 v125, v[41:44]
	s_waitcnt lgkmcnt(0)
	s_barrier
	buffer_gl0_inv
	ds_load_2addr_b64 v[6:9], v126 offset1:32
	ds_load_2addr_b64 v[10:13], v126 offset0:64 offset1:96
	ds_load_b128 v[14:17], v123
	ds_load_b128 v[19:22], v123 offset:16
	ds_load_2addr_b64 v[28:31], v126 offset0:128 offset1:160
	ds_load_2addr_b64 v[32:35], v126 offset0:192 offset1:224
	ds_load_2addr_b64 v[36:39], v131 offset1:32
	ds_load_2addr_b64 v[40:43], v131 offset0:64 offset1:96
	ds_load_2addr_b64 v[44:47], v131 offset0:128 offset1:160
	ds_load_2addr_b64 v[50:53], v131 offset0:192 offset1:224
	ds_load_2addr_b64 v[54:57], v132 offset1:32
	ds_load_2addr_b64 v[58:61], v132 offset0:64 offset1:96
	;; [unrolled: 4-line block ×3, first 2 shown]
	ds_load_2addr_b64 v[78:81], v133 offset0:128 offset1:160
	ds_load_2addr_b64 v[82:85], v133 offset0:192 offset1:224
	s_waitcnt lgkmcnt(0)
	s_barrier
	buffer_gl0_inv
	s_clause 0x1
	global_load_b128 v[86:89], v[4:5], off
	global_load_b128 v[90:93], v[4:5], off offset:512
	v_pk_mul_f16 v24, v94, v24 op_sel_hi:[0,1]
	v_pk_mul_f16 v26, v94, v26 op_sel_hi:[0,1]
	;; [unrolled: 1-line block ×4, first 2 shown]
	v_pk_mul_f16 v5, v6, v14 op_sel:[0,1]
	v_pk_mul_f16 v6, v7, v14 op_sel_hi:[1,0]
	v_pk_fma_f16 v7, v7, v14, v99 op_sel:[0,1,0]
	v_pk_fma_f16 v96, v8, v14, v96 op_sel_hi:[1,0,1]
	v_pk_fma_f16 v8, v8, v14, v140 op_sel:[0,1,0]
	v_pk_fma_f16 v97, v9, v14, v97 op_sel_hi:[1,0,1]
	;; [unrolled: 2-line block ×7, first 2 shown]
	v_pk_fma_f16 v5, v95, v18, v5 op_sel_hi:[0,1,1]
	v_pk_fma_f16 v6, v94, v27, v6 op_sel_hi:[0,1,1]
	v_pk_fma_f16 v7, v29, v15, v7 op_sel:[0,1,0]
	v_pk_fma_f16 v14, v30, v15, v96 op_sel_hi:[1,0,1]
	v_pk_fma_f16 v8, v30, v15, v8 op_sel:[0,1,0]
	v_pk_fma_f16 v18, v31, v15, v97 op_sel_hi:[1,0,1]
	v_pk_fma_f16 v9, v31, v15, v9 op_sel:[0,1,0]
	v_pk_fma_f16 v24, v32, v15, v24 op_sel_hi:[1,0,1]
	v_pk_fma_f16 v10, v32, v15, v10 op_sel:[0,1,0]
	v_pk_fma_f16 v25, v33, v15, v26 op_sel_hi:[1,0,1]
	v_pk_fma_f16 v11, v33, v15, v11 op_sel:[0,1,0]
	v_pk_fma_f16 v26, v34, v15, v98 op_sel_hi:[1,0,1]
	v_pk_fma_f16 v12, v34, v15, v12 op_sel:[0,1,0]
	v_pk_fma_f16 v23, v35, v15, v23 op_sel_hi:[1,0,1]
	v_pk_fma_f16 v13, v35, v15, v13 op_sel:[0,1,0]
	v_pk_fma_f16 v4, v28, v15, v4 op_sel_hi:[1,0,1]
	v_pk_fma_f16 v5, v28, v15, v5 op_sel:[0,1,0]
	v_pk_fma_f16 v6, v29, v15, v6 op_sel_hi:[1,0,1]
	v_pk_fma_f16 v7, v37, v16, v7 op_sel:[0,1,0]
	v_pk_fma_f16 v14, v38, v16, v14 op_sel_hi:[1,0,1]
	v_pk_fma_f16 v8, v38, v16, v8 op_sel:[0,1,0]
	v_pk_fma_f16 v15, v39, v16, v18 op_sel_hi:[1,0,1]
	v_pk_fma_f16 v9, v39, v16, v9 op_sel:[0,1,0]
	v_pk_fma_f16 v18, v40, v16, v24 op_sel_hi:[1,0,1]
	v_pk_fma_f16 v10, v40, v16, v10 op_sel:[0,1,0]
	v_pk_fma_f16 v24, v41, v16, v25 op_sel_hi:[1,0,1]
	v_pk_fma_f16 v11, v41, v16, v11 op_sel:[0,1,0]
	v_pk_fma_f16 v25, v42, v16, v26 op_sel_hi:[1,0,1]
	v_pk_fma_f16 v12, v42, v16, v12 op_sel:[0,1,0]
	v_pk_fma_f16 v23, v43, v16, v23 op_sel_hi:[1,0,1]
	v_pk_fma_f16 v13, v43, v16, v13 op_sel:[0,1,0]
	v_pk_fma_f16 v4, v36, v16, v4 op_sel_hi:[1,0,1]
	v_pk_fma_f16 v5, v36, v16, v5 op_sel:[0,1,0]
	v_pk_fma_f16 v6, v37, v16, v6 op_sel_hi:[1,0,1]
	v_pk_fma_f16 v7, v45, v17, v7 op_sel:[0,1,0]
	v_pk_fma_f16 v14, v46, v17, v14 op_sel_hi:[1,0,1]
	v_pk_fma_f16 v8, v46, v17, v8 op_sel:[0,1,0]
	v_pk_fma_f16 v15, v47, v17, v15 op_sel_hi:[1,0,1]
	v_pk_fma_f16 v9, v47, v17, v9 op_sel:[0,1,0]
	v_pk_fma_f16 v16, v50, v17, v18 op_sel_hi:[1,0,1]
	v_pk_fma_f16 v10, v50, v17, v10 op_sel:[0,1,0]
	v_pk_fma_f16 v18, v51, v17, v24 op_sel_hi:[1,0,1]
	v_pk_fma_f16 v11, v51, v17, v11 op_sel:[0,1,0]
	v_pk_fma_f16 v24, v52, v17, v25 op_sel_hi:[1,0,1]
	v_pk_fma_f16 v12, v52, v17, v12 op_sel:[0,1,0]
	v_pk_fma_f16 v23, v53, v17, v23 op_sel_hi:[1,0,1]
	v_pk_fma_f16 v13, v53, v17, v13 op_sel:[0,1,0]
	v_pk_fma_f16 v4, v44, v17, v4 op_sel_hi:[1,0,1]
	v_pk_fma_f16 v5, v44, v17, v5 op_sel:[0,1,0]
	v_pk_fma_f16 v6, v45, v17, v6 op_sel_hi:[1,0,1]
	v_pk_fma_f16 v7, v55, v19, v7 op_sel:[0,1,0]
	v_pk_fma_f16 v14, v56, v19, v14 op_sel_hi:[1,0,1]
	v_pk_fma_f16 v8, v56, v19, v8 op_sel:[0,1,0]
	v_pk_fma_f16 v15, v57, v19, v15 op_sel_hi:[1,0,1]
	v_pk_fma_f16 v9, v57, v19, v9 op_sel:[0,1,0]
	v_pk_fma_f16 v16, v58, v19, v16 op_sel_hi:[1,0,1]
	v_pk_fma_f16 v10, v58, v19, v10 op_sel:[0,1,0]
	v_pk_fma_f16 v17, v59, v19, v18 op_sel_hi:[1,0,1]
	v_pk_fma_f16 v11, v59, v19, v11 op_sel:[0,1,0]
	v_pk_fma_f16 v18, v60, v19, v24 op_sel_hi:[1,0,1]
	v_pk_fma_f16 v12, v60, v19, v12 op_sel:[0,1,0]
	v_pk_fma_f16 v23, v61, v19, v23 op_sel_hi:[1,0,1]
	v_pk_fma_f16 v13, v61, v19, v13 op_sel:[0,1,0]
	v_pk_fma_f16 v4, v54, v19, v4 op_sel_hi:[1,0,1]
	v_pk_fma_f16 v5, v54, v19, v5 op_sel:[0,1,0]
	v_pk_fma_f16 v6, v55, v19, v6 op_sel_hi:[1,0,1]
	v_pk_fma_f16 v7, v63, v20, v7 op_sel:[0,1,0]
	v_pk_fma_f16 v14, v64, v20, v14 op_sel_hi:[1,0,1]
	v_pk_fma_f16 v8, v64, v20, v8 op_sel:[0,1,0]
	v_pk_fma_f16 v15, v65, v20, v15 op_sel_hi:[1,0,1]
	v_pk_fma_f16 v9, v65, v20, v9 op_sel:[0,1,0]
	v_pk_fma_f16 v16, v66, v20, v16 op_sel_hi:[1,0,1]
	v_pk_fma_f16 v10, v66, v20, v10 op_sel:[0,1,0]
	v_pk_fma_f16 v17, v67, v20, v17 op_sel_hi:[1,0,1]
	v_pk_fma_f16 v11, v67, v20, v11 op_sel:[0,1,0]
	v_pk_fma_f16 v18, v68, v20, v18 op_sel_hi:[1,0,1]
	v_pk_fma_f16 v12, v68, v20, v12 op_sel:[0,1,0]
	v_pk_fma_f16 v19, v69, v20, v23 op_sel_hi:[1,0,1]
	v_pk_fma_f16 v13, v69, v20, v13 op_sel:[0,1,0]
	v_pk_fma_f16 v4, v62, v20, v4 op_sel_hi:[1,0,1]
	v_pk_fma_f16 v5, v62, v20, v5 op_sel:[0,1,0]
	v_pk_fma_f16 v6, v63, v20, v6 op_sel_hi:[1,0,1]
	v_pk_fma_f16 v20, v71, v21, v7 op_sel:[0,1,0]
	v_pk_fma_f16 v47, v72, v21, v14 op_sel_hi:[1,0,1]
	v_pk_fma_f16 v98, v72, v21, v8 op_sel:[0,1,0]
	v_pk_fma_f16 v99, v73, v21, v15 op_sel_hi:[1,0,1]
	v_pk_fma_f16 v140, v73, v21, v9 op_sel:[0,1,0]
	v_pk_fma_f16 v141, v74, v21, v16 op_sel_hi:[1,0,1]
	v_pk_fma_f16 v142, v74, v21, v10 op_sel:[0,1,0]
	v_pk_fma_f16 v143, v75, v21, v17 op_sel_hi:[1,0,1]
	v_pk_fma_f16 v144, v75, v21, v11 op_sel:[0,1,0]
	v_pk_fma_f16 v145, v76, v21, v18 op_sel_hi:[1,0,1]
	v_pk_fma_f16 v146, v76, v21, v12 op_sel:[0,1,0]
	v_pk_fma_f16 v147, v77, v21, v19 op_sel_hi:[1,0,1]
	v_pk_fma_f16 v148, v77, v21, v13 op_sel:[0,1,0]
	v_pk_fma_f16 v149, v70, v21, v4 op_sel_hi:[1,0,1]
	v_pk_fma_f16 v150, v70, v21, v5 op_sel:[0,1,0]
	v_pk_fma_f16 v21, v71, v21, v6 op_sel_hi:[1,0,1]
	s_waitcnt vmcnt(1)
	ds_store_b128 v124, v[86:89]
	s_waitcnt vmcnt(0)
	ds_store_b128 v125, v[90:93]
	s_waitcnt lgkmcnt(0)
	s_barrier
	buffer_gl0_inv
	ds_load_2addr_b64 v[4:7], v126 offset1:32
	ds_load_2addr_b64 v[8:11], v126 offset0:64 offset1:96
	ds_load_b128 v[12:15], v123 offset:32
	ds_load_b128 v[16:19], v123 offset:48
	ds_load_2addr_b64 v[23:26], v126 offset0:128 offset1:160
	ds_load_2addr_b64 v[27:30], v126 offset0:192 offset1:224
	ds_load_2addr_b64 v[31:34], v131 offset1:32
	ds_load_2addr_b64 v[35:38], v131 offset0:64 offset1:96
	ds_load_2addr_b64 v[39:42], v131 offset0:128 offset1:160
	ds_load_2addr_b64 v[43:46], v131 offset0:192 offset1:224
	ds_load_2addr_b64 v[50:53], v132 offset1:32
	ds_load_2addr_b64 v[54:57], v132 offset0:64 offset1:96
	ds_load_2addr_b64 v[58:61], v132 offset0:128 offset1:160
	ds_load_2addr_b64 v[62:65], v132 offset0:192 offset1:224
	ds_load_2addr_b64 v[66:69], v133 offset1:32
	ds_load_2addr_b64 v[70:73], v133 offset0:64 offset1:96
	ds_load_2addr_b64 v[74:77], v133 offset0:128 offset1:160
	ds_load_2addr_b64 v[86:89], v133 offset0:192 offset1:224
	s_waitcnt lgkmcnt(0)
	s_barrier
	buffer_gl0_inv
	s_clause 0x1
	global_load_b128 v[90:93], v[2:3], off
	global_load_b128 v[94:97], v[2:3], off offset:512
	v_pk_fma_f16 v2, v79, v22, v20 op_sel:[0,1,0]
	v_pk_fma_f16 v3, v80, v22, v47 op_sel_hi:[1,0,1]
	v_pk_fma_f16 v20, v80, v22, v98 op_sel:[0,1,0]
	v_pk_fma_f16 v47, v81, v22, v99 op_sel_hi:[1,0,1]
	;; [unrolled: 2-line block ×3, first 2 shown]
	v_pk_fma_f16 v141, v78, v22, v149 op_sel_hi:[1,0,1]
	v_pk_fma_f16 v78, v78, v22, v150 op_sel:[0,1,0]
	v_pk_fma_f16 v82, v82, v22, v142 op_sel:[0,1,0]
	v_pk_fma_f16 v98, v83, v22, v143 op_sel_hi:[1,0,1]
	v_pk_fma_f16 v83, v83, v22, v144 op_sel:[0,1,0]
	v_pk_fma_f16 v99, v84, v22, v145 op_sel_hi:[1,0,1]
	;; [unrolled: 2-line block ×4, first 2 shown]
	v_pk_fma_f16 v22, v4, v12, v141 op_sel_hi:[1,0,1]
	v_pk_fma_f16 v4, v4, v12, v78 op_sel:[0,1,0]
	v_pk_fma_f16 v2, v5, v12, v2 op_sel:[0,1,0]
	v_pk_fma_f16 v3, v6, v12, v3 op_sel_hi:[1,0,1]
	v_pk_fma_f16 v21, v5, v12, v21 op_sel_hi:[1,0,1]
	v_pk_fma_f16 v5, v6, v12, v20 op_sel:[0,1,0]
	v_pk_fma_f16 v6, v7, v12, v47 op_sel_hi:[1,0,1]
	v_pk_fma_f16 v7, v7, v12, v80 op_sel:[0,1,0]
	;; [unrolled: 2-line block ×31, first 2 shown]
	s_waitcnt vmcnt(1)
	ds_store_b128 v124, v[90:93]
	s_waitcnt vmcnt(0)
	ds_store_b128 v125, v[94:97]
	s_waitcnt lgkmcnt(0)
	s_barrier
	buffer_gl0_inv
	ds_load_2addr_b64 v[2:5], v126 offset1:32
	ds_load_2addr_b64 v[6:9], v126 offset0:64 offset1:96
	ds_load_b128 v[78:81], v123 offset:64
	ds_load_b128 v[82:85], v123 offset:80
	ds_load_2addr_b64 v[10:13], v126 offset0:128 offset1:160
	ds_load_2addr_b64 v[20:23], v126 offset0:192 offset1:224
	ds_load_2addr_b64 v[24:27], v131 offset1:32
	ds_load_2addr_b64 v[28:31], v131 offset0:64 offset1:96
	ds_load_2addr_b64 v[90:93], v131 offset0:128 offset1:160
	ds_load_2addr_b64 v[94:97], v131 offset0:192 offset1:224
	ds_load_2addr_b64 v[140:143], v132 offset1:32
	ds_load_2addr_b64 v[144:147], v132 offset0:64 offset1:96
	;; [unrolled: 4-line block ×3, first 2 shown]
	ds_load_2addr_b64 v[164:167], v133 offset0:128 offset1:160
	ds_load_2addr_b64 v[168:171], v133 offset0:192 offset1:224
	s_waitcnt lgkmcnt(0)
	s_barrier
	buffer_gl0_inv
	s_clause 0x1
	global_load_b128 v[32:35], v[0:1], off
	global_load_b128 v[36:39], v[0:1], off offset:512
	v_pk_fma_f16 v0, v51, v16, v14 op_sel_hi:[1,0,1]
	v_pk_fma_f16 v1, v51, v16, v40 op_sel:[0,1,0]
	v_pk_fma_f16 v14, v52, v16, v47 op_sel_hi:[1,0,1]
	v_pk_fma_f16 v40, v52, v16, v41 op_sel:[0,1,0]
	;; [unrolled: 2-line block ×55, first 2 shown]
	s_waitcnt vmcnt(1)
	ds_store_b128 v124, v[32:35]
	s_waitcnt vmcnt(0)
	ds_store_b128 v125, v[36:39]
	s_waitcnt lgkmcnt(0)
	s_barrier
	buffer_gl0_inv
	ds_load_2addr_b64 v[50:53], v126 offset1:32
	ds_load_2addr_b64 v[54:57], v126 offset0:64 offset1:96
	ds_load_b128 v[32:35], v123 offset:96
	ds_load_b128 v[0:3], v123 offset:112
	ds_load_2addr_b64 v[58:61], v126 offset0:128 offset1:160
	ds_load_2addr_b64 v[62:65], v126 offset0:192 offset1:224
	ds_load_2addr_b64 v[66:69], v131 offset1:32
	ds_load_2addr_b64 v[70:73], v131 offset0:64 offset1:96
	ds_load_2addr_b64 v[44:47], v131 offset0:128 offset1:160
	ds_load_2addr_b64 v[40:43], v131 offset0:192 offset1:224
	ds_load_2addr_b64 v[36:39], v132 offset1:32
	ds_load_2addr_b64 v[28:31], v132 offset0:64 offset1:96
	;; [unrolled: 4-line block ×3, first 2 shown]
	ds_load_2addr_b64 v[8:11], v133 offset0:128 offset1:160
	ds_load_2addr_b64 v[4:7], v133 offset0:192 offset1:224
	s_waitcnt lgkmcnt(0)
	s_barrier
	buffer_gl0_inv
	s_clause 0x1
	global_load_b128 v[74:77], v[48:49], off
	global_load_b128 v[86:89], v[48:49], off offset:512
	v_pk_fma_f16 v48, v90, v81, v78 op_sel_hi:[1,0,1]
	v_pk_fma_f16 v49, v90, v81, v79 op_sel:[0,1,0]
	v_pk_fma_f16 v78, v91, v81, v98 op_sel_hi:[1,0,1]
	v_pk_fma_f16 v79, v91, v81, v99 op_sel:[0,1,0]
	;; [unrolled: 2-line block ×40, first 2 shown]
	s_mul_hi_i32 s3, s20, s22
	s_mul_i32 s2, s20, s22
	v_pk_fma_f16 v48, v50, v32, v48 op_sel_hi:[1,0,1]
	v_pk_fma_f16 v49, v50, v32, v49 op_sel:[0,1,0]
	v_pk_fma_f16 v50, v51, v32, v78 op_sel_hi:[1,0,1]
	v_pk_fma_f16 v51, v51, v32, v79 op_sel:[0,1,0]
	;; [unrolled: 2-line block ×8, first 2 shown]
	s_lshl_b64 s[2:3], s[2:3], 2
	v_pk_fma_f16 v48, v58, v33, v48 op_sel_hi:[1,0,1]
	v_add_co_u32 v172, vcc_lo, v127, s2
	v_add_co_ci_u32_e32 v173, vcc_lo, s3, v128, vcc_lo
	v_pk_fma_f16 v49, v58, v33, v49 op_sel:[0,1,0]
	v_pk_fma_f16 v50, v59, v33, v50 op_sel_hi:[1,0,1]
	v_pk_fma_f16 v51, v59, v33, v51 op_sel:[0,1,0]
	v_pk_fma_f16 v57, v60, v33, v78 op_sel_hi:[1,0,1]
	;; [unrolled: 2-line block ×15, first 2 shown]
	v_pk_fma_f16 v34, v73, v34, v63 op_sel:[0,1,0]
	s_waitcnt vmcnt(1)
	ds_store_b128 v124, v[74:77]
	s_waitcnt vmcnt(0)
	ds_store_b128 v125, v[86:89]
	s_waitcnt lgkmcnt(0)
	s_barrier
	buffer_gl0_inv
	ds_load_2addr_b64 v[146:149], v126 offset1:32
	ds_load_2addr_b64 v[150:153], v126 offset0:64 offset1:96
	ds_load_b128 v[80:83], v123 offset:128
	ds_load_b128 v[48:51], v123 offset:144
	ds_load_2addr_b64 v[154:157], v126 offset0:128 offset1:160
	ds_load_2addr_b64 v[158:161], v126 offset0:192 offset1:224
	ds_load_2addr_b64 v[162:165], v131 offset1:32
	ds_load_2addr_b64 v[96:99], v131 offset0:64 offset1:96
	ds_load_2addr_b64 v[92:95], v131 offset0:128 offset1:160
	ds_load_2addr_b64 v[88:91], v131 offset0:192 offset1:224
	ds_load_2addr_b64 v[84:87], v132 offset1:32
	ds_load_2addr_b64 v[76:79], v132 offset0:64 offset1:96
	;; [unrolled: 4-line block ×3, first 2 shown]
	ds_load_2addr_b64 v[56:59], v133 offset0:128 offset1:160
	ds_load_2addr_b64 v[52:55], v133 offset0:192 offset1:224
	s_waitcnt lgkmcnt(0)
	s_barrier
	buffer_gl0_inv
	s_clause 0x1
	global_load_b128 v[166:169], v[172:173], off
	global_load_b128 v[170:173], v[172:173], off offset:512
	v_add_f32_e32 v118, v139, v138
	v_add_f32_e32 v184, v136, v137
	v_pk_fma_f16 v32, v44, v35, v32 op_sel_hi:[1,0,1]
	v_pk_fma_f16 v33, v44, v35, v33 op_sel:[0,1,0]
	v_pk_fma_f16 v44, v45, v35, v140 op_sel_hi:[1,0,1]
	v_fmac_f32_e32 v118, v183, v135
	v_pk_fma_f16 v45, v45, v35, v141 op_sel:[0,1,0]
	v_pk_fma_f16 v135, v46, v35, v142 op_sel_hi:[1,0,1]
	v_pk_fma_f16 v46, v46, v35, v143 op_sel:[0,1,0]
	v_pk_fma_f16 v136, v47, v35, v144 op_sel_hi:[1,0,1]
	;; [unrolled: 2-line block ×34, first 2 shown]
	v_pk_fma_f16 v11, v11, v3, v19 op_sel:[0,1,0]
	s_or_b32 s2, s13, 48
	v_pk_fma_f16 v17, v4, v3, v26 op_sel_hi:[1,0,1]
	s_mul_hi_i32 s3, s2, s22
	s_mul_i32 s2, s2, s22
	v_pk_fma_f16 v4, v4, v3, v12 op_sel:[0,1,0]
	v_pk_fma_f16 v12, v5, v3, v20 op_sel_hi:[1,0,1]
	v_pk_fma_f16 v5, v5, v3, v13 op_sel:[0,1,0]
	v_pk_fma_f16 v13, v6, v3, v21 op_sel_hi:[1,0,1]
	;; [unrolled: 2-line block ×7, first 2 shown]
	v_pk_fma_f16 v11, v149, v80, v11 op_sel:[0,1,0]
	s_lshl_b64 s[2:3], s[2:3], 2
	v_pk_fma_f16 v15, v150, v80, v17 op_sel_hi:[1,0,1]
	v_add_co_u32 v174, vcc_lo, v127, s2
	v_add_co_ci_u32_e32 v175, vcc_lo, s3, v128, vcc_lo
	v_pk_fma_f16 v4, v150, v80, v4 op_sel:[0,1,0]
	v_pk_fma_f16 v12, v151, v80, v12 op_sel_hi:[1,0,1]
	v_pk_fma_f16 v5, v151, v80, v5 op_sel:[0,1,0]
	v_pk_fma_f16 v13, v152, v80, v13 op_sel_hi:[1,0,1]
	;; [unrolled: 2-line block ×15, first 2 shown]
	v_pk_fma_f16 v190, v165, v82, v11 op_sel:[0,1,0]
	s_waitcnt vmcnt(1)
	ds_store_b128 v124, v[166:169]
	s_waitcnt vmcnt(0)
	ds_store_b128 v125, v[170:173]
	s_waitcnt lgkmcnt(0)
	s_barrier
	buffer_gl0_inv
	ds_load_2addr_b64 v[0:3], v126 offset1:32
	ds_load_2addr_b64 v[4:7], v126 offset0:64 offset1:96
	ds_load_b128 v[8:11], v123 offset:160
	ds_load_b128 v[12:15], v123 offset:176
	ds_load_2addr_b64 v[16:19], v126 offset0:128 offset1:160
	ds_load_2addr_b64 v[20:23], v126 offset0:192 offset1:224
	ds_load_2addr_b64 v[24:27], v131 offset1:32
	ds_load_2addr_b64 v[28:31], v131 offset0:64 offset1:96
	ds_load_2addr_b64 v[32:35], v131 offset0:128 offset1:160
	ds_load_2addr_b64 v[36:39], v131 offset0:192 offset1:224
	ds_load_2addr_b64 v[40:43], v132 offset1:32
	ds_load_2addr_b64 v[44:47], v132 offset0:64 offset1:96
	;; [unrolled: 4-line block ×3, first 2 shown]
	ds_load_2addr_b64 v[151:154], v133 offset0:128 offset1:160
	ds_load_2addr_b64 v[155:158], v133 offset0:192 offset1:224
	s_waitcnt lgkmcnt(0)
	s_barrier
	buffer_gl0_inv
	s_clause 0x1
	global_load_b128 v[159:162], v[174:175], off
	global_load_b128 v[163:166], v[174:175], off offset:512
	v_mov_b32_e32 v167, v117
	v_mov_b32_e32 v117, v184
	v_pk_fma_f16 v80, v96, v82, v80 op_sel_hi:[1,0,1]
	v_pk_fma_f16 v96, v96, v82, v176 op_sel:[0,1,0]
	v_pk_fma_f16 v169, v98, v82, v179 op_sel_hi:[1,0,1]
	v_pk_fma_f16 v98, v98, v82, v180 op_sel:[0,1,0]
	v_fmac_f32_e32 v117, v167, v134
	v_pk_fma_f16 v134, v97, v82, v177 op_sel_hi:[1,0,1]
	v_pk_fma_f16 v97, v97, v82, v178 op_sel:[0,1,0]
	v_pk_fma_f16 v170, v99, v82, v181 op_sel_hi:[1,0,1]
	v_pk_fma_f16 v81, v99, v82, v81 op_sel:[0,1,0]
	;; [unrolled: 2-line block ×39, first 2 shown]
	s_or_b32 s2, s13, 56
	v_pk_fma_f16 v60, v53, v51, v68 op_sel_hi:[1,0,1]
	s_mul_hi_i32 s3, s2, s22
	s_mul_i32 s2, s2, s22
	v_pk_fma_f16 v53, v53, v51, v61 op_sel:[0,1,0]
	v_pk_fma_f16 v61, v54, v51, v69 op_sel_hi:[1,0,1]
	v_pk_fma_f16 v54, v54, v51, v62 op_sel:[0,1,0]
	v_pk_fma_f16 v62, v55, v51, v70 op_sel_hi:[1,0,1]
	v_pk_fma_f16 v48, v55, v51, v48 op_sel:[0,1,0]
	v_pk_fma_f16 v49, v0, v8, v49 op_sel_hi:[1,0,1]
	v_pk_fma_f16 v0, v0, v8, v50 op_sel:[0,1,0]
	v_pk_fma_f16 v50, v1, v8, v56 op_sel_hi:[1,0,1]
	v_pk_fma_f16 v1, v1, v8, v57 op_sel:[0,1,0]
	v_pk_fma_f16 v51, v2, v8, v63 op_sel_hi:[1,0,1]
	v_pk_fma_f16 v2, v2, v8, v58 op_sel:[0,1,0]
	v_pk_fma_f16 v55, v3, v8, v64 op_sel_hi:[1,0,1]
	v_pk_fma_f16 v3, v3, v8, v59 op_sel:[0,1,0]
	v_pk_fma_f16 v56, v4, v8, v65 op_sel_hi:[1,0,1]
	v_pk_fma_f16 v4, v4, v8, v52 op_sel:[0,1,0]
	s_lshl_b64 s[2:3], s[2:3], 2
	v_pk_fma_f16 v52, v5, v8, v60 op_sel_hi:[1,0,1]
	v_add_co_u32 v167, vcc_lo, v127, s2
	v_add_co_ci_u32_e32 v168, vcc_lo, s3, v128, vcc_lo
	v_pk_fma_f16 v5, v5, v8, v53 op_sel:[0,1,0]
	v_pk_fma_f16 v53, v6, v8, v61 op_sel_hi:[1,0,1]
	v_pk_fma_f16 v6, v6, v8, v54 op_sel:[0,1,0]
	v_pk_fma_f16 v54, v7, v8, v62 op_sel_hi:[1,0,1]
	;; [unrolled: 2-line block ×15, first 2 shown]
	v_pk_fma_f16 v28, v28, v10, v4 op_sel:[0,1,0]
	s_waitcnt vmcnt(1)
	ds_store_b128 v124, v[159:162]
	s_waitcnt vmcnt(0)
	ds_store_b128 v125, v[163:166]
	s_waitcnt lgkmcnt(0)
	s_barrier
	buffer_gl0_inv
	ds_load_2addr_b64 v[0:3], v126 offset1:32
	ds_load_2addr_b64 v[4:7], v126 offset0:64 offset1:96
	ds_load_b128 v[16:19], v123 offset:192
	ds_load_b128 v[20:23], v123 offset:208
	ds_load_2addr_b64 v[24:27], v126 offset0:128 offset1:160
	ds_load_2addr_b64 v[48:51], v126 offset0:192 offset1:224
	ds_load_2addr_b64 v[52:55], v131 offset1:32
	ds_load_2addr_b64 v[56:59], v131 offset0:64 offset1:96
	ds_load_2addr_b64 v[60:63], v131 offset0:128 offset1:160
	ds_load_2addr_b64 v[64:67], v131 offset0:192 offset1:224
	ds_load_2addr_b64 v[68:71], v132 offset1:32
	ds_load_2addr_b64 v[72:75], v132 offset0:64 offset1:96
	;; [unrolled: 4-line block ×3, first 2 shown]
	ds_load_2addr_b64 v[92:95], v133 offset0:128 offset1:160
	ds_load_2addr_b64 v[96:99], v133 offset0:192 offset1:224
	s_waitcnt lgkmcnt(0)
	s_barrier
	buffer_gl0_inv
	s_clause 0x1
	global_load_b128 v[159:162], v[167:168], off
	global_load_b128 v[163:166], v[167:168], off offset:512
	v_pk_fma_f16 v134, v29, v10, v134 op_sel_hi:[1,0,1]
	v_pk_fma_f16 v29, v29, v10, v169 op_sel:[0,1,0]
	v_pk_fma_f16 v167, v30, v10, v170 op_sel_hi:[1,0,1]
	v_pk_fma_f16 v30, v30, v10, v171 op_sel:[0,1,0]
	;; [unrolled: 2-line block ×107, first 2 shown]
	s_waitcnt vmcnt(1)
	ds_store_b128 v124, v[159:162]
	s_waitcnt vmcnt(0)
	ds_store_b128 v125, v[163:166]
	s_waitcnt lgkmcnt(0)
	s_barrier
	buffer_gl0_inv
	ds_load_2addr_b64 v[0:3], v126 offset1:32
	ds_load_2addr_b64 v[4:7], v126 offset0:64 offset1:96
	ds_load_b128 v[8:11], v123 offset:224
	ds_load_b128 v[27:30], v123 offset:240
	ds_load_2addr_b64 v[12:15], v126 offset0:128 offset1:160
	ds_load_2addr_b64 v[16:19], v126 offset0:192 offset1:224
	ds_load_2addr_b64 v[20:23], v131 offset1:32
	ds_load_2addr_b64 v[31:34], v131 offset0:64 offset1:96
	ds_load_2addr_b64 v[35:38], v131 offset0:128 offset1:160
	ds_load_2addr_b64 v[39:42], v131 offset0:192 offset1:224
	ds_load_2addr_b64 v[43:46], v132 offset1:32
	ds_load_2addr_b64 v[47:50], v132 offset0:64 offset1:96
	;; [unrolled: 4-line block ×3, first 2 shown]
	ds_load_2addr_b64 v[67:70], v133 offset0:128 offset1:160
	ds_load_2addr_b64 v[71:74], v133 offset0:192 offset1:224
	s_waitcnt lgkmcnt(0)
	s_barrier
	buffer_gl0_inv
	s_load_b32 s2, s[16:17], 0x4
	v_pk_fma_f16 v24, v0, v8, v24 op_sel_hi:[1,0,1]
	v_pk_fma_f16 v0, v0, v8, v25 op_sel:[0,1,0]
	v_pk_fma_f16 v25, v1, v8, v26 op_sel_hi:[1,0,1]
	v_pk_fma_f16 v1, v1, v8, v75 op_sel:[0,1,0]
	;; [unrolled: 2-line block ×56, first 2 shown]
	s_waitcnt lgkmcnt(0)
	s_lshl_b32 s2, s2, 6
	v_pk_fma_f16 v25, v67, v30, v8 op_sel_hi:[1,0,1]
	v_pk_fma_f16 v18, v67, v30, v0 op_sel:[0,1,0]
	v_pk_fma_f16 v27, v68, v30, v9 op_sel_hi:[1,0,1]
	v_pk_fma_f16 v21, v68, v30, v1 op_sel:[0,1,0]
	;; [unrolled: 2-line block ×8, first 2 shown]
	s_add_i32 s13, s2, s13
	s_delay_alu instid0(SALU_CYCLE_1)
	s_cmp_ge_i32 s13, s34
	s_cbranch_scc0 .LBB5_13
; %bb.14:
	v_dual_mov_b32 v0, 32 :: v_dual_mov_b32 v1, v111
.LBB5_15:
	s_delay_alu instid0(VALU_DEP_1)
	v_cmp_lt_i32_e32 vcc_lo, v116, v0
	s_cmp_lg_u64 s[24:25], 0
	s_cselect_b32 s2, -1, 0
	s_cmp_eq_u32 s14, 0
	v_cndmask_b32_e32 v2, v1, v116, vcc_lo
	v_cmp_lt_i32_e32 vcc_lo, v115, v0
	s_cselect_b32 s3, -1, 0
	s_delay_alu instid0(SALU_CYCLE_1) | instskip(NEXT) | instid1(VALU_DEP_2)
	s_and_b32 s2, s3, s2
	v_lshlrev_b32_e32 v2, 2, v2
	v_cndmask_b32_e32 v4, v1, v115, vcc_lo
	v_cmp_lt_i32_e32 vcc_lo, v114, v0
	ds_bpermute_b32 v3, v2, v118
	v_lshlrev_b32_e32 v4, 2, v4
	v_cndmask_b32_e32 v6, v1, v114, vcc_lo
	v_cmp_lt_i32_e32 vcc_lo, v113, v0
	s_waitcnt lgkmcnt(0)
	s_delay_alu instid0(VALU_DEP_2)
	v_dual_add_f32 v3, v118, v3 :: v_dual_lshlrev_b32 v6, 2, v6
	ds_bpermute_b32 v5, v4, v3
	s_waitcnt lgkmcnt(0)
	v_add_f32_e32 v3, v3, v5
	ds_bpermute_b32 v2, v2, v117
	s_waitcnt lgkmcnt(0)
	v_add_f32_e32 v2, v117, v2
	;; [unrolled: 3-line block ×3, first 2 shown]
	ds_bpermute_b32 v4, v6, v3
	ds_bpermute_b32 v5, v6, v2
	v_cndmask_b32_e32 v6, v1, v113, vcc_lo
	v_cmp_lt_i32_e32 vcc_lo, v112, v0
	s_delay_alu instid0(VALU_DEP_2) | instskip(SKIP_3) | instid1(VALU_DEP_1)
	v_lshlrev_b32_e32 v6, 2, v6
	v_cndmask_b32_e32 v0, v1, v112, vcc_lo
	s_and_b32 vcc_lo, exec_lo, s2
	s_mov_b32 s2, 0
	v_lshlrev_b32_e32 v0, 2, v0
	s_waitcnt lgkmcnt(0)
	v_dual_add_f32 v3, v3, v4 :: v_dual_add_f32 v2, v2, v5
	ds_bpermute_b32 v4, v6, v3
	ds_bpermute_b32 v5, v6, v2
	s_waitcnt lgkmcnt(1)
	v_dual_add_f32 v1, v3, v4 :: v_dual_add_nc_u32 v4, s15, v110
	s_waitcnt lgkmcnt(0)
	v_add_f32_e32 v3, v2, v5
	ds_bpermute_b32 v2, v0, v1
	ds_bpermute_b32 v0, v0, v3
	s_waitcnt lgkmcnt(0)
	v_dual_add_f32 v2, v1, v2 :: v_dual_add_f32 v3, v3, v0
	s_cbranch_vccnz .LBB5_17
; %bb.16:
	s_delay_alu instid0(VALU_DEP_1) | instskip(NEXT) | instid1(VALU_DEP_2)
	v_dual_mov_b32 v0, v2 :: v_dual_add_nc_u32 v5, s15, v110
	v_mov_b32_e32 v1, v3
	s_and_not1_b32 vcc_lo, exec_lo, s2
	s_cbranch_vccz .LBB5_18
	s_branch .LBB5_19
.LBB5_17:
                                        ; implicit-def: $vgpr5
                                        ; implicit-def: $vgpr0_vgpr1
.LBB5_18:
	v_ashrrev_i32_e32 v5, 31, v4
	s_delay_alu instid0(VALU_DEP_1) | instskip(NEXT) | instid1(VALU_DEP_1)
	v_lshlrev_b64 v[0:1], 2, v[4:5]
	v_add_co_u32 v0, vcc_lo, s24, v0
	s_delay_alu instid0(VALU_DEP_2)
	v_add_co_ci_u32_e32 v1, vcc_lo, s25, v1, vcc_lo
	global_load_b64 v[0:1], v[0:1], off
	v_max_f32_e32 v5, v107, v107
	s_waitcnt vmcnt(0)
	v_dual_max_f32 v7, v108, v108 :: v_dual_max_f32 v8, v1, v1
	v_max_f32_e32 v6, v0, v0
	s_delay_alu instid0(VALU_DEP_1) | instskip(NEXT) | instid1(VALU_DEP_1)
	v_dual_max_f32 v7, v7, v8 :: v_dual_max_f32 v6, v5, v6
	v_dual_sub_f32 v8, v108, v7 :: v_dual_sub_f32 v5, v107, v6
	v_dual_sub_f32 v0, v0, v6 :: v_dual_sub_f32 v1, v1, v7
	s_delay_alu instid0(VALU_DEP_2) | instskip(NEXT) | instid1(VALU_DEP_2)
	v_dual_mov_b32 v108, v7 :: v_dual_mul_f32 v11, 0x3fb8aa3b, v8
	v_dual_mul_f32 v9, 0x3fb8aa3b, v5 :: v_dual_mul_f32 v10, 0x3fb8aa3b, v0
	s_delay_alu instid0(VALU_DEP_3) | instskip(SKIP_1) | instid1(VALU_DEP_4)
	v_mul_f32_e32 v12, 0x3fb8aa3b, v1
	v_cmp_ngt_f32_e32 vcc_lo, 0xc2ce8ed0, v5
	v_fma_f32 v33, 0x3fb8aa3b, v8, -v11
	s_delay_alu instid0(VALU_DEP_4)
	v_fma_f32 v13, 0x3fb8aa3b, v5, -v9
	v_rndne_f32_e32 v30, v9
	v_rndne_f32_e32 v32, v10
	;; [unrolled: 1-line block ×3, first 2 shown]
	v_fma_f32 v31, 0x3fb8aa3b, v0, -v10
	v_fmac_f32_e32 v13, 0x32a5705f, v5
	v_sub_f32_e32 v9, v9, v30
	v_fma_f32 v35, 0x3fb8aa3b, v1, -v12
	v_sub_f32_e32 v12, v12, v36
	v_sub_f32_e32 v10, v10, v32
	v_rndne_f32_e32 v34, v11
	v_add_f32_e32 v9, v9, v13
	v_cvt_i32_f32_e32 v13, v30
	v_cvt_i32_f32_e32 v30, v32
	;; [unrolled: 1-line block ×3, first 2 shown]
	v_mov_b32_e32 v107, v6
	v_exp_f32_e32 v9, v9
	s_waitcnt_depctr 0xfff
	v_ldexp_f32 v9, v9, v13
	s_delay_alu instid0(VALU_DEP_1) | instskip(SKIP_2) | instid1(VALU_DEP_1)
	v_cndmask_b32_e32 v9, 0, v9, vcc_lo
	v_cmp_ngt_f32_e32 vcc_lo, 0xc2ce8ed0, v0
	v_fmac_f32_e32 v35, 0x32a5705f, v1
	v_dual_fmac_f32 v31, 0x32a5705f, v0 :: v_dual_add_f32 v12, v12, v35
	s_delay_alu instid0(VALU_DEP_1) | instskip(SKIP_1) | instid1(VALU_DEP_3)
	v_dual_fmac_f32 v33, 0x32a5705f, v8 :: v_dual_add_f32 v10, v10, v31
	v_cvt_i32_f32_e32 v31, v34
	v_exp_f32_e32 v12, v12
	s_delay_alu instid0(VALU_DEP_2) | instskip(SKIP_4) | instid1(VALU_DEP_1)
	v_exp_f32_e32 v10, v10
	s_waitcnt_depctr 0xfff
	v_ldexp_f32 v12, v12, v32
	v_sub_f32_e32 v11, v11, v34
	v_ldexp_f32 v10, v10, v30
	v_dual_add_f32 v11, v11, v33 :: v_dual_cndmask_b32 v10, 0, v10
	v_cmp_ngt_f32_e32 vcc_lo, 0xc2ce8ed0, v8
	s_delay_alu instid0(VALU_DEP_2) | instskip(SKIP_2) | instid1(VALU_DEP_1)
	v_exp_f32_e32 v11, v11
	s_waitcnt_depctr 0xfff
	v_ldexp_f32 v11, v11, v31
	v_cndmask_b32_e32 v11, 0, v11, vcc_lo
	v_cmp_ngt_f32_e32 vcc_lo, 0xc2ce8ed0, v1
	v_cndmask_b32_e32 v12, 0, v12, vcc_lo
	v_cmp_nlt_f32_e32 vcc_lo, 0x42b17218, v5
	v_mov_b32_e32 v5, v4
	v_cndmask_b32_e32 v9, 0x7f800000, v9, vcc_lo
	v_cmp_nlt_f32_e32 vcc_lo, 0x42b17218, v0
	s_delay_alu instid0(VALU_DEP_2) | instskip(SKIP_2) | instid1(VALU_DEP_3)
	v_cvt_f16_f32_e32 v4, v9
	v_cndmask_b32_e32 v0, 0x7f800000, v10, vcc_lo
	v_cmp_nlt_f32_e32 vcc_lo, 0x42b17218, v8
	v_pk_mul_f16 v25, v4, v25 op_sel_hi:[0,1]
	s_delay_alu instid0(VALU_DEP_3)
	v_fmac_f32_e32 v0, v2, v9
	v_cndmask_b32_e32 v8, 0x7f800000, v11, vcc_lo
	v_cmp_nlt_f32_e32 vcc_lo, 0x42b17218, v1
	v_pk_mul_f16 v27, v4, v27 op_sel_hi:[0,1]
	v_pk_mul_f16 v28, v4, v28 op_sel_hi:[0,1]
	;; [unrolled: 1-line block ×3, first 2 shown]
	v_cvt_f16_f32_e32 v2, v8
	v_cndmask_b32_e32 v1, 0x7f800000, v12, vcc_lo
	v_pk_mul_f16 v24, v4, v24 op_sel_hi:[0,1]
	v_pk_mul_f16 v26, v4, v26 op_sel_hi:[0,1]
	v_pk_mul_f16 v22, v4, v22 op_sel_hi:[0,1]
	v_pk_mul_f16 v23, v4, v23 op_sel_hi:[0,1]
	v_fmac_f32_e32 v1, v3, v8
	v_pk_mul_f16 v18, v2, v18 op_sel_hi:[0,1]
	v_pk_mul_f16 v21, v2, v21 op_sel_hi:[0,1]
	;; [unrolled: 1-line block ×8, first 2 shown]
	v_dual_mov_b32 v2, v0 :: v_dual_mov_b32 v3, v1
.LBB5_19:
	s_load_b32 s1, s[0:1], 0xd4
	v_mov_b32_e32 v6, 1.0
	s_waitcnt lgkmcnt(0)
	s_cmp_lg_u32 s1, 1
	s_cselect_b32 s3, -1, 0
	s_cmp_eq_u32 s1, 1
	s_cselect_b32 s2, -1, 0
	s_and_b32 vcc_lo, exec_lo, s3
	s_cbranch_vccnz .LBB5_21
; %bb.20:
	v_div_scale_f32 v4, null, v2, v2, 1.0
	s_delay_alu instid0(VALU_DEP_1) | instskip(SKIP_2) | instid1(VALU_DEP_1)
	v_rcp_f32_e32 v6, v4
	s_waitcnt_depctr 0xfff
	v_fma_f32 v7, -v4, v6, 1.0
	v_fmac_f32_e32 v6, v7, v6
	v_div_scale_f32 v7, vcc_lo, 1.0, v2, 1.0
	s_delay_alu instid0(VALU_DEP_1) | instskip(NEXT) | instid1(VALU_DEP_1)
	v_mul_f32_e32 v8, v7, v6
	v_fma_f32 v9, -v4, v8, v7
	s_delay_alu instid0(VALU_DEP_1) | instskip(NEXT) | instid1(VALU_DEP_1)
	v_fmac_f32_e32 v8, v9, v6
	v_fma_f32 v4, -v4, v8, v7
	s_delay_alu instid0(VALU_DEP_1) | instskip(NEXT) | instid1(VALU_DEP_1)
	v_div_fmas_f32 v4, v4, v6, v8
	v_div_fixup_f32 v6, v4, v2, 1.0
.LBB5_21:
	v_mad_u64_u32 v[7:8], null, s33, s38, v[100:101]
	v_lshrrev_b32_e32 v2, 16, v27
	v_lshrrev_b32_e32 v11, 16, v25
	v_cvt_f32_f16_e32 v10, v27
	v_mov_b32_e32 v12, 0
	v_lshrrev_b32_e32 v13, 16, v29
	v_cvt_f32_f16_e32 v2, v2
	v_mad_u64_u32 v[8:9], null, v7, s39, v[5:6]
	v_mul_f32_e32 v9, v6, v10
	v_cvt_f32_f16_e32 v7, v25
	v_cvt_f32_f16_e32 v25, v29
	v_lshrrev_b32_e32 v27, 16, v28
	v_mov_b32_e32 v32, v12
	v_cvt_f32_f16_e32 v28, v28
	v_mad_u64_u32 v[4:5], null, s1, v8, s[14:15]
	v_cvt_f32_f16_e32 v8, v11
	v_mul_f32_e32 v7, v6, v7
	v_lshrrev_b32_e32 v5, 16, v26
	v_cvt_f32_f16_e32 v13, v13
	v_mul_f32_e32 v29, v6, v25
	v_cvt_f32_f16_e32 v25, v27
	v_lshl_add_u32 v11, v4, 9, v109
	v_mul_f32_e32 v10, v6, v2
	v_lshrrev_b32_e32 v2, 16, v24
	v_cvt_f32_f16_e32 v5, v5
	v_mul_f32_e32 v27, v6, v28
	v_add_nc_u32_e32 v31, 0x80, v11
	v_lshlrev_b64 v[33:34], 2, v[11:12]
	v_mul_f32_e32 v8, v6, v8
	v_mul_f32_e32 v30, v6, v13
	;; [unrolled: 1-line block ×3, first 2 shown]
	v_lshlrev_b64 v[31:32], 2, v[31:32]
	v_cvt_f32_f16_e32 v13, v26
	v_add_nc_u32_e32 v25, 0x100, v11
	v_dual_mov_b32 v26, v12 :: v_dual_add_nc_u32 v11, 0x180, v11
	v_add_co_u32 v35, s0, s28, v33
	v_cvt_f32_f16_e32 v2, v2
	v_add_co_ci_u32_e64 v36, s0, s29, v34, s0
	v_add_co_u32 v37, s0, s28, v31
	v_mul_f32_e32 v34, v6, v5
	v_lshrrev_b32_e32 v5, 16, v22
	v_cvt_f32_f16_e32 v31, v24
	v_lshlrev_b64 v[24:25], 2, v[25:26]
	v_add_co_ci_u32_e64 v38, s0, s29, v32, s0
	v_mul_f32_e32 v32, v6, v2
	v_lshrrev_b32_e32 v2, 16, v23
	v_lshlrev_b64 v[11:12], 2, v[11:12]
	v_cvt_f32_f16_e32 v5, v5
	v_mul_f32_e32 v33, v6, v13
	v_add_co_u32 v39, s0, s28, v24
	v_cvt_f32_f16_e32 v2, v2
	v_cvt_f32_f16_e32 v13, v23
	;; [unrolled: 1-line block ×3, first 2 shown]
	v_cmp_eq_u32_e32 vcc_lo, 0, v101
	v_add_co_ci_u32_e64 v40, s0, s29, v25, s0
	v_mul_f32_e32 v23, v6, v5
	v_add_co_u32 v5, s0, s28, v11
	v_mul_f32_e32 v31, v6, v31
	v_mul_f32_e32 v25, v6, v2
	;; [unrolled: 1-line block ×4, first 2 shown]
	v_add_co_ci_u32_e64 v6, s0, s29, v12, s0
	s_and_b32 s0, vcc_lo, s3
	s_clause 0x3
	global_store_b128 v[35:36], v[7:10], off
	global_store_b128 v[37:38], v[27:30], off
	global_store_b128 v[39:40], v[31:34], off
	global_store_b128 v[5:6], v[22:25], off
	s_and_saveexec_b32 s3, s0
	s_cbranch_execz .LBB5_23
; %bb.22:
	v_ashrrev_i32_e32 v5, 31, v4
	v_dual_mov_b32 v7, v107 :: v_dual_mov_b32 v8, v0
	s_delay_alu instid0(VALU_DEP_2) | instskip(NEXT) | instid1(VALU_DEP_1)
	v_lshlrev_b64 v[5:6], 3, v[4:5]
	v_add_co_u32 v5, vcc_lo, s30, v5
	s_delay_alu instid0(VALU_DEP_2)
	v_add_co_ci_u32_e32 v6, vcc_lo, s31, v6, vcc_lo
	global_store_b64 v[5:6], v[7:8], off
.LBB5_23:
	s_or_b32 exec_lo, exec_lo, s3
	v_mov_b32_e32 v0, 1.0
	s_and_not1_b32 vcc_lo, exec_lo, s2
	s_cbranch_vccnz .LBB5_25
; %bb.24:
	v_div_scale_f32 v0, null, v3, v3, 1.0
	s_delay_alu instid0(VALU_DEP_1) | instskip(SKIP_2) | instid1(VALU_DEP_1)
	v_rcp_f32_e32 v2, v0
	s_waitcnt_depctr 0xfff
	v_fma_f32 v5, -v0, v2, 1.0
	v_fmac_f32_e32 v2, v5, v2
	v_div_scale_f32 v5, vcc_lo, 1.0, v3, 1.0
	s_delay_alu instid0(VALU_DEP_1) | instskip(NEXT) | instid1(VALU_DEP_1)
	v_mul_f32_e32 v6, v5, v2
	v_fma_f32 v7, -v0, v6, v5
	s_delay_alu instid0(VALU_DEP_1) | instskip(NEXT) | instid1(VALU_DEP_1)
	v_fmac_f32_e32 v6, v7, v2
	v_fma_f32 v0, -v0, v6, v5
	s_delay_alu instid0(VALU_DEP_1) | instskip(NEXT) | instid1(VALU_DEP_1)
	v_div_fmas_f32 v0, v0, v2, v6
	v_div_fixup_f32 v0, v0, v3, 1.0
.LBB5_25:
	v_lshrrev_b32_e32 v3, 16, v21
	v_cvt_f32_f16_e32 v6, v18
	v_add_nc_u32_e32 v2, s1, v4
	v_cvt_f32_f16_e32 v4, v21
	v_lshrrev_b32_e32 v5, 16, v18
	v_mov_b32_e32 v12, 0
	v_cvt_f32_f16_e32 v10, v3
	v_mul_f32_e32 v3, v0, v6
	v_lshl_add_u32 v11, v2, 9, v109
	v_cvt_f32_f16_e32 v13, v5
	v_mul_f32_e32 v5, v0, v4
	v_mul_f32_e32 v6, v0, v10
	v_lshrrev_b32_e32 v9, 16, v20
	v_lshlrev_b64 v[7:8], 2, v[11:12]
	v_dual_mul_f32 v4, v0, v13 :: v_dual_add_nc_u32 v25, 0x100, v11
	v_lshrrev_b32_e32 v10, 16, v19
	v_cvt_f32_f16_e32 v23, v19
	v_cvt_f32_f16_e32 v9, v9
	v_add_co_u32 v21, vcc_lo, s28, v7
	v_add_co_ci_u32_e32 v22, vcc_lo, s29, v8, vcc_lo
	v_dual_mov_b32 v8, v12 :: v_dual_add_nc_u32 v7, 0x80, v11
	v_add_nc_u32_e32 v11, 0x180, v11
	v_cvt_f32_f16_e32 v13, v20
	v_cvt_f32_f16_e32 v20, v10
	v_mul_f32_e32 v10, v0, v9
	v_lshlrev_b64 v[18:19], 2, v[7:8]
	v_mul_f32_e32 v7, v0, v23
	v_mul_f32_e32 v9, v0, v13
	v_lshrrev_b32_e32 v13, 16, v17
	v_mov_b32_e32 v26, v12
	v_mul_f32_e32 v8, v0, v20
	v_add_co_u32 v23, vcc_lo, s28, v18
	v_lshrrev_b32_e32 v18, 16, v16
	v_cvt_f32_f16_e32 v13, v13
	v_cvt_f32_f16_e32 v17, v17
	v_lshlrev_b64 v[25:26], 2, v[25:26]
	v_add_co_ci_u32_e32 v24, vcc_lo, s29, v19, vcc_lo
	v_cvt_f32_f16_e32 v20, v18
	v_mul_f32_e32 v19, v0, v13
	v_mul_f32_e32 v18, v0, v17
	v_lshrrev_b32_e32 v13, 16, v14
	v_lshlrev_b64 v[27:28], 2, v[11:12]
	v_mul_f32_e32 v17, v0, v20
	v_lshrrev_b32_e32 v20, 16, v15
	v_cvt_f32_f16_e32 v16, v16
	v_add_co_u32 v25, vcc_lo, s28, v25
	v_cvt_f32_f16_e32 v13, v13
	v_cvt_f32_f16_e32 v29, v14
	;; [unrolled: 1-line block ×4, first 2 shown]
	v_add_co_ci_u32_e32 v26, vcc_lo, s29, v26, vcc_lo
	v_add_co_u32 v27, vcc_lo, s28, v27
	v_mul_f32_e32 v16, v0, v16
	v_mul_f32_e32 v14, v0, v13
	;; [unrolled: 1-line block ×5, first 2 shown]
	v_add_co_ci_u32_e32 v28, vcc_lo, s29, v28, vcc_lo
	s_clause 0x3
	global_store_b128 v[21:22], v[3:6], off
	global_store_b128 v[23:24], v[7:10], off
	;; [unrolled: 1-line block ×4, first 2 shown]
	s_and_saveexec_b32 s1, s0
	s_cbranch_execz .LBB5_27
; %bb.26:
	v_ashrrev_i32_e32 v3, 31, v2
	v_mov_b32_e32 v0, v108
	s_delay_alu instid0(VALU_DEP_2) | instskip(NEXT) | instid1(VALU_DEP_1)
	v_lshlrev_b64 v[2:3], 3, v[2:3]
	v_add_co_u32 v2, vcc_lo, s30, v2
	s_delay_alu instid0(VALU_DEP_2)
	v_add_co_ci_u32_e32 v3, vcc_lo, s31, v3, vcc_lo
	global_store_b64 v[2:3], v[0:1], off
.LBB5_27:
	s_nop 0
	s_sendmsg sendmsg(MSG_DEALLOC_VGPRS)
	s_endpgm
	.section	.rodata,"a",@progbits
	.p2align	6, 0x0
	.amdhsa_kernel _ZL15flash_attn_tileILi576ELi512ELi1ELi16ELb0EEvPKcS1_S1_S1_S1_PKiPfP15HIP_vector_typeIfLj2EEffffjfiS5_IjLj3EEiiiiiiiiiiiliiliiiiil
		.amdhsa_group_segment_fixed_size 29696
		.amdhsa_private_segment_fixed_size 0
		.amdhsa_kernarg_size 464
		.amdhsa_user_sgpr_count 13
		.amdhsa_user_sgpr_dispatch_ptr 0
		.amdhsa_user_sgpr_queue_ptr 0
		.amdhsa_user_sgpr_kernarg_segment_ptr 1
		.amdhsa_user_sgpr_dispatch_id 0
		.amdhsa_user_sgpr_private_segment_size 0
		.amdhsa_wavefront_size32 1
		.amdhsa_uses_dynamic_stack 0
		.amdhsa_enable_private_segment 0
		.amdhsa_system_sgpr_workgroup_id_x 1
		.amdhsa_system_sgpr_workgroup_id_y 1
		.amdhsa_system_sgpr_workgroup_id_z 1
		.amdhsa_system_sgpr_workgroup_info 0
		.amdhsa_system_vgpr_workitem_id 1
		.amdhsa_next_free_vgpr 191
		.amdhsa_next_free_sgpr 42
		.amdhsa_reserve_vcc 1
		.amdhsa_float_round_mode_32 0
		.amdhsa_float_round_mode_16_64 0
		.amdhsa_float_denorm_mode_32 3
		.amdhsa_float_denorm_mode_16_64 3
		.amdhsa_dx10_clamp 1
		.amdhsa_ieee_mode 1
		.amdhsa_fp16_overflow 0
		.amdhsa_workgroup_processor_mode 1
		.amdhsa_memory_ordered 1
		.amdhsa_forward_progress 0
		.amdhsa_shared_vgpr_count 0
		.amdhsa_exception_fp_ieee_invalid_op 0
		.amdhsa_exception_fp_denorm_src 0
		.amdhsa_exception_fp_ieee_div_zero 0
		.amdhsa_exception_fp_ieee_overflow 0
		.amdhsa_exception_fp_ieee_underflow 0
		.amdhsa_exception_fp_ieee_inexact 0
		.amdhsa_exception_int_div_zero 0
	.end_amdhsa_kernel
	.section	.text._ZL15flash_attn_tileILi576ELi512ELi1ELi16ELb0EEvPKcS1_S1_S1_S1_PKiPfP15HIP_vector_typeIfLj2EEffffjfiS5_IjLj3EEiiiiiiiiiiiliiliiiiil,"axG",@progbits,_ZL15flash_attn_tileILi576ELi512ELi1ELi16ELb0EEvPKcS1_S1_S1_S1_PKiPfP15HIP_vector_typeIfLj2EEffffjfiS5_IjLj3EEiiiiiiiiiiiliiliiiiil,comdat
.Lfunc_end5:
	.size	_ZL15flash_attn_tileILi576ELi512ELi1ELi16ELb0EEvPKcS1_S1_S1_S1_PKiPfP15HIP_vector_typeIfLj2EEffffjfiS5_IjLj3EEiiiiiiiiiiiliiliiiiil, .Lfunc_end5-_ZL15flash_attn_tileILi576ELi512ELi1ELi16ELb0EEvPKcS1_S1_S1_S1_PKiPfP15HIP_vector_typeIfLj2EEffffjfiS5_IjLj3EEiiiiiiiiiiiliiliiiiil
                                        ; -- End function
	.section	.AMDGPU.csdata,"",@progbits
; Kernel info:
; codeLenInByte = 42804
; NumSgprs: 44
; NumVgprs: 191
; ScratchSize: 0
; MemoryBound: 0
; FloatMode: 240
; IeeeMode: 1
; LDSByteSize: 29696 bytes/workgroup (compile time only)
; SGPRBlocks: 5
; VGPRBlocks: 23
; NumSGPRsForWavesPerEU: 44
; NumVGPRsForWavesPerEU: 191
; Occupancy: 8
; WaveLimiterHint : 1
; COMPUTE_PGM_RSRC2:SCRATCH_EN: 0
; COMPUTE_PGM_RSRC2:USER_SGPR: 13
; COMPUTE_PGM_RSRC2:TRAP_HANDLER: 0
; COMPUTE_PGM_RSRC2:TGID_X_EN: 1
; COMPUTE_PGM_RSRC2:TGID_Y_EN: 1
; COMPUTE_PGM_RSRC2:TGID_Z_EN: 1
; COMPUTE_PGM_RSRC2:TIDIG_COMP_CNT: 1
	.section	.text._ZL25flash_attn_mask_to_KV_maxILi1EEvPK7__half2Piiii,"axG",@progbits,_ZL25flash_attn_mask_to_KV_maxILi1EEvPK7__half2Piiii,comdat
	.globl	_ZL25flash_attn_mask_to_KV_maxILi1EEvPK7__half2Piiii ; -- Begin function _ZL25flash_attn_mask_to_KV_maxILi1EEvPK7__half2Piiii
	.p2align	8
	.type	_ZL25flash_attn_mask_to_KV_maxILi1EEvPK7__half2Piiii,@function
_ZL25flash_attn_mask_to_KV_maxILi1EEvPK7__half2Piiii: ; @_ZL25flash_attn_mask_to_KV_maxILi1EEvPK7__half2Piiii
; %bb.0:
	s_load_b128 s[4:7], s[0:1], 0x0
	s_mov_b32 s2, exec_lo
	v_cmpx_gt_u32_e32 32, v0
	s_cbranch_execz .LBB6_2
; %bb.1:
	v_dual_mov_b32 v2, 1 :: v_dual_lshlrev_b32 v1, 2, v0
	ds_store_b32 v1, v2
.LBB6_2:
	s_or_b32 exec_lo, exec_lo, s2
	s_clause 0x1
	s_load_b128 s[8:11], s[0:1], 0x10
	s_load_b32 s1, s[0:1], 0x20
	v_dual_mov_b32 v2, 0 :: v_dual_and_b32 v1, 31, v0
	v_lshrrev_b32_e32 v3, 3, v0
	s_waitcnt lgkmcnt(0)
	s_barrier
	s_delay_alu instid0(VALU_DEP_2) | instskip(SKIP_3) | instid1(SALU_CYCLE_1)
	v_lshlrev_b32_e32 v4, 2, v1
	buffer_gl0_inv
	s_mul_i32 s0, s15, s10
	s_mul_i32 s2, s14, s9
	s_add_i32 s2, s0, s2
	v_cmp_eq_u32_e64 s0, 0, v1
	s_ashr_i32 s3, s2, 31
	s_delay_alu instid0(SALU_CYCLE_1) | instskip(NEXT) | instid1(SALU_CYCLE_1)
	s_lshl_b64 s[10:11], s[2:3], 2
	s_add_u32 s3, s4, s10
	s_addc_u32 s4, s5, s11
	s_lshl_b32 s5, s8, 8
	s_branch .LBB6_4
	.p2align	6
.LBB6_3:                                ;   in Loop: Header=BB6_4 Depth=1
	s_or_b32 exec_lo, exec_lo, s9
	s_waitcnt lgkmcnt(0)
	s_barrier
	buffer_gl0_inv
	ds_load_b32 v1, v4
	s_waitcnt lgkmcnt(0)
	s_barrier
	buffer_gl0_inv
	;;#ASMSTART
	;;#ASMEND
	v_cmp_ne_u32_e32 vcc_lo, 0, v1
	s_cmp_lg_u32 vcc_lo, exec_lo
	s_cselect_b32 s8, -1, 0
	s_delay_alu instid0(SALU_CYCLE_1)
	s_and_b32 vcc_lo, exec_lo, s8
	s_cbranch_vccnz .LBB6_8
.LBB6_4:                                ; =>This Inner Loop Header: Depth=1
	s_mov_b32 s2, s5
	s_addk_i32 s5, 0xff00
	s_delay_alu instid0(SALU_CYCLE_1)
	s_cmp_lt_i32 s5, 0
	s_cbranch_scc1 .LBB6_7
; %bb.5:                                ;   in Loop: Header=BB6_4 Depth=1
	s_lshr_b32 s9, s5, 1
	s_mov_b32 s8, exec_lo
	v_add_nc_u32_e32 v1, s9, v0
	s_delay_alu instid0(VALU_DEP_1) | instskip(NEXT) | instid1(VALU_DEP_1)
	v_lshlrev_b64 v[5:6], 2, v[1:2]
	v_add_co_u32 v5, vcc_lo, s3, v5
	s_delay_alu instid0(VALU_DEP_2) | instskip(SKIP_4) | instid1(VALU_DEP_2)
	v_add_co_ci_u32_e32 v6, vcc_lo, s4, v6, vcc_lo
	global_load_b32 v1, v[5:6], off
	s_waitcnt vmcnt(0)
	v_lshrrev_b32_e32 v5, 16, v1
	v_cmp_class_f16_e64 s9, v1, 0x204
	v_and_b32_e32 v5, 0x7fff, v5
	s_delay_alu instid0(VALU_DEP_1) | instskip(NEXT) | instid1(VALU_DEP_3)
	v_cmp_eq_f16_e32 vcc_lo, 0x7c00, v5
	s_and_b32 s9, s9, vcc_lo
	s_delay_alu instid0(SALU_CYCLE_1) | instskip(SKIP_1) | instid1(VALU_DEP_1)
	v_cndmask_b32_e64 v1, 0, 1, s9
	;;#ASMSTART
	;;#ASMEND
	v_cmp_ne_u32_e32 vcc_lo, 0, v1
	s_and_saveexec_b32 s9, s0
	s_cbranch_execz .LBB6_3
; %bb.6:                                ;   in Loop: Header=BB6_4 Depth=1
	s_cmp_eq_u32 vcc_lo, s8
	s_cselect_b32 s8, -1, 0
	s_delay_alu instid0(SALU_CYCLE_1)
	v_cndmask_b32_e64 v1, 0, 1, s8
	ds_store_b32 v3, v1
	s_branch .LBB6_3
.LBB6_7:                                ;   in Loop: Header=BB6_4 Depth=1
                                        ; implicit-def: $sgpr5
	s_cbranch_execz .LBB6_4
.LBB6_8:
	s_mov_b32 s0, exec_lo
	v_cmpx_eq_u32_e32 0, v0
	s_cbranch_execz .LBB6_10
; %bb.9:
	s_mul_i32 s0, s1, s15
	v_dual_mov_b32 v0, 0 :: v_dual_mov_b32 v1, s2
	s_add_i32 s0, s0, s14
	s_delay_alu instid0(SALU_CYCLE_1) | instskip(NEXT) | instid1(SALU_CYCLE_1)
	s_ashr_i32 s1, s0, 31
	s_lshl_b64 s[0:1], s[0:1], 2
	s_delay_alu instid0(SALU_CYCLE_1)
	s_add_u32 s0, s6, s0
	s_addc_u32 s1, s7, s1
	global_store_b32 v0, v1, s[0:1]
.LBB6_10:
	s_nop 0
	s_sendmsg sendmsg(MSG_DEALLOC_VGPRS)
	s_endpgm
	.section	.rodata,"a",@progbits
	.p2align	6, 0x0
	.amdhsa_kernel _ZL25flash_attn_mask_to_KV_maxILi1EEvPK7__half2Piiii
		.amdhsa_group_segment_fixed_size 128
		.amdhsa_private_segment_fixed_size 0
		.amdhsa_kernarg_size 288
		.amdhsa_user_sgpr_count 14
		.amdhsa_user_sgpr_dispatch_ptr 0
		.amdhsa_user_sgpr_queue_ptr 0
		.amdhsa_user_sgpr_kernarg_segment_ptr 1
		.amdhsa_user_sgpr_dispatch_id 0
		.amdhsa_user_sgpr_private_segment_size 0
		.amdhsa_wavefront_size32 1
		.amdhsa_uses_dynamic_stack 0
		.amdhsa_enable_private_segment 0
		.amdhsa_system_sgpr_workgroup_id_x 1
		.amdhsa_system_sgpr_workgroup_id_y 1
		.amdhsa_system_sgpr_workgroup_id_z 0
		.amdhsa_system_sgpr_workgroup_info 0
		.amdhsa_system_vgpr_workitem_id 0
		.amdhsa_next_free_vgpr 7
		.amdhsa_next_free_sgpr 16
		.amdhsa_reserve_vcc 1
		.amdhsa_float_round_mode_32 0
		.amdhsa_float_round_mode_16_64 0
		.amdhsa_float_denorm_mode_32 3
		.amdhsa_float_denorm_mode_16_64 3
		.amdhsa_dx10_clamp 1
		.amdhsa_ieee_mode 1
		.amdhsa_fp16_overflow 0
		.amdhsa_workgroup_processor_mode 1
		.amdhsa_memory_ordered 1
		.amdhsa_forward_progress 0
		.amdhsa_shared_vgpr_count 0
		.amdhsa_exception_fp_ieee_invalid_op 0
		.amdhsa_exception_fp_denorm_src 0
		.amdhsa_exception_fp_ieee_div_zero 0
		.amdhsa_exception_fp_ieee_overflow 0
		.amdhsa_exception_fp_ieee_underflow 0
		.amdhsa_exception_fp_ieee_inexact 0
		.amdhsa_exception_int_div_zero 0
	.end_amdhsa_kernel
	.section	.text._ZL25flash_attn_mask_to_KV_maxILi1EEvPK7__half2Piiii,"axG",@progbits,_ZL25flash_attn_mask_to_KV_maxILi1EEvPK7__half2Piiii,comdat
.Lfunc_end6:
	.size	_ZL25flash_attn_mask_to_KV_maxILi1EEvPK7__half2Piiii, .Lfunc_end6-_ZL25flash_attn_mask_to_KV_maxILi1EEvPK7__half2Piiii
                                        ; -- End function
	.section	.AMDGPU.csdata,"",@progbits
; Kernel info:
; codeLenInByte = 456
; NumSgprs: 18
; NumVgprs: 7
; ScratchSize: 0
; MemoryBound: 0
; FloatMode: 240
; IeeeMode: 1
; LDSByteSize: 128 bytes/workgroup (compile time only)
; SGPRBlocks: 2
; VGPRBlocks: 0
; NumSGPRsForWavesPerEU: 18
; NumVGPRsForWavesPerEU: 7
; Occupancy: 16
; WaveLimiterHint : 0
; COMPUTE_PGM_RSRC2:SCRATCH_EN: 0
; COMPUTE_PGM_RSRC2:USER_SGPR: 14
; COMPUTE_PGM_RSRC2:TRAP_HANDLER: 0
; COMPUTE_PGM_RSRC2:TGID_X_EN: 1
; COMPUTE_PGM_RSRC2:TGID_Y_EN: 1
; COMPUTE_PGM_RSRC2:TGID_Z_EN: 0
; COMPUTE_PGM_RSRC2:TIDIG_COMP_CNT: 0
	.section	.text._ZL33flash_attn_stream_k_fixup_uniformILi512ELi1ELi16EEvPfPK15HIP_vector_typeIfLj2EEiiiiiiS1_IjLj3EES5_S5_,"axG",@progbits,_ZL33flash_attn_stream_k_fixup_uniformILi512ELi1ELi16EEvPfPK15HIP_vector_typeIfLj2EEiiiiiiS1_IjLj3EES5_S5_,comdat
	.globl	_ZL33flash_attn_stream_k_fixup_uniformILi512ELi1ELi16EEvPfPK15HIP_vector_typeIfLj2EEiiiiiiS1_IjLj3EES5_S5_ ; -- Begin function _ZL33flash_attn_stream_k_fixup_uniformILi512ELi1ELi16EEvPfPK15HIP_vector_typeIfLj2EEiiiiiiS1_IjLj3EES5_S5_
	.p2align	8
	.type	_ZL33flash_attn_stream_k_fixup_uniformILi512ELi1ELi16EEvPfPK15HIP_vector_typeIfLj2EEiiiiiiS1_IjLj3EES5_S5_,@function
_ZL33flash_attn_stream_k_fixup_uniformILi512ELi1ELi16EEvPfPK15HIP_vector_typeIfLj2EEiiiiiiS1_IjLj3EES5_S5_: ; @_ZL33flash_attn_stream_k_fixup_uniformILi512ELi1ELi16EEvPfPK15HIP_vector_typeIfLj2EEiiiiiiS1_IjLj3EES5_S5_
; %bb.0:
	s_clause 0x1
	s_load_b256 s[4:11], s[0:1], 0x1c
	s_load_b128 s[16:19], s[0:1], 0x3c
	s_waitcnt lgkmcnt(0)
	s_mul_hi_u32 s2, s7, s13
	s_delay_alu instid0(SALU_CYCLE_1) | instskip(NEXT) | instid1(SALU_CYCLE_1)
	s_add_i32 s2, s13, s2
	s_lshr_b32 s7, s2, s8
	s_delay_alu instid0(SALU_CYCLE_1) | instskip(SKIP_2) | instid1(SALU_CYCLE_1)
	s_mul_i32 s2, s7, s9
	s_load_b64 s[8:9], s[0:1], 0x10
	s_sub_i32 s2, s13, s2
	s_mul_hi_u32 s3, s2, s10
	s_delay_alu instid0(SALU_CYCLE_1) | instskip(NEXT) | instid1(SALU_CYCLE_1)
	s_add_i32 s3, s2, s3
	s_lshr_b32 s10, s3, s11
	s_delay_alu instid0(SALU_CYCLE_1) | instskip(NEXT) | instid1(SALU_CYCLE_1)
	s_mul_i32 s3, s10, s16
	s_sub_i32 s2, s2, s3
	s_delay_alu instid0(SALU_CYCLE_1) | instskip(NEXT) | instid1(SALU_CYCLE_1)
	s_mul_hi_u32 s3, s2, s17
	s_add_i32 s3, s2, s3
	s_delay_alu instid0(SALU_CYCLE_1) | instskip(NEXT) | instid1(SALU_CYCLE_1)
	s_lshr_b32 s3, s3, s18
	s_mul_i32 s11, s3, s19
	s_lshl_b32 s12, s3, 4
	s_sub_i32 s11, s2, s11
	s_delay_alu instid0(SALU_CYCLE_1) | instskip(SKIP_4) | instid1(SALU_CYCLE_1)
	s_add_i32 s11, s11, s14
	s_waitcnt lgkmcnt(0)
	s_cmp_lt_i32 s11, s8
	s_cselect_b32 s2, -1, 0
	s_add_i32 s12, s12, s15
	s_cmp_lt_i32 s12, s5
	s_cselect_b32 s3, -1, 0
	s_delay_alu instid0(SALU_CYCLE_1) | instskip(NEXT) | instid1(SALU_CYCLE_1)
	s_and_b32 s2, s2, s3
	s_and_not1_b32 vcc_lo, exec_lo, s2
	s_cbranch_vccnz .LBB7_6
; %bb.1:
	s_mul_i32 s7, s7, s8
	s_mul_i32 s10, s10, s5
	s_add_i32 s5, s11, s7
	s_load_b128 s[0:3], s[0:1], 0x0
	s_add_i32 s7, s12, s10
	s_mul_i32 s5, s5, s9
	s_delay_alu instid0(SALU_CYCLE_1) | instskip(SKIP_3) | instid1(VALU_DEP_1)
	s_add_i32 s7, s7, s5
	s_mul_i32 s5, s13, s6
	v_lshl_or_b32 v1, s7, 9, v0
	s_add_i32 s9, s5, s6
	v_ashrrev_i32_e32 v2, 31, v1
	s_delay_alu instid0(VALU_DEP_1) | instskip(SKIP_1) | instid1(VALU_DEP_1)
	v_lshlrev_b64 v[1:2], 2, v[1:2]
	s_waitcnt lgkmcnt(0)
	v_add_co_u32 v1, vcc_lo, s0, v1
	s_delay_alu instid0(VALU_DEP_2) | instskip(SKIP_1) | instid1(SALU_CYCLE_1)
	v_add_co_ci_u32_e32 v2, vcc_lo, s1, v2, vcc_lo
	s_add_i32 s0, s14, s9
	s_lshl_b32 s0, s0, 4
	global_load_b32 v5, v[1:2], off
	s_add_i32 s0, s0, s15
	s_delay_alu instid0(SALU_CYCLE_1) | instskip(NEXT) | instid1(SALU_CYCLE_1)
	s_add_i32 s0, s0, -16
	s_ashr_i32 s1, s0, 31
	s_delay_alu instid0(SALU_CYCLE_1) | instskip(NEXT) | instid1(SALU_CYCLE_1)
	s_lshl_b64 s[0:1], s[0:1], 3
	s_add_u32 s0, s2, s0
	s_addc_u32 s1, s3, s1
	s_add_i32 s7, s9, -2
	s_load_b32 s10, s[0:1], 0x4
	s_cmp_lt_i32 s7, s5
	s_cbranch_scc1 .LBB7_4
; %bb.2:
	s_lshl_b32 s16, s4, 6
	s_load_b32 s11, s[0:1], 0x0
	s_ashr_i32 s17, s16, 31
	s_delay_alu instid0(SALU_CYCLE_1) | instskip(NEXT) | instid1(SALU_CYCLE_1)
	s_lshl_b64 s[0:1], s[16:17], 2
	s_add_u32 s7, s2, s0
	s_addc_u32 s8, s3, s1
	s_add_i32 s13, s13, 1
	s_lshl_b32 s0, s15, 9
	s_lshl_b32 s1, s14, 13
	s_mul_i32 s6, s6, s13
	s_add_i32 s0, s0, s1
	s_lshl_b32 s1, s6, 13
	s_delay_alu instid0(SALU_CYCLE_1)
	s_add_i32 s0, s0, s1
	s_add_i32 s1, s14, s4
	v_or_b32_e32 v0, s0, v0
	s_add_i32 s1, s1, s9
	s_waitcnt lgkmcnt(0)
	v_mov_b32_e32 v6, s10
	s_lshl_b32 s0, s1, 4
	s_add_i32 s4, s9, -1
	v_dual_mov_b32 v0, s11 :: v_dual_add_nc_u32 v3, 0xffffc000, v0
	s_add_i32 s15, s15, s0
	s_delay_alu instid0(SALU_CYCLE_1)
	s_sub_i32 s0, s15, 32
.LBB7_3:                                ; =>This Inner Loop Header: Depth=1
	s_delay_alu instid0(VALU_DEP_1) | instskip(SKIP_1) | instid1(SALU_CYCLE_1)
	v_ashrrev_i32_e32 v4, 31, v3
	s_ashr_i32 s1, s0, 31
	s_lshl_b64 s[10:11], s[0:1], 3
	s_delay_alu instid0(SALU_CYCLE_1) | instskip(NEXT) | instid1(VALU_DEP_1)
	s_add_u32 s10, s2, s10
	v_lshlrev_b64 v[7:8], 2, v[3:4]
	s_addc_u32 s11, s3, s11
	s_add_i32 s4, s4, -1
	s_add_i32 s0, s0, -16
	s_cmp_le_i32 s4, s5
	s_load_b64 s[10:11], s[10:11], 0x0
	v_add_co_u32 v7, vcc_lo, s7, v7
	v_add_co_ci_u32_e32 v8, vcc_lo, s8, v8, vcc_lo
	global_load_b32 v4, v[7:8], off
	v_max_f32_e32 v7, v0, v0
	s_waitcnt lgkmcnt(0)
	v_max_f32_e64 v8, s10, s10
	s_delay_alu instid0(VALU_DEP_1) | instskip(NEXT) | instid1(VALU_DEP_1)
	v_max_f32_e32 v7, v7, v8
	v_sub_f32_e32 v8, s10, v7
	s_delay_alu instid0(VALU_DEP_1) | instskip(NEXT) | instid1(VALU_DEP_1)
	v_dual_sub_f32 v0, v0, v7 :: v_dual_mul_f32 v9, 0x3fb8aa3b, v8
	v_fma_f32 v10, 0x3fb8aa3b, v8, -v9
	v_rndne_f32_e32 v11, v9
	s_delay_alu instid0(VALU_DEP_3) | instskip(NEXT) | instid1(VALU_DEP_2)
	v_mul_f32_e32 v12, 0x3fb8aa3b, v0
	v_dual_fmac_f32 v10, 0x32a5705f, v8 :: v_dual_sub_f32 v9, v9, v11
	v_cvt_i32_f32_e32 v11, v11
	s_delay_alu instid0(VALU_DEP_3) | instskip(SKIP_1) | instid1(VALU_DEP_4)
	v_fma_f32 v13, 0x3fb8aa3b, v0, -v12
	v_rndne_f32_e32 v14, v12
	v_add_f32_e32 v9, v9, v10
	v_cmp_ngt_f32_e32 vcc_lo, 0xc2ce8ed0, v8
	s_delay_alu instid0(VALU_DEP_3) | instskip(NEXT) | instid1(VALU_DEP_3)
	v_sub_f32_e32 v10, v12, v14
	v_exp_f32_e32 v9, v9
	s_waitcnt_depctr 0xfff
	v_ldexp_f32 v9, v9, v11
	v_cvt_i32_f32_e32 v11, v14
	s_delay_alu instid0(VALU_DEP_2) | instskip(SKIP_1) | instid1(VALU_DEP_2)
	v_cndmask_b32_e32 v9, 0, v9, vcc_lo
	v_cmp_nlt_f32_e32 vcc_lo, 0x42b17218, v8
	v_cndmask_b32_e32 v9, 0x7f800000, v9, vcc_lo
	v_cmp_ngt_f32_e32 vcc_lo, 0xc2ce8ed0, v0
	v_fmac_f32_e32 v13, 0x32a5705f, v0
	s_delay_alu instid0(VALU_DEP_1) | instskip(NEXT) | instid1(VALU_DEP_1)
	v_add_f32_e32 v10, v10, v13
	v_exp_f32_e32 v10, v10
	s_waitcnt_depctr 0xfff
	v_ldexp_f32 v10, v10, v11
	s_delay_alu instid0(VALU_DEP_1)
	v_dual_mov_b32 v11, v6 :: v_dual_cndmask_b32 v10, 0, v10
	v_cmp_le_f32_e32 vcc_lo, 0xc1a00000, v8
	s_waitcnt vmcnt(1)
	v_dual_cndmask_b32 v8, 0, v9 :: v_dual_mov_b32 v9, v5
	v_cmp_nlt_f32_e32 vcc_lo, 0x42b17218, v0
	v_cndmask_b32_e32 v5, 0x7f800000, v10, vcc_lo
	s_delay_alu instid0(VALU_DEP_3) | instskip(SKIP_2) | instid1(VALU_DEP_3)
	v_mul_f32_e32 v10, s11, v8
	v_cmp_le_f32_e32 vcc_lo, 0xc1a00000, v0
	v_mov_b32_e32 v0, v7
	v_mov_b32_e32 v6, v10
	s_waitcnt vmcnt(0)
	v_dual_cndmask_b32 v12, 0, v5 :: v_dual_mul_f32 v5, v4, v8
	s_delay_alu instid0(VALU_DEP_1) | instskip(NEXT) | instid1(VALU_DEP_2)
	v_dual_fmac_f32 v6, v11, v12 :: v_dual_add_nc_u32 v3, 0xffffe000, v3
	v_fmac_f32_e32 v5, v9, v12
	s_cbranch_scc0 .LBB7_3
	s_branch .LBB7_5
.LBB7_4:
	s_waitcnt lgkmcnt(0)
	v_mov_b32_e32 v6, s10
.LBB7_5:
	s_waitcnt vmcnt(0)
	s_delay_alu instid0(VALU_DEP_1) | instskip(NEXT) | instid1(VALU_DEP_1)
	v_div_scale_f32 v0, null, v6, v6, v5
	v_rcp_f32_e32 v3, v0
	s_waitcnt_depctr 0xfff
	v_fma_f32 v4, -v0, v3, 1.0
	s_delay_alu instid0(VALU_DEP_1) | instskip(SKIP_1) | instid1(VALU_DEP_1)
	v_fmac_f32_e32 v3, v4, v3
	v_div_scale_f32 v4, vcc_lo, v5, v6, v5
	v_mul_f32_e32 v7, v4, v3
	s_delay_alu instid0(VALU_DEP_1) | instskip(NEXT) | instid1(VALU_DEP_1)
	v_fma_f32 v8, -v0, v7, v4
	v_fmac_f32_e32 v7, v8, v3
	s_delay_alu instid0(VALU_DEP_1) | instskip(NEXT) | instid1(VALU_DEP_1)
	v_fma_f32 v0, -v0, v7, v4
	v_div_fmas_f32 v0, v0, v3, v7
	s_delay_alu instid0(VALU_DEP_1)
	v_div_fixup_f32 v0, v0, v6, v5
	global_store_b32 v[1:2], v0, off
.LBB7_6:
	s_nop 0
	s_sendmsg sendmsg(MSG_DEALLOC_VGPRS)
	s_endpgm
	.section	.rodata,"a",@progbits
	.p2align	6, 0x0
	.amdhsa_kernel _ZL33flash_attn_stream_k_fixup_uniformILi512ELi1ELi16EEvPfPK15HIP_vector_typeIfLj2EEiiiiiiS1_IjLj3EES5_S5_
		.amdhsa_group_segment_fixed_size 0
		.amdhsa_private_segment_fixed_size 0
		.amdhsa_kernarg_size 76
		.amdhsa_user_sgpr_count 13
		.amdhsa_user_sgpr_dispatch_ptr 0
		.amdhsa_user_sgpr_queue_ptr 0
		.amdhsa_user_sgpr_kernarg_segment_ptr 1
		.amdhsa_user_sgpr_dispatch_id 0
		.amdhsa_user_sgpr_private_segment_size 0
		.amdhsa_wavefront_size32 1
		.amdhsa_uses_dynamic_stack 0
		.amdhsa_enable_private_segment 0
		.amdhsa_system_sgpr_workgroup_id_x 1
		.amdhsa_system_sgpr_workgroup_id_y 1
		.amdhsa_system_sgpr_workgroup_id_z 1
		.amdhsa_system_sgpr_workgroup_info 0
		.amdhsa_system_vgpr_workitem_id 0
		.amdhsa_next_free_vgpr 15
		.amdhsa_next_free_sgpr 20
		.amdhsa_reserve_vcc 1
		.amdhsa_float_round_mode_32 0
		.amdhsa_float_round_mode_16_64 0
		.amdhsa_float_denorm_mode_32 3
		.amdhsa_float_denorm_mode_16_64 3
		.amdhsa_dx10_clamp 1
		.amdhsa_ieee_mode 1
		.amdhsa_fp16_overflow 0
		.amdhsa_workgroup_processor_mode 1
		.amdhsa_memory_ordered 1
		.amdhsa_forward_progress 0
		.amdhsa_shared_vgpr_count 0
		.amdhsa_exception_fp_ieee_invalid_op 0
		.amdhsa_exception_fp_denorm_src 0
		.amdhsa_exception_fp_ieee_div_zero 0
		.amdhsa_exception_fp_ieee_overflow 0
		.amdhsa_exception_fp_ieee_underflow 0
		.amdhsa_exception_fp_ieee_inexact 0
		.amdhsa_exception_int_div_zero 0
	.end_amdhsa_kernel
	.section	.text._ZL33flash_attn_stream_k_fixup_uniformILi512ELi1ELi16EEvPfPK15HIP_vector_typeIfLj2EEiiiiiiS1_IjLj3EES5_S5_,"axG",@progbits,_ZL33flash_attn_stream_k_fixup_uniformILi512ELi1ELi16EEvPfPK15HIP_vector_typeIfLj2EEiiiiiiS1_IjLj3EES5_S5_,comdat
.Lfunc_end7:
	.size	_ZL33flash_attn_stream_k_fixup_uniformILi512ELi1ELi16EEvPfPK15HIP_vector_typeIfLj2EEiiiiiiS1_IjLj3EES5_S5_, .Lfunc_end7-_ZL33flash_attn_stream_k_fixup_uniformILi512ELi1ELi16EEvPfPK15HIP_vector_typeIfLj2EEiiiiiiS1_IjLj3EES5_S5_
                                        ; -- End function
	.section	.AMDGPU.csdata,"",@progbits
; Kernel info:
; codeLenInByte = 968
; NumSgprs: 22
; NumVgprs: 15
; ScratchSize: 0
; MemoryBound: 0
; FloatMode: 240
; IeeeMode: 1
; LDSByteSize: 0 bytes/workgroup (compile time only)
; SGPRBlocks: 2
; VGPRBlocks: 1
; NumSGPRsForWavesPerEU: 22
; NumVGPRsForWavesPerEU: 15
; Occupancy: 16
; WaveLimiterHint : 0
; COMPUTE_PGM_RSRC2:SCRATCH_EN: 0
; COMPUTE_PGM_RSRC2:USER_SGPR: 13
; COMPUTE_PGM_RSRC2:TRAP_HANDLER: 0
; COMPUTE_PGM_RSRC2:TGID_X_EN: 1
; COMPUTE_PGM_RSRC2:TGID_Y_EN: 1
; COMPUTE_PGM_RSRC2:TGID_Z_EN: 1
; COMPUTE_PGM_RSRC2:TIDIG_COMP_CNT: 0
	.section	.text._ZL33flash_attn_stream_k_fixup_generalILi512ELi1ELi16EEvPfPK15HIP_vector_typeIfLj2EEiiiiS1_IjLj3EES5_S5_S5_,"axG",@progbits,_ZL33flash_attn_stream_k_fixup_generalILi512ELi1ELi16EEvPfPK15HIP_vector_typeIfLj2EEiiiiS1_IjLj3EES5_S5_S5_,comdat
	.globl	_ZL33flash_attn_stream_k_fixup_generalILi512ELi1ELi16EEvPfPK15HIP_vector_typeIfLj2EEiiiiS1_IjLj3EES5_S5_S5_ ; -- Begin function _ZL33flash_attn_stream_k_fixup_generalILi512ELi1ELi16EEvPfPK15HIP_vector_typeIfLj2EEiiiiS1_IjLj3EES5_S5_S5_
	.p2align	8
	.type	_ZL33flash_attn_stream_k_fixup_generalILi512ELi1ELi16EEvPfPK15HIP_vector_typeIfLj2EEiiiiS1_IjLj3EES5_S5_S5_,@function
_ZL33flash_attn_stream_k_fixup_generalILi512ELi1ELi16EEvPfPK15HIP_vector_typeIfLj2EEiiiiS1_IjLj3EES5_S5_S5_: ; @_ZL33flash_attn_stream_k_fixup_generalILi512ELi1ELi16EEvPfPK15HIP_vector_typeIfLj2EEiiiiS1_IjLj3EES5_S5_S5_
; %bb.0:
	s_clause 0x1
	s_load_b128 s[4:7], s[0:1], 0x10
	s_load_b32 s20, s[0:1], 0x50
	s_mov_b32 s2, 0
	s_waitcnt lgkmcnt(0)
	s_mul_hi_i32 s3, s7, s13
	s_mul_i32 s12, s7, s13
	s_cmp_lg_u64 s[2:3], 0
	s_cbranch_scc0 .LBB8_21
; %bb.1:
	v_cvt_f32_ubyte0_e32 v1, 0
	v_cvt_f32_u32_e32 v2, s20
	s_sub_u32 s10, 0, s20
	s_subb_u32 s11, 0, 0
	s_delay_alu instid0(VALU_DEP_1) | instskip(NEXT) | instid1(VALU_DEP_1)
	v_fmamk_f32 v1, v1, 0x4f800000, v2
	v_rcp_f32_e32 v1, v1
	s_waitcnt_depctr 0xfff
	v_mul_f32_e32 v1, 0x5f7ffffc, v1
	s_delay_alu instid0(VALU_DEP_1) | instskip(NEXT) | instid1(VALU_DEP_1)
	v_mul_f32_e32 v2, 0x2f800000, v1
	v_trunc_f32_e32 v2, v2
	s_delay_alu instid0(VALU_DEP_1) | instskip(SKIP_1) | instid1(VALU_DEP_2)
	v_fmamk_f32 v1, v2, 0xcf800000, v1
	v_cvt_u32_f32_e32 v2, v2
	v_cvt_u32_f32_e32 v1, v1
	s_delay_alu instid0(VALU_DEP_2) | instskip(NEXT) | instid1(VALU_DEP_2)
	v_readfirstlane_b32 s8, v2
	v_readfirstlane_b32 s9, v1
	s_delay_alu instid0(VALU_DEP_2) | instskip(NEXT) | instid1(VALU_DEP_1)
	s_mul_i32 s16, s10, s8
	s_mul_hi_u32 s18, s10, s9
	s_mul_i32 s17, s11, s9
	s_add_i32 s16, s18, s16
	s_mul_i32 s19, s10, s9
	s_add_i32 s16, s16, s17
	s_mul_hi_u32 s18, s9, s19
	s_mul_hi_u32 s21, s8, s19
	s_mul_i32 s17, s8, s19
	s_mul_hi_u32 s19, s9, s16
	s_mul_i32 s9, s9, s16
	s_mul_hi_u32 s22, s8, s16
	s_add_u32 s9, s18, s9
	s_addc_u32 s18, 0, s19
	s_add_u32 s9, s9, s17
	s_mul_i32 s16, s8, s16
	s_addc_u32 s9, s18, s21
	s_addc_u32 s17, s22, 0
	s_add_u32 s9, s9, s16
	s_addc_u32 s16, 0, s17
	v_add_co_u32 v1, s9, v1, s9
	s_delay_alu instid0(VALU_DEP_1) | instskip(SKIP_1) | instid1(VALU_DEP_1)
	s_cmp_lg_u32 s9, 0
	s_addc_u32 s8, s8, s16
	v_readfirstlane_b32 s9, v1
	s_mul_i32 s16, s10, s8
	s_delay_alu instid0(VALU_DEP_1)
	s_mul_hi_u32 s17, s10, s9
	s_mul_i32 s11, s11, s9
	s_add_i32 s16, s17, s16
	s_mul_i32 s10, s10, s9
	s_add_i32 s16, s16, s11
	s_mul_hi_u32 s17, s8, s10
	s_mul_i32 s18, s8, s10
	s_mul_hi_u32 s10, s9, s10
	s_mul_hi_u32 s19, s9, s16
	s_mul_i32 s9, s9, s16
	s_mul_hi_u32 s11, s8, s16
	s_add_u32 s9, s10, s9
	s_addc_u32 s10, 0, s19
	s_add_u32 s9, s9, s18
	s_mul_i32 s16, s8, s16
	s_addc_u32 s9, s10, s17
	s_addc_u32 s10, s11, 0
	s_add_u32 s9, s9, s16
	s_addc_u32 s10, 0, s10
	v_add_co_u32 v1, s9, v1, s9
	s_delay_alu instid0(VALU_DEP_1) | instskip(SKIP_2) | instid1(SALU_CYCLE_1)
	s_cmp_lg_u32 s9, 0
	s_addc_u32 s16, s8, s10
	s_ashr_i32 s8, s3, 31
	s_add_u32 s10, s12, s8
	s_addc_u32 s11, s3, s8
	v_readfirstlane_b32 s3, v1
	s_mov_b32 s9, s8
	s_delay_alu instid0(SALU_CYCLE_1) | instskip(NEXT) | instid1(SALU_CYCLE_1)
	s_xor_b64 s[10:11], s[10:11], s[8:9]
	s_mul_i32 s18, s10, s16
	s_delay_alu instid0(VALU_DEP_1)
	s_mul_hi_u32 s19, s10, s3
	s_mul_hi_u32 s17, s10, s16
	;; [unrolled: 1-line block ×3, first 2 shown]
	s_mul_i32 s3, s11, s3
	s_add_u32 s18, s19, s18
	s_addc_u32 s17, 0, s17
	s_mul_hi_u32 s21, s11, s16
	s_add_u32 s3, s18, s3
	s_mul_i32 s16, s11, s16
	s_addc_u32 s3, s17, s22
	s_addc_u32 s17, s21, 0
	s_add_u32 s3, s3, s16
	s_addc_u32 s16, 0, s17
	s_mul_i32 s18, s20, s3
	s_add_u32 s17, s3, 1
	v_sub_co_u32 v1, s10, s10, s18
	s_mul_hi_u32 s18, s20, s3
	s_addc_u32 s19, s16, 0
	s_mul_i32 s21, s20, s16
	s_delay_alu instid0(VALU_DEP_1)
	v_sub_co_u32 v2, s22, v1, s20
	s_add_u32 s23, s3, 2
	s_addc_u32 s24, s16, 0
	s_add_i32 s18, s18, s21
	s_cmp_lg_u32 s10, 0
	v_readfirstlane_b32 s10, v2
	s_subb_u32 s11, s11, s18
	s_cmp_lg_u32 s22, 0
	s_subb_u32 s18, s11, 0
	s_delay_alu instid0(VALU_DEP_1) | instskip(SKIP_4) | instid1(SALU_CYCLE_1)
	s_cmp_ge_u32 s10, s20
	s_cselect_b32 s10, -1, 0
	s_cmp_eq_u32 s18, 0
	v_readfirstlane_b32 s18, v1
	s_cselect_b32 s10, s10, -1
	s_cmp_lg_u32 s10, 0
	s_cselect_b32 s10, s23, s17
	s_cselect_b32 s17, s24, s19
	s_cmp_ge_u32 s18, s20
	s_cselect_b32 s18, -1, 0
	s_cmp_eq_u32 s11, 0
	s_cselect_b32 s11, s18, -1
	s_delay_alu instid0(SALU_CYCLE_1) | instskip(SKIP_2) | instid1(SALU_CYCLE_1)
	s_cmp_lg_u32 s11, 0
	s_cselect_b32 s11, s17, s16
	s_cselect_b32 s10, s10, s3
	s_xor_b64 s[10:11], s[10:11], s[8:9]
	s_delay_alu instid0(SALU_CYCLE_1)
	s_sub_u32 s16, s10, s8
	s_load_b128 s[8:11], s[0:1], 0x44
	s_and_not1_b32 vcc_lo, exec_lo, s2
	s_cbranch_vccnz .LBB8_3
.LBB8_2:
	v_cvt_f32_u32_e32 v1, s20
	s_sub_i32 s3, 0, s20
	s_delay_alu instid0(VALU_DEP_1) | instskip(SKIP_2) | instid1(VALU_DEP_1)
	v_rcp_iflag_f32_e32 v1, v1
	s_waitcnt_depctr 0xfff
	v_mul_f32_e32 v1, 0x4f7ffffe, v1
	v_cvt_u32_f32_e32 v1, v1
	s_delay_alu instid0(VALU_DEP_1) | instskip(NEXT) | instid1(VALU_DEP_1)
	v_readfirstlane_b32 s2, v1
	s_mul_i32 s3, s3, s2
	s_delay_alu instid0(SALU_CYCLE_1) | instskip(NEXT) | instid1(SALU_CYCLE_1)
	s_mul_hi_u32 s3, s2, s3
	s_add_i32 s2, s2, s3
	s_delay_alu instid0(SALU_CYCLE_1) | instskip(NEXT) | instid1(SALU_CYCLE_1)
	s_mul_hi_u32 s2, s12, s2
	s_mul_i32 s3, s2, s20
	s_waitcnt lgkmcnt(0)
	s_add_i32 s11, s2, 1
	s_sub_i32 s3, s12, s3
	s_delay_alu instid0(SALU_CYCLE_1)
	s_sub_i32 s12, s3, s20
	s_cmp_ge_u32 s3, s20
	s_cselect_b32 s2, s11, s2
	s_cselect_b32 s3, s12, s3
	s_add_i32 s11, s2, 1
	s_cmp_ge_u32 s3, s20
	s_cselect_b32 s16, s11, s2
.LBB8_3:
	s_waitcnt lgkmcnt(0)
	s_add_i32 s11, s13, 1
	s_mov_b32 s2, 0
	s_mul_hi_i32 s3, s7, s11
	s_mul_i32 s11, s7, s11
	s_cmp_lg_u64 s[2:3], 0
	s_cbranch_scc0 .LBB8_22
; %bb.4:
	v_cvt_f32_ubyte0_e32 v1, 0
	v_cvt_f32_u32_e32 v2, s20
	s_sub_u32 s18, 0, s20
	s_subb_u32 s19, 0, 0
	s_delay_alu instid0(VALU_DEP_1) | instskip(NEXT) | instid1(VALU_DEP_1)
	v_fmamk_f32 v1, v1, 0x4f800000, v2
	v_rcp_f32_e32 v1, v1
	s_waitcnt_depctr 0xfff
	v_mul_f32_e32 v1, 0x5f7ffffc, v1
	s_delay_alu instid0(VALU_DEP_1) | instskip(NEXT) | instid1(VALU_DEP_1)
	v_mul_f32_e32 v2, 0x2f800000, v1
	v_trunc_f32_e32 v2, v2
	s_delay_alu instid0(VALU_DEP_1) | instskip(SKIP_1) | instid1(VALU_DEP_2)
	v_fmamk_f32 v1, v2, 0xcf800000, v1
	v_cvt_u32_f32_e32 v2, v2
	v_cvt_u32_f32_e32 v1, v1
	s_delay_alu instid0(VALU_DEP_2) | instskip(NEXT) | instid1(VALU_DEP_2)
	v_readfirstlane_b32 s12, v2
	v_readfirstlane_b32 s17, v1
	s_delay_alu instid0(VALU_DEP_2) | instskip(NEXT) | instid1(VALU_DEP_1)
	s_mul_i32 s21, s18, s12
	s_mul_hi_u32 s23, s18, s17
	s_mul_i32 s22, s19, s17
	s_add_i32 s21, s23, s21
	s_mul_i32 s24, s18, s17
	s_add_i32 s21, s21, s22
	s_mul_hi_u32 s23, s17, s24
	s_mul_hi_u32 s25, s12, s24
	s_mul_i32 s22, s12, s24
	s_mul_hi_u32 s24, s17, s21
	s_mul_i32 s17, s17, s21
	s_mul_hi_u32 s26, s12, s21
	s_add_u32 s17, s23, s17
	s_addc_u32 s23, 0, s24
	s_add_u32 s17, s17, s22
	s_mul_i32 s21, s12, s21
	s_addc_u32 s17, s23, s25
	s_addc_u32 s22, s26, 0
	s_add_u32 s17, s17, s21
	s_addc_u32 s21, 0, s22
	v_add_co_u32 v1, s17, v1, s17
	s_delay_alu instid0(VALU_DEP_1) | instskip(SKIP_1) | instid1(VALU_DEP_1)
	s_cmp_lg_u32 s17, 0
	s_addc_u32 s12, s12, s21
	v_readfirstlane_b32 s17, v1
	s_mul_i32 s21, s18, s12
	s_delay_alu instid0(VALU_DEP_1)
	s_mul_hi_u32 s22, s18, s17
	s_mul_i32 s19, s19, s17
	s_add_i32 s21, s22, s21
	s_mul_i32 s18, s18, s17
	s_add_i32 s21, s21, s19
	s_mul_hi_u32 s22, s12, s18
	s_mul_i32 s23, s12, s18
	s_mul_hi_u32 s18, s17, s18
	s_mul_hi_u32 s24, s17, s21
	s_mul_i32 s17, s17, s21
	s_mul_hi_u32 s19, s12, s21
	s_add_u32 s17, s18, s17
	s_addc_u32 s18, 0, s24
	s_add_u32 s17, s17, s23
	s_mul_i32 s21, s12, s21
	s_addc_u32 s17, s18, s22
	s_addc_u32 s18, s19, 0
	s_add_u32 s17, s17, s21
	s_addc_u32 s18, 0, s18
	v_add_co_u32 v1, s17, v1, s17
	s_delay_alu instid0(VALU_DEP_1) | instskip(SKIP_2) | instid1(SALU_CYCLE_1)
	s_cmp_lg_u32 s17, 0
	s_addc_u32 s12, s12, s18
	s_ashr_i32 s18, s3, 31
	s_add_u32 s22, s11, s18
	s_addc_u32 s23, s3, s18
	v_readfirstlane_b32 s3, v1
	s_mov_b32 s19, s18
	s_delay_alu instid0(SALU_CYCLE_1) | instskip(NEXT) | instid1(SALU_CYCLE_1)
	s_xor_b64 s[22:23], s[22:23], s[18:19]
	s_mul_i32 s21, s22, s12
	s_delay_alu instid0(VALU_DEP_1)
	s_mul_hi_u32 s24, s22, s3
	s_mul_hi_u32 s17, s22, s12
	;; [unrolled: 1-line block ×3, first 2 shown]
	s_mul_i32 s3, s23, s3
	s_add_u32 s21, s24, s21
	s_addc_u32 s17, 0, s17
	s_mul_hi_u32 s25, s23, s12
	s_add_u32 s3, s21, s3
	s_mul_i32 s12, s23, s12
	s_addc_u32 s3, s17, s26
	s_addc_u32 s17, s25, 0
	s_add_u32 s3, s3, s12
	s_addc_u32 s12, 0, s17
	s_mul_i32 s21, s20, s3
	s_add_u32 s17, s3, 1
	v_sub_co_u32 v1, s21, s22, s21
	s_mul_hi_u32 s22, s20, s3
	s_addc_u32 s24, s12, 0
	s_mul_i32 s25, s20, s12
	s_delay_alu instid0(VALU_DEP_1)
	v_sub_co_u32 v2, s26, v1, s20
	s_add_u32 s27, s3, 2
	s_addc_u32 s28, s12, 0
	s_add_i32 s22, s22, s25
	s_cmp_lg_u32 s21, 0
	v_readfirstlane_b32 s21, v2
	s_subb_u32 s22, s23, s22
	s_cmp_lg_u32 s26, 0
	s_subb_u32 s23, s22, 0
	s_delay_alu instid0(VALU_DEP_1) | instskip(SKIP_4) | instid1(SALU_CYCLE_1)
	s_cmp_ge_u32 s21, s20
	s_cselect_b32 s21, -1, 0
	s_cmp_eq_u32 s23, 0
	v_readfirstlane_b32 s23, v1
	s_cselect_b32 s21, s21, -1
	s_cmp_lg_u32 s21, 0
	s_cselect_b32 s17, s27, s17
	s_cselect_b32 s21, s28, s24
	s_cmp_ge_u32 s23, s20
	s_cselect_b32 s23, -1, 0
	s_cmp_eq_u32 s22, 0
	s_cselect_b32 s22, s23, -1
	s_delay_alu instid0(SALU_CYCLE_1) | instskip(SKIP_2) | instid1(SALU_CYCLE_1)
	s_cmp_lg_u32 s22, 0
	s_cselect_b32 s23, s21, s12
	s_cselect_b32 s22, s17, s3
	s_xor_b64 s[22:23], s[22:23], s[18:19]
	s_delay_alu instid0(SALU_CYCLE_1)
	s_sub_u32 s18, s22, s18
	s_and_not1_b32 vcc_lo, exec_lo, s2
	s_cbranch_vccnz .LBB8_6
.LBB8_5:
	v_cvt_f32_u32_e32 v1, s20
	s_sub_i32 s3, 0, s20
	s_delay_alu instid0(VALU_DEP_1) | instskip(SKIP_2) | instid1(VALU_DEP_1)
	v_rcp_iflag_f32_e32 v1, v1
	s_waitcnt_depctr 0xfff
	v_mul_f32_e32 v1, 0x4f7ffffe, v1
	v_cvt_u32_f32_e32 v1, v1
	s_delay_alu instid0(VALU_DEP_1) | instskip(NEXT) | instid1(VALU_DEP_1)
	v_readfirstlane_b32 s2, v1
	s_mul_i32 s3, s3, s2
	s_delay_alu instid0(SALU_CYCLE_1) | instskip(NEXT) | instid1(SALU_CYCLE_1)
	s_mul_hi_u32 s3, s2, s3
	s_add_i32 s2, s2, s3
	s_delay_alu instid0(SALU_CYCLE_1) | instskip(NEXT) | instid1(SALU_CYCLE_1)
	s_mul_hi_u32 s2, s11, s2
	s_mul_i32 s3, s2, s20
	s_delay_alu instid0(SALU_CYCLE_1)
	s_sub_i32 s3, s11, s3
	s_add_i32 s11, s2, 1
	s_sub_i32 s12, s3, s20
	s_cmp_ge_u32 s3, s20
	s_cselect_b32 s2, s11, s2
	s_cselect_b32 s3, s12, s3
	s_add_i32 s11, s2, 1
	s_cmp_ge_u32 s3, s20
	s_cselect_b32 s18, s11, s2
.LBB8_6:
	s_delay_alu instid0(SALU_CYCLE_1) | instskip(SKIP_3) | instid1(SALU_CYCLE_1)
	s_cmp_eq_u32 s16, s18
	s_mul_hi_u32 s2, s16, s8
	s_cselect_b32 s3, -1, 0
	s_add_i32 s2, s2, s16
	s_lshr_b32 s11, s2, s9
	s_delay_alu instid0(SALU_CYCLE_1) | instskip(NEXT) | instid1(SALU_CYCLE_1)
	s_mul_i32 s2, s11, s10
	s_cmp_eq_u32 s2, s16
	s_mul_hi_u32 s2, s18, s8
	s_cselect_b32 s12, -1, 0
	s_add_i32 s2, s2, s18
	s_delay_alu instid0(SALU_CYCLE_1) | instskip(NEXT) | instid1(SALU_CYCLE_1)
	s_lshr_b32 s2, s2, s9
	s_cmp_eq_u32 s11, s2
	s_mul_i32 s2, s2, s10
	s_cselect_b32 s17, -1, 0
	s_cmp_lg_u32 s2, s18
	s_cselect_b32 s2, -1, 0
	s_or_b32 s3, s3, s12
	s_and_b32 s2, s17, s2
	s_delay_alu instid0(SALU_CYCLE_1) | instskip(NEXT) | instid1(SALU_CYCLE_1)
	s_or_b32 s2, s3, s2
	s_and_b32 vcc_lo, exec_lo, s2
	s_cbranch_vccnz .LBB8_24
; %bb.7:
	s_load_b256 s[24:31], s[0:1], 0x20
	s_waitcnt lgkmcnt(0)
	s_mul_hi_u32 s2, s16, s24
	s_delay_alu instid0(SALU_CYCLE_1) | instskip(NEXT) | instid1(SALU_CYCLE_1)
	s_add_i32 s2, s2, s16
	s_lshr_b32 s17, s2, s25
	s_load_b32 s2, s[0:1], 0x40
	s_mul_i32 s3, s17, s26
	s_delay_alu instid0(SALU_CYCLE_1) | instskip(NEXT) | instid1(SALU_CYCLE_1)
	s_sub_i32 s3, s16, s3
	s_mul_hi_u32 s12, s3, s27
	s_delay_alu instid0(SALU_CYCLE_1) | instskip(NEXT) | instid1(SALU_CYCLE_1)
	s_add_i32 s12, s3, s12
	s_lshr_b32 s18, s12, s28
	s_delay_alu instid0(SALU_CYCLE_1) | instskip(NEXT) | instid1(SALU_CYCLE_1)
	s_mul_i32 s12, s18, s29
	s_sub_i32 s3, s3, s12
	s_delay_alu instid0(SALU_CYCLE_1) | instskip(NEXT) | instid1(SALU_CYCLE_1)
	s_mul_hi_u32 s12, s3, s30
	s_add_i32 s12, s3, s12
	s_delay_alu instid0(SALU_CYCLE_1)
	s_lshr_b32 s12, s12, s31
	s_waitcnt lgkmcnt(0)
	s_mul_i32 s2, s12, s2
	s_lshl_b32 s21, s12, 4
	s_sub_i32 s2, s3, s2
	s_mov_b32 s12, 0
	s_mul_hi_u32 s3, s2, s8
	s_delay_alu instid0(SALU_CYCLE_1) | instskip(NEXT) | instid1(SALU_CYCLE_1)
	s_add_i32 s2, s2, s3
	s_lshr_b32 s19, s2, s9
	s_delay_alu instid0(SALU_CYCLE_1) | instskip(NEXT) | instid1(SALU_CYCLE_1)
	s_add_i32 s19, s19, s14
	s_cmp_lt_i32 s19, s4
	s_cselect_b32 s2, -1, 0
	s_add_i32 s21, s21, s15
	s_delay_alu instid0(SALU_CYCLE_1) | instskip(SKIP_1) | instid1(SALU_CYCLE_1)
	s_cmp_lt_i32 s21, s6
	s_cselect_b32 s3, -1, 0
	s_and_b32 s2, s2, s3
	s_delay_alu instid0(SALU_CYCLE_1)
	s_and_not1_b32 vcc_lo, exec_lo, s2
	s_cbranch_vccnz .LBB8_24
; %bb.8:
	s_load_b128 s[0:3], s[0:1], 0x0
	s_lshl_b32 s22, s20, 6
	s_mov_b32 s23, s12
	s_mul_i32 s4, s17, s4
	s_lshl_b64 s[22:23], s[22:23], 2
	s_mul_i32 s18, s18, s6
	v_cvt_f32_ubyte0_e32 v4, 0
	v_cvt_f32_u32_e32 v5, s20
	s_waitcnt lgkmcnt(0)
	s_add_u32 s6, s2, s22
	s_addc_u32 s17, s3, s23
	s_add_i32 s4, s19, s4
	s_add_i32 s18, s21, s18
	s_mul_i32 s4, s4, s5
	s_delay_alu instid0(SALU_CYCLE_1) | instskip(NEXT) | instid1(SALU_CYCLE_1)
	s_add_i32 s18, s18, s4
	v_lshl_or_b32 v1, s18, 9, v0
	v_lshl_or_b32 v0, s15, 9, v0
	s_delay_alu instid0(VALU_DEP_2) | instskip(NEXT) | instid1(VALU_DEP_1)
	v_ashrrev_i32_e32 v2, 31, v1
	v_lshlrev_b64 v[1:2], 2, v[1:2]
	s_delay_alu instid0(VALU_DEP_1) | instskip(NEXT) | instid1(VALU_DEP_2)
	v_add_co_u32 v1, vcc_lo, s0, v1
	v_add_co_ci_u32_e32 v2, vcc_lo, s1, v2, vcc_lo
	s_add_i32 s0, s14, s13
	s_delay_alu instid0(SALU_CYCLE_1) | instskip(SKIP_2) | instid1(SALU_CYCLE_1)
	s_lshl_b32 s0, s0, 4
	global_load_b32 v3, v[1:2], off
	s_add_i32 s0, s0, s15
	s_ashr_i32 s1, s0, 31
	s_delay_alu instid0(SALU_CYCLE_1) | instskip(NEXT) | instid1(SALU_CYCLE_1)
	s_lshl_b64 s[0:1], s[0:1], 3
	s_add_u32 s0, s2, s0
	s_addc_u32 s1, s3, s1
	s_add_i32 s19, s13, -1
	s_load_b64 s[0:1], s[0:1], 0x0
	v_fmac_f32_e32 v5, 0x4f800000, v4
	s_sub_i32 s18, 0, s20
	s_waitcnt lgkmcnt(0)
	v_mov_b32_e32 v8, s0
	s_delay_alu instid0(VALU_DEP_2) | instskip(SKIP_2) | instid1(VALU_DEP_2)
	v_rcp_f32_e32 v4, v5
	v_cvt_f32_u32_e32 v5, s20
	v_mov_b32_e32 v7, s1
	v_rcp_iflag_f32_e32 v5, v5
	s_waitcnt_depctr 0xfff
	v_mul_f32_e32 v4, 0x5f7ffffc, v4
	s_delay_alu instid0(VALU_DEP_1) | instskip(SKIP_1) | instid1(VALU_DEP_2)
	v_mul_f32_e32 v6, 0x2f800000, v4
	v_mul_f32_e32 v9, 0x4f7ffffe, v5
	v_trunc_f32_e32 v6, v6
	s_delay_alu instid0(VALU_DEP_1) | instskip(SKIP_1) | instid1(VALU_DEP_4)
	v_fmac_f32_e32 v4, 0xcf800000, v6
	v_cvt_u32_f32_e32 v5, v6
	v_cvt_u32_f32_e32 v6, v9
	s_delay_alu instid0(VALU_DEP_3)
	v_cvt_u32_f32_e32 v4, v4
.LBB8_9:                                ; =>This Inner Loop Header: Depth=1
	s_mul_hi_i32 s13, s19, s7
	s_mul_i32 s4, s19, s7
	s_cmp_lg_u64 s[12:13], 0
	s_mov_b32 s5, -1
                                        ; implicit-def: $sgpr0_sgpr1
	s_cbranch_scc0 .LBB8_11
; %bb.10:                               ;   in Loop: Header=BB8_9 Depth=1
	v_readfirstlane_b32 s0, v4
	v_readfirstlane_b32 s1, v5
	s_sub_u32 s5, 0, s20
	s_subb_u32 s21, 0, 0
	s_delay_alu instid0(VALU_DEP_2) | instskip(NEXT) | instid1(VALU_DEP_1)
	s_mul_hi_u32 s22, s5, s0
	s_mul_i32 s23, s5, s1
	s_mul_i32 s24, s21, s0
	s_add_i32 s22, s22, s23
	s_mul_i32 s23, s5, s0
	s_add_i32 s22, s22, s24
	s_mul_hi_u32 s24, s0, s23
	s_mul_i32 s25, s0, s22
	s_mul_hi_u32 s0, s0, s22
	s_add_u32 s24, s24, s25
	s_mul_i32 s26, s1, s23
	s_addc_u32 s0, 0, s0
	s_mul_hi_u32 s23, s1, s23
	s_mul_hi_u32 s25, s1, s22
	s_add_u32 s24, s24, s26
	s_addc_u32 s0, s0, s23
	s_mul_i32 s22, s1, s22
	s_addc_u32 s23, s25, 0
	s_add_u32 s0, s0, s22
	s_addc_u32 s22, 0, s23
	v_add_co_u32 v9, s0, v4, s0
	s_delay_alu instid0(VALU_DEP_1) | instskip(SKIP_1) | instid1(VALU_DEP_1)
	s_cmp_lg_u32 s0, 0
	s_addc_u32 s1, s1, s22
	v_readfirstlane_b32 s0, v9
	s_mul_i32 s22, s5, s1
	s_delay_alu instid0(VALU_DEP_1)
	s_mul_hi_u32 s23, s5, s0
	s_mul_i32 s21, s21, s0
	s_add_i32 s22, s23, s22
	s_mul_i32 s5, s5, s0
	s_add_i32 s22, s22, s21
	s_mul_hi_u32 s21, s1, s5
	s_mul_i32 s24, s1, s5
	s_mul_i32 s25, s0, s22
	s_mul_hi_u32 s5, s0, s5
	s_mul_hi_u32 s0, s0, s22
	s_add_u32 s5, s5, s25
	s_addc_u32 s0, 0, s0
	s_mul_hi_u32 s23, s1, s22
	s_add_u32 s5, s5, s24
	s_addc_u32 s0, s0, s21
	s_mul_i32 s5, s1, s22
	s_addc_u32 s21, s23, 0
	s_add_u32 s0, s0, s5
	s_addc_u32 s5, 0, s21
	v_add_co_u32 v9, s0, v9, s0
	s_delay_alu instid0(VALU_DEP_1) | instskip(SKIP_2) | instid1(SALU_CYCLE_1)
	s_cmp_lg_u32 s0, 0
	s_addc_u32 s5, s1, s5
	s_ashr_i32 s0, s13, 31
	s_add_u32 s22, s4, s0
	s_addc_u32 s23, s13, s0
	v_readfirstlane_b32 s13, v9
	s_mov_b32 s1, s0
	s_delay_alu instid0(SALU_CYCLE_1) | instskip(NEXT) | instid1(SALU_CYCLE_1)
	s_xor_b64 s[22:23], s[22:23], s[0:1]
	s_mul_i32 s21, s22, s5
	s_delay_alu instid0(VALU_DEP_1)
	s_mul_hi_u32 s24, s22, s13
	s_mul_hi_u32 s25, s22, s5
	s_add_u32 s21, s24, s21
	s_mul_i32 s26, s23, s13
	s_addc_u32 s24, 0, s25
	s_mul_hi_u32 s13, s23, s13
	s_mul_hi_u32 s25, s23, s5
	s_add_u32 s21, s21, s26
	s_addc_u32 s13, s24, s13
	s_mul_i32 s5, s23, s5
	s_addc_u32 s21, s25, 0
	s_add_u32 s5, s13, s5
	s_addc_u32 s13, 0, s21
	s_mul_i32 s24, s20, s5
	s_add_u32 s21, s5, 1
	v_sub_co_u32 v9, s22, s22, s24
	s_addc_u32 s24, s13, 0
	s_mul_i32 s26, s20, s13
	s_mul_hi_u32 s28, s20, s5
	s_delay_alu instid0(VALU_DEP_1)
	v_sub_co_u32 v10, s27, v9, s20
	s_add_u32 s25, s5, 2
	s_addc_u32 s29, s13, 0
	s_add_i32 s28, s28, s26
	s_cmp_lg_u32 s22, 0
	v_readfirstlane_b32 s22, v10
	s_subb_u32 s23, s23, s28
	s_cmp_lg_u32 s27, 0
	s_subb_u32 s26, s23, 0
	s_delay_alu instid0(VALU_DEP_1) | instskip(SKIP_4) | instid1(SALU_CYCLE_1)
	s_cmp_ge_u32 s22, s20
	s_cselect_b32 s22, -1, 0
	s_cmp_eq_u32 s26, 0
	v_readfirstlane_b32 s26, v9
	s_cselect_b32 s22, s22, -1
	s_cmp_lg_u32 s22, 0
	s_cselect_b32 s21, s25, s21
	s_cselect_b32 s22, s29, s24
	s_cmp_ge_u32 s26, s20
	s_cselect_b32 s24, -1, 0
	s_cmp_eq_u32 s23, 0
	s_cselect_b32 s23, s24, -1
	s_delay_alu instid0(SALU_CYCLE_1) | instskip(SKIP_4) | instid1(SALU_CYCLE_1)
	s_cmp_lg_u32 s23, 0
	s_cselect_b32 s23, s22, s13
	s_cselect_b32 s22, s21, s5
	s_mov_b32 s5, 0
	s_xor_b64 s[22:23], s[22:23], s[0:1]
	s_sub_u32 s0, s22, s0
.LBB8_11:                               ;   in Loop: Header=BB8_9 Depth=1
	s_and_not1_b32 vcc_lo, exec_lo, s5
	s_cbranch_vccnz .LBB8_13
; %bb.12:                               ;   in Loop: Header=BB8_9 Depth=1
	v_readfirstlane_b32 s0, v6
	s_delay_alu instid0(VALU_DEP_1) | instskip(NEXT) | instid1(SALU_CYCLE_1)
	s_mul_i32 s1, s18, s0
	s_mul_hi_u32 s1, s0, s1
	s_delay_alu instid0(SALU_CYCLE_1) | instskip(NEXT) | instid1(SALU_CYCLE_1)
	s_add_i32 s0, s0, s1
	s_mul_hi_u32 s0, s4, s0
	s_delay_alu instid0(SALU_CYCLE_1) | instskip(NEXT) | instid1(SALU_CYCLE_1)
	s_mul_i32 s1, s0, s20
	s_sub_i32 s1, s4, s1
	s_add_i32 s4, s0, 1
	s_sub_i32 s5, s1, s20
	s_cmp_ge_u32 s1, s20
	s_cselect_b32 s0, s4, s0
	s_cselect_b32 s1, s5, s1
	s_add_i32 s4, s0, 1
	s_cmp_ge_u32 s1, s20
	s_cselect_b32 s0, s4, s0
.LBB8_13:                               ;   in Loop: Header=BB8_9 Depth=1
	s_delay_alu instid0(SALU_CYCLE_1)
	s_cmp_lg_u32 s16, s0
	s_cbranch_scc0 .LBB8_17
; %bb.14:                               ;   in Loop: Header=BB8_9 Depth=1
	s_add_i32 s22, s19, s14
	s_mov_b32 s5, s12
	s_add_i32 s1, s22, s20
	s_mov_b32 s21, s16
	s_lshl_b32 s1, s1, 4
	s_delay_alu instid0(SALU_CYCLE_1) | instskip(SKIP_2) | instid1(SALU_CYCLE_1)
	s_add_i32 s4, s1, s15
	s_mul_hi_u32 s1, s0, s8
	s_lshl_b64 s[4:5], s[4:5], 3
	s_add_u32 s4, s2, s4
	s_addc_u32 s5, s3, s5
	s_add_i32 s1, s1, s0
	s_delay_alu instid0(SALU_CYCLE_1) | instskip(NEXT) | instid1(SALU_CYCLE_1)
	s_lshr_b32 s1, s1, s9
	s_mul_i32 s13, s1, s10
	s_delay_alu instid0(SALU_CYCLE_1) | instskip(SKIP_3) | instid1(SALU_CYCLE_1)
	s_cmp_eq_u32 s13, s0
	s_cselect_b32 s13, -1, 0
	s_cmp_lt_u32 s1, s11
	s_cselect_b32 s1, -1, 0
	s_or_b32 s1, s1, s13
	s_mov_b32 s13, -1
	s_and_b32 vcc_lo, exec_lo, s1
	s_mov_b32 s1, s19
	s_cbranch_vccnz .LBB8_16
; %bb.15:                               ;   in Loop: Header=BB8_9 Depth=1
	s_add_i32 s1, s19, -1
	s_mov_b32 s13, 0
	s_mov_b32 s21, s0
.LBB8_16:                               ;   in Loop: Header=BB8_9 Depth=1
	v_lshl_add_u32 v9, s22, 13, v0
	s_load_b64 s[4:5], s[4:5], 0x0
	s_delay_alu instid0(VALU_DEP_1) | instskip(NEXT) | instid1(VALU_DEP_1)
	v_ashrrev_i32_e32 v10, 31, v9
	v_lshlrev_b64 v[9:10], 2, v[9:10]
	s_delay_alu instid0(VALU_DEP_1) | instskip(NEXT) | instid1(VALU_DEP_2)
	v_add_co_u32 v9, vcc_lo, s6, v9
	v_add_co_ci_u32_e32 v10, vcc_lo, s17, v10, vcc_lo
	s_waitcnt lgkmcnt(0)
	v_max_f32_e64 v11, s4, s4
	global_load_b32 v10, v[9:10], off
	v_max_f32_e32 v9, v8, v8
	s_delay_alu instid0(VALU_DEP_1) | instskip(NEXT) | instid1(VALU_DEP_1)
	v_max_f32_e32 v9, v9, v11
	v_sub_f32_e32 v12, v8, v9
	s_delay_alu instid0(VALU_DEP_1) | instskip(NEXT) | instid1(VALU_DEP_1)
	v_dual_mul_f32 v14, 0x3fb8aa3b, v12 :: v_dual_sub_f32 v11, s4, v9
	v_rndne_f32_e32 v18, v14
	s_delay_alu instid0(VALU_DEP_2) | instskip(SKIP_2) | instid1(VALU_DEP_4)
	v_mul_f32_e32 v13, 0x3fb8aa3b, v11
	v_fma_f32 v17, 0x3fb8aa3b, v12, -v14
	v_cmp_ngt_f32_e32 vcc_lo, 0xc2ce8ed0, v11
	v_sub_f32_e32 v14, v14, v18
	s_delay_alu instid0(VALU_DEP_4) | instskip(SKIP_2) | instid1(VALU_DEP_3)
	v_fma_f32 v15, 0x3fb8aa3b, v11, -v13
	v_rndne_f32_e32 v16, v13
	v_fmac_f32_e32 v17, 0x32a5705f, v12
	v_fmac_f32_e32 v15, 0x32a5705f, v11
	s_delay_alu instid0(VALU_DEP_2) | instskip(NEXT) | instid1(VALU_DEP_1)
	v_dual_sub_f32 v13, v13, v16 :: v_dual_add_f32 v14, v14, v17
	v_add_f32_e32 v13, v13, v15
	s_delay_alu instid0(VALU_DEP_2) | instskip(SKIP_2) | instid1(VALU_DEP_3)
	v_exp_f32_e32 v14, v14
	v_cvt_i32_f32_e32 v15, v16
	v_cvt_i32_f32_e32 v16, v18
	v_exp_f32_e32 v13, v13
	s_waitcnt_depctr 0xfff
	v_ldexp_f32 v14, v14, v16
	v_ldexp_f32 v13, v13, v15
	s_delay_alu instid0(VALU_DEP_1) | instskip(SKIP_1) | instid1(VALU_DEP_4)
	v_cndmask_b32_e32 v13, 0, v13, vcc_lo
	v_cmp_ngt_f32_e32 vcc_lo, 0xc2ce8ed0, v12
	v_cndmask_b32_e32 v14, 0, v14, vcc_lo
	v_cmp_nlt_f32_e32 vcc_lo, 0x42b17218, v11
	s_delay_alu instid0(VALU_DEP_4) | instskip(SKIP_1) | instid1(VALU_DEP_4)
	v_cndmask_b32_e32 v13, 0x7f800000, v13, vcc_lo
	v_cmp_nlt_f32_e32 vcc_lo, 0x42b17218, v12
	v_cndmask_b32_e32 v14, 0x7f800000, v14, vcc_lo
	v_cmp_le_f32_e32 vcc_lo, 0xc1a00000, v11
	s_delay_alu instid0(VALU_DEP_4) | instskip(SKIP_1) | instid1(VALU_DEP_4)
	v_cndmask_b32_e32 v11, 0, v13, vcc_lo
	v_cmp_le_f32_e32 vcc_lo, 0xc1a00000, v12
	v_cndmask_b32_e32 v12, 0, v14, vcc_lo
	s_waitcnt vmcnt(0)
	s_delay_alu instid0(VALU_DEP_3) | instskip(NEXT) | instid1(VALU_DEP_1)
	v_mul_f32_e32 v10, v10, v11
	v_dual_mul_f32 v11, s5, v11 :: v_dual_fmac_f32 v10, v3, v12
	s_delay_alu instid0(VALU_DEP_1)
	v_fmac_f32_e32 v11, v7, v12
	s_cbranch_execz .LBB8_18
	s_branch .LBB8_19
.LBB8_17:                               ;   in Loop: Header=BB8_9 Depth=1
                                        ; implicit-def: $sgpr13
                                        ; implicit-def: $vgpr10
                                        ; implicit-def: $vgpr9
                                        ; implicit-def: $vgpr11
                                        ; implicit-def: $sgpr1
                                        ; implicit-def: $sgpr21
.LBB8_18:                               ;   in Loop: Header=BB8_9 Depth=1
	v_mov_b32_e32 v11, v7
	s_waitcnt vmcnt(0)
	v_dual_mov_b32 v9, v8 :: v_dual_mov_b32 v10, v3
	s_add_i32 s1, s19, -1
	s_mov_b32 s13, 0
	s_mov_b32 s21, s16
.LBB8_19:                               ;   in Loop: Header=BB8_9 Depth=1
	s_and_not1_b32 vcc_lo, exec_lo, s13
	s_cbranch_vccz .LBB8_23
; %bb.20:                               ;   in Loop: Header=BB8_9 Depth=1
	v_dual_mov_b32 v7, v11 :: v_dual_mov_b32 v8, v9
	s_waitcnt vmcnt(0)
	v_mov_b32_e32 v3, v10
	s_mov_b32 s16, s21
	s_mov_b32 s19, s1
	s_branch .LBB8_9
.LBB8_21:
                                        ; implicit-def: $sgpr16_sgpr17
	s_load_b128 s[8:11], s[0:1], 0x44
	s_branch .LBB8_2
.LBB8_22:
                                        ; implicit-def: $sgpr18_sgpr19
	s_branch .LBB8_5
.LBB8_23:
	v_div_scale_f32 v0, null, v11, v11, v10
	s_waitcnt vmcnt(0)
	s_delay_alu instid0(VALU_DEP_1) | instskip(SKIP_2) | instid1(VALU_DEP_1)
	v_rcp_f32_e32 v3, v0
	s_waitcnt_depctr 0xfff
	v_fma_f32 v4, -v0, v3, 1.0
	v_fmac_f32_e32 v3, v4, v3
	v_div_scale_f32 v4, vcc_lo, v10, v11, v10
	s_delay_alu instid0(VALU_DEP_1) | instskip(NEXT) | instid1(VALU_DEP_1)
	v_mul_f32_e32 v5, v4, v3
	v_fma_f32 v6, -v0, v5, v4
	s_delay_alu instid0(VALU_DEP_1) | instskip(NEXT) | instid1(VALU_DEP_1)
	v_fmac_f32_e32 v5, v6, v3
	v_fma_f32 v0, -v0, v5, v4
	s_delay_alu instid0(VALU_DEP_1) | instskip(NEXT) | instid1(VALU_DEP_1)
	v_div_fmas_f32 v0, v0, v3, v5
	v_div_fixup_f32 v0, v0, v11, v10
	global_store_b32 v[1:2], v0, off
.LBB8_24:
	s_nop 0
	s_sendmsg sendmsg(MSG_DEALLOC_VGPRS)
	s_endpgm
	.section	.rodata,"a",@progbits
	.p2align	6, 0x0
	.amdhsa_kernel _ZL33flash_attn_stream_k_fixup_generalILi512ELi1ELi16EEvPfPK15HIP_vector_typeIfLj2EEiiiiS1_IjLj3EES5_S5_S5_
		.amdhsa_group_segment_fixed_size 0
		.amdhsa_private_segment_fixed_size 0
		.amdhsa_kernarg_size 336
		.amdhsa_user_sgpr_count 13
		.amdhsa_user_sgpr_dispatch_ptr 0
		.amdhsa_user_sgpr_queue_ptr 0
		.amdhsa_user_sgpr_kernarg_segment_ptr 1
		.amdhsa_user_sgpr_dispatch_id 0
		.amdhsa_user_sgpr_private_segment_size 0
		.amdhsa_wavefront_size32 1
		.amdhsa_uses_dynamic_stack 0
		.amdhsa_enable_private_segment 0
		.amdhsa_system_sgpr_workgroup_id_x 1
		.amdhsa_system_sgpr_workgroup_id_y 1
		.amdhsa_system_sgpr_workgroup_id_z 1
		.amdhsa_system_sgpr_workgroup_info 0
		.amdhsa_system_vgpr_workitem_id 0
		.amdhsa_next_free_vgpr 19
		.amdhsa_next_free_sgpr 32
		.amdhsa_reserve_vcc 1
		.amdhsa_float_round_mode_32 0
		.amdhsa_float_round_mode_16_64 0
		.amdhsa_float_denorm_mode_32 3
		.amdhsa_float_denorm_mode_16_64 3
		.amdhsa_dx10_clamp 1
		.amdhsa_ieee_mode 1
		.amdhsa_fp16_overflow 0
		.amdhsa_workgroup_processor_mode 1
		.amdhsa_memory_ordered 1
		.amdhsa_forward_progress 0
		.amdhsa_shared_vgpr_count 0
		.amdhsa_exception_fp_ieee_invalid_op 0
		.amdhsa_exception_fp_denorm_src 0
		.amdhsa_exception_fp_ieee_div_zero 0
		.amdhsa_exception_fp_ieee_overflow 0
		.amdhsa_exception_fp_ieee_underflow 0
		.amdhsa_exception_fp_ieee_inexact 0
		.amdhsa_exception_int_div_zero 0
	.end_amdhsa_kernel
	.section	.text._ZL33flash_attn_stream_k_fixup_generalILi512ELi1ELi16EEvPfPK15HIP_vector_typeIfLj2EEiiiiS1_IjLj3EES5_S5_S5_,"axG",@progbits,_ZL33flash_attn_stream_k_fixup_generalILi512ELi1ELi16EEvPfPK15HIP_vector_typeIfLj2EEiiiiS1_IjLj3EES5_S5_S5_,comdat
.Lfunc_end8:
	.size	_ZL33flash_attn_stream_k_fixup_generalILi512ELi1ELi16EEvPfPK15HIP_vector_typeIfLj2EEiiiiS1_IjLj3EES5_S5_S5_, .Lfunc_end8-_ZL33flash_attn_stream_k_fixup_generalILi512ELi1ELi16EEvPfPK15HIP_vector_typeIfLj2EEiiiiS1_IjLj3EES5_S5_S5_
                                        ; -- End function
	.section	.AMDGPU.csdata,"",@progbits
; Kernel info:
; codeLenInByte = 3200
; NumSgprs: 34
; NumVgprs: 19
; ScratchSize: 0
; MemoryBound: 0
; FloatMode: 240
; IeeeMode: 1
; LDSByteSize: 0 bytes/workgroup (compile time only)
; SGPRBlocks: 4
; VGPRBlocks: 2
; NumSGPRsForWavesPerEU: 34
; NumVGPRsForWavesPerEU: 19
; Occupancy: 16
; WaveLimiterHint : 0
; COMPUTE_PGM_RSRC2:SCRATCH_EN: 0
; COMPUTE_PGM_RSRC2:USER_SGPR: 13
; COMPUTE_PGM_RSRC2:TRAP_HANDLER: 0
; COMPUTE_PGM_RSRC2:TGID_X_EN: 1
; COMPUTE_PGM_RSRC2:TGID_Y_EN: 1
; COMPUTE_PGM_RSRC2:TGID_Z_EN: 1
; COMPUTE_PGM_RSRC2:TIDIG_COMP_CNT: 0
	.section	.text._ZL15flash_attn_tileILi576ELi512ELi8ELi4ELb0EEvPKcS1_S1_S1_S1_PKiPfP15HIP_vector_typeIfLj2EEffffjfiS5_IjLj3EEiiiiiiiiiiiliiliiiiil,"axG",@progbits,_ZL15flash_attn_tileILi576ELi512ELi8ELi4ELb0EEvPKcS1_S1_S1_S1_PKiPfP15HIP_vector_typeIfLj2EEffffjfiS5_IjLj3EEiiiiiiiiiiiliiliiiiil,comdat
	.globl	_ZL15flash_attn_tileILi576ELi512ELi8ELi4ELb0EEvPKcS1_S1_S1_S1_PKiPfP15HIP_vector_typeIfLj2EEffffjfiS5_IjLj3EEiiiiiiiiiiiliiliiiiil ; -- Begin function _ZL15flash_attn_tileILi576ELi512ELi8ELi4ELb0EEvPKcS1_S1_S1_S1_PKiPfP15HIP_vector_typeIfLj2EEffffjfiS5_IjLj3EEiiiiiiiiiiiliiliiiiil
	.p2align	8
	.type	_ZL15flash_attn_tileILi576ELi512ELi8ELi4ELb0EEvPKcS1_S1_S1_S1_PKiPfP15HIP_vector_typeIfLj2EEffffjfiS5_IjLj3EEiiiiiiiiiiiliiliiiiil,@function
_ZL15flash_attn_tileILi576ELi512ELi8ELi4ELb0EEvPKcS1_S1_S1_S1_PKiPfP15HIP_vector_typeIfLj2EEffffjfiS5_IjLj3EEiiiiiiiiiiiliiliiiiil: ; @_ZL15flash_attn_tileILi576ELi512ELi8ELi4ELb0EEvPKcS1_S1_S1_S1_PKiPfP15HIP_vector_typeIfLj2EEffffjfiS5_IjLj3EEiiiiiiiiiiiliiliiiiil
; %bb.0:
	s_clause 0x1
	s_load_b128 s[4:7], s[0:1], 0x5c
	s_load_b64 s[34:35], s[0:1], 0x80
	s_mov_b64 s[36:37], 0
	s_waitcnt lgkmcnt(0)
	s_ashr_i32 s2, s7, 31
	s_delay_alu instid0(SALU_CYCLE_1) | instskip(NEXT) | instid1(SALU_CYCLE_1)
	s_lshr_b32 s2, s2, 30
	s_add_i32 s2, s7, s2
	s_delay_alu instid0(SALU_CYCLE_1) | instskip(NEXT) | instid1(SALU_CYCLE_1)
	s_ashr_i32 s2, s2, 2
	v_cvt_f32_u32_e32 v1, s2
	s_sub_i32 s8, 0, s2
	s_delay_alu instid0(VALU_DEP_1) | instskip(SKIP_2) | instid1(VALU_DEP_1)
	v_rcp_iflag_f32_e32 v1, v1
	s_waitcnt_depctr 0xfff
	v_mul_f32_e32 v1, 0x4f7ffffe, v1
	v_cvt_u32_f32_e32 v1, v1
	s_delay_alu instid0(VALU_DEP_1) | instskip(NEXT) | instid1(VALU_DEP_1)
	v_readfirstlane_b32 s3, v1
	s_mul_i32 s8, s8, s3
	s_delay_alu instid0(SALU_CYCLE_1) | instskip(NEXT) | instid1(SALU_CYCLE_1)
	s_mul_hi_u32 s8, s3, s8
	s_add_i32 s3, s3, s8
	s_delay_alu instid0(SALU_CYCLE_1) | instskip(NEXT) | instid1(SALU_CYCLE_1)
	s_mul_hi_u32 s3, s15, s3
	s_mul_i32 s8, s3, s2
	s_add_i32 s9, s3, 1
	s_sub_i32 s8, s15, s8
	s_delay_alu instid0(SALU_CYCLE_1)
	s_sub_i32 s10, s8, s2
	s_cmp_ge_u32 s8, s2
	s_cselect_b32 s3, s9, s3
	s_cselect_b32 s8, s10, s8
	s_add_i32 s9, s3, 1
	s_cmp_ge_u32 s8, s2
	s_cselect_b32 s33, s9, s3
	s_abs_i32 s2, s35
	s_abs_i32 s11, s7
	v_cvt_f32_u32_e32 v1, s2
	s_sub_i32 s8, 0, s2
	s_lshl_b32 s9, s15, 2
	s_mul_i32 s10, s33, s7
	s_delay_alu instid0(VALU_DEP_1) | instskip(SKIP_3) | instid1(VALU_DEP_1)
	v_rcp_iflag_f32_e32 v1, v1
	s_sub_i32 s12, s9, s10
	s_waitcnt_depctr 0xfff
	v_mul_f32_e32 v1, 0x4f7ffffe, v1
	v_cvt_u32_f32_e32 v1, v1
	s_delay_alu instid0(VALU_DEP_1) | instskip(NEXT) | instid1(VALU_DEP_1)
	v_readfirstlane_b32 s3, v1
	s_mul_i32 s8, s8, s3
	s_delay_alu instid0(SALU_CYCLE_1) | instskip(NEXT) | instid1(SALU_CYCLE_1)
	s_mul_hi_u32 s8, s3, s8
	s_add_i32 s3, s3, s8
	s_xor_b32 s8, s7, s35
	s_mul_hi_u32 s3, s11, s3
	s_ashr_i32 s8, s8, 31
	s_mul_i32 s9, s3, s2
	s_add_i32 s10, s3, 1
	s_sub_i32 s9, s11, s9
	s_delay_alu instid0(SALU_CYCLE_1)
	s_sub_i32 s11, s9, s2
	s_cmp_ge_u32 s9, s2
	s_cselect_b32 s3, s10, s3
	s_cselect_b32 s9, s11, s9
	s_add_i32 s10, s3, 1
	s_cmp_ge_u32 s9, s2
	s_cselect_b32 s2, s10, s3
	s_delay_alu instid0(SALU_CYCLE_1) | instskip(NEXT) | instid1(SALU_CYCLE_1)
	s_xor_b32 s2, s2, s8
	s_sub_i32 s15, s2, s8
	s_clause 0x1
	s_load_b512 s[16:31], s[0:1], 0x0
	s_load_b64 s[2:3], s[0:1], 0xb8
	s_abs_i32 s35, s15
	s_delay_alu instid0(SALU_CYCLE_1) | instskip(NEXT) | instid1(VALU_DEP_1)
	v_cvt_f32_u32_e32 v1, s35
	v_rcp_iflag_f32_e32 v1, v1
	s_waitcnt_depctr 0xfff
	v_mul_f32_e32 v1, 0x4f7ffffe, v1
	s_waitcnt lgkmcnt(0)
	s_cmp_eq_u64 s[22:23], 0
	s_delay_alu instid0(VALU_DEP_1) | instskip(NEXT) | instid1(VALU_DEP_1)
	v_cvt_u32_f32_e32 v1, v1
	v_readfirstlane_b32 s38, v1
	s_cbranch_scc1 .LBB9_2
; %bb.1:
	s_abs_i32 s2, s2
	s_abs_i32 s10, s33
	v_cvt_f32_u32_e32 v1, s2
	s_sub_i32 s9, 0, s2
	s_delay_alu instid0(VALU_DEP_1) | instskip(SKIP_2) | instid1(VALU_DEP_1)
	v_rcp_iflag_f32_e32 v1, v1
	s_waitcnt_depctr 0xfff
	v_mul_f32_e32 v1, 0x4f7ffffe, v1
	v_cvt_u32_f32_e32 v1, v1
	s_delay_alu instid0(VALU_DEP_1) | instskip(NEXT) | instid1(VALU_DEP_1)
	v_readfirstlane_b32 s8, v1
	s_mul_i32 s9, s9, s8
	s_delay_alu instid0(SALU_CYCLE_1) | instskip(NEXT) | instid1(SALU_CYCLE_1)
	s_mul_hi_u32 s9, s8, s9
	s_add_i32 s11, s8, s9
	s_load_b64 s[8:9], s[0:1], 0xc8
	s_mul_hi_u32 s11, s10, s11
	s_delay_alu instid0(SALU_CYCLE_1) | instskip(NEXT) | instid1(SALU_CYCLE_1)
	s_mul_i32 s11, s11, s2
	s_sub_i32 s10, s10, s11
	s_ashr_i32 s11, s33, 31
	s_sub_i32 s36, s10, s2
	s_cmp_ge_u32 s10, s2
	s_cselect_b32 s10, s36, s10
	s_delay_alu instid0(SALU_CYCLE_1) | instskip(SKIP_2) | instid1(SALU_CYCLE_1)
	s_sub_i32 s36, s10, s2
	s_cmp_ge_u32 s10, s2
	s_cselect_b32 s2, s36, s10
	s_xor_b32 s2, s2, s11
	s_delay_alu instid0(SALU_CYCLE_1)
	s_sub_i32 s2, s2, s11
	s_waitcnt lgkmcnt(0)
	s_mul_i32 s9, s2, s9
	s_mul_hi_u32 s10, s2, s8
	s_ashr_i32 s11, s2, 31
	s_add_i32 s9, s10, s9
	s_mul_i32 s11, s11, s8
	s_mul_i32 s2, s2, s8
	s_add_i32 s9, s9, s11
	s_add_u32 s36, s22, s2
	s_addc_u32 s37, s23, s9
.LBB9_2:
	v_bfe_u32 v4, v0, 10, 10
	s_load_b128 s[8:11], s[0:1], 0x70
	v_and_b32_e32 v17, 0x3ff, v0
	s_delay_alu instid0(VALU_DEP_2) | instskip(NEXT) | instid1(VALU_DEP_1)
	v_lshl_add_u32 v16, s13, 3, v4
	v_mul_hi_u32 v1, s4, v16
	s_delay_alu instid0(VALU_DEP_1) | instskip(SKIP_3) | instid1(VALU_DEP_1)
	v_add_nc_u32_e32 v1, v16, v1
	s_waitcnt lgkmcnt(0)
	s_mul_i32 s2, s33, s10
	s_mul_i32 s4, s12, s9
	v_lshrrev_b32_e32 v1, s5, v1
	s_ashr_i32 s5, s2, 31
	s_add_u32 s2, s16, s2
	s_addc_u32 s5, s17, s5
	s_ashr_i32 s10, s4, 31
	v_mul_lo_u32 v1, v1, s6
	s_add_u32 s2, s2, s4
	s_addc_u32 s4, s5, s10
	s_ashr_i32 s5, s8, 31
	s_delay_alu instid0(SALU_CYCLE_1) | instskip(SKIP_2) | instid1(VALU_DEP_2)
	v_alignbit_b32 v3, s5, s8, 2
	s_lshr_b32 s5, s5, 2
	s_load_b32 s8, s[0:1], 0x40
	v_sub_nc_u32_e32 v5, v16, v1
	s_delay_alu instid0(VALU_DEP_1) | instskip(NEXT) | instid1(VALU_DEP_1)
	v_mad_u64_u32 v[1:2], null, v3, v5, 0
	v_mad_u64_u32 v[6:7], null, s5, v5, v[2:3]
	v_mul_u32_u24_e32 v3, 0x480, v4
	s_delay_alu instid0(VALU_DEP_2) | instskip(NEXT) | instid1(VALU_DEP_1)
	v_mov_b32_e32 v2, v6
	v_lshlrev_b64 v[0:1], 2, v[1:2]
	v_lshlrev_b32_e32 v2, 4, v17
	s_delay_alu instid0(VALU_DEP_2) | instskip(NEXT) | instid1(VALU_DEP_3)
	v_add_co_u32 v0, vcc_lo, s2, v0
	v_add_co_ci_u32_e32 v1, vcc_lo, s4, v1, vcc_lo
	s_delay_alu instid0(VALU_DEP_2) | instskip(NEXT) | instid1(VALU_DEP_2)
	v_add_co_u32 v0, vcc_lo, v0, v2
	v_add_co_ci_u32_e32 v1, vcc_lo, 0, v1, vcc_lo
	v_lshlrev_b32_e32 v2, 1, v17
	v_cmp_gt_u32_e32 vcc_lo, 16, v17
	s_clause 0x3
	global_load_b128 v[7:10], v[0:1], off
	global_load_b128 v[11:14], v[0:1], off offset:512
	global_load_b128 v[18:21], v[0:1], off offset:1024
	;; [unrolled: 1-line block ×3, first 2 shown]
	v_add_lshl_u32 v6, v3, v2, 2
	s_waitcnt vmcnt(3) lgkmcnt(0)
	v_fma_mixlo_f16 v2, v7, s8, 0
	v_fma_mixlo_f16 v3, v9, s8, 0
	s_waitcnt vmcnt(2)
	v_fma_mixlo_f16 v26, v11, s8, 0
	v_fma_mixlo_f16 v27, v13, s8, 0
	s_waitcnt vmcnt(1)
	;; [unrolled: 3-line block ×3, first 2 shown]
	v_fma_mixlo_f16 v30, v22, s8, 0
	v_fma_mixlo_f16 v31, v24, s8, 0
	v_fma_mixhi_f16 v3, v10, s8, 0
	v_fma_mixhi_f16 v2, v8, s8, 0
	v_fma_mixhi_f16 v27, v14, s8, 0
	v_fma_mixhi_f16 v26, v12, s8, 0
	v_fma_mixhi_f16 v29, v21, s8, 0
	v_fma_mixhi_f16 v28, v19, s8, 0
	v_fma_mixhi_f16 v31, v25, s8, 0
	v_fma_mixhi_f16 v30, v23, s8, 0
	ds_store_2addr_b64 v6, v[2:3], v[26:27] offset1:32
	ds_store_2addr_b64 v6, v[28:29], v[30:31] offset0:64 offset1:96
	s_and_saveexec_b32 s2, vcc_lo
	s_cbranch_execz .LBB9_4
; %bb.3:
	global_load_b128 v[7:10], v[0:1], off offset:2048
	s_waitcnt vmcnt(0)
	v_fma_mixlo_f16 v3, v9, s8, 0
	v_fma_mixlo_f16 v2, v7, s8, 0
	s_delay_alu instid0(VALU_DEP_2) | instskip(NEXT) | instid1(VALU_DEP_2)
	v_fma_mixhi_f16 v3, v10, s8, 0
	v_fma_mixhi_f16 v2, v8, s8, 0
	ds_store_b64 v6, v[2:3] offset:1024
.LBB9_4:
	s_or_b32 exec_lo, exec_lo, s2
	s_and_b32 s2, s9, -4
	s_ashr_i32 s5, s9, 31
	v_add_co_u32 v2, s2, v0, s2
	s_delay_alu instid0(VALU_DEP_1)
	v_add_co_ci_u32_e64 v3, s2, s5, v1, s2
	s_mov_b32 s4, s9
	s_clause 0x3
	global_load_b128 v[7:10], v[2:3], off
	global_load_b128 v[11:14], v[2:3], off offset:512
	global_load_b128 v[18:21], v[2:3], off offset:1024
	;; [unrolled: 1-line block ×3, first 2 shown]
	s_lshr_b64 s[4:5], s[4:5], 2
	s_waitcnt vmcnt(3)
	v_fma_mixlo_f16 v26, v7, s8, 0
	v_fma_mixlo_f16 v27, v9, s8, 0
	s_waitcnt vmcnt(2)
	v_fma_mixlo_f16 v28, v11, s8, 0
	v_fma_mixlo_f16 v29, v13, s8, 0
	s_waitcnt vmcnt(1)
	v_fma_mixlo_f16 v30, v18, s8, 0
	v_fma_mixlo_f16 v31, v20, s8, 0
	s_waitcnt vmcnt(0)
	v_fma_mixlo_f16 v32, v22, s8, 0
	v_fma_mixlo_f16 v33, v24, s8, 0
	v_fma_mixhi_f16 v27, v10, s8, 0
	v_fma_mixhi_f16 v26, v8, s8, 0
	;; [unrolled: 1-line block ×8, first 2 shown]
	ds_store_2addr_b64 v6, v[26:27], v[28:29] offset0:144 offset1:176
	ds_store_2addr_b64 v6, v[30:31], v[32:33] offset0:208 offset1:240
	s_and_saveexec_b32 s2, vcc_lo
	s_cbranch_execz .LBB9_6
; %bb.5:
	global_load_b128 v[7:10], v[2:3], off offset:2048
	s_waitcnt vmcnt(0)
	v_fma_mixlo_f16 v3, v9, s8, 0
	v_fma_mixlo_f16 v2, v7, s8, 0
	s_delay_alu instid0(VALU_DEP_2) | instskip(NEXT) | instid1(VALU_DEP_2)
	v_fma_mixhi_f16 v3, v10, s8, 0
	v_fma_mixhi_f16 v2, v8, s8, 0
	ds_store_b64 v6, v[2:3] offset:2176
.LBB9_6:
	s_or_b32 exec_lo, exec_lo, s2
	s_lshl_b64 s[10:11], s[4:5], 3
	v_add_nc_u32_e32 v7, 0x800, v6
	v_add_co_u32 v2, s2, v0, s10
	s_delay_alu instid0(VALU_DEP_1)
	v_add_co_ci_u32_e64 v3, s2, s11, v1, s2
	s_clause 0x3
	global_load_b128 v[8:11], v[2:3], off
	global_load_b128 v[12:15], v[2:3], off offset:512
	global_load_b128 v[18:21], v[2:3], off offset:1024
	;; [unrolled: 1-line block ×3, first 2 shown]
	s_waitcnt vmcnt(3)
	v_fma_mixlo_f16 v26, v8, s8, 0
	v_fma_mixlo_f16 v27, v10, s8, 0
	s_waitcnt vmcnt(2)
	v_fma_mixlo_f16 v28, v12, s8, 0
	v_fma_mixlo_f16 v29, v14, s8, 0
	;; [unrolled: 3-line block ×4, first 2 shown]
	v_fma_mixhi_f16 v27, v11, s8, 0
	v_fma_mixhi_f16 v26, v9, s8, 0
	;; [unrolled: 1-line block ×8, first 2 shown]
	ds_store_2addr_b64 v7, v[26:27], v[28:29] offset0:32 offset1:64
	ds_store_2addr_b64 v7, v[30:31], v[32:33] offset0:96 offset1:128
	s_and_saveexec_b32 s2, vcc_lo
	s_cbranch_execz .LBB9_8
; %bb.7:
	global_load_b128 v[8:11], v[2:3], off offset:2048
	s_waitcnt vmcnt(0)
	v_fma_mixlo_f16 v3, v10, s8, 0
	v_fma_mixlo_f16 v2, v8, s8, 0
	s_delay_alu instid0(VALU_DEP_2) | instskip(NEXT) | instid1(VALU_DEP_2)
	v_fma_mixhi_f16 v3, v11, s8, 0
	v_fma_mixhi_f16 v2, v9, s8, 0
	ds_store_b64 v6, v[2:3] offset:3328
.LBB9_8:
	s_or_b32 exec_lo, exec_lo, s2
	v_mad_u64_u32 v[2:3], null, s4, 12, v[0:1]
	v_add_nc_u32_e32 v32, 0xc00, v6
	s_delay_alu instid0(VALU_DEP_2) | instskip(NEXT) | instid1(VALU_DEP_1)
	v_mov_b32_e32 v0, v3
	v_mad_u64_u32 v[8:9], null, s5, 12, v[0:1]
	s_delay_alu instid0(VALU_DEP_1)
	v_mov_b32_e32 v3, v8
	s_clause 0x3
	global_load_b128 v[8:11], v[2:3], off
	global_load_b128 v[12:15], v[2:3], off offset:512
	global_load_b128 v[18:21], v[2:3], off offset:1024
	global_load_b128 v[22:25], v[2:3], off offset:1536
	s_waitcnt vmcnt(3)
	v_fma_mixlo_f16 v0, v8, s8, 0
	v_fma_mixlo_f16 v1, v10, s8, 0
	s_waitcnt vmcnt(2)
	v_fma_mixlo_f16 v26, v12, s8, 0
	v_fma_mixlo_f16 v27, v14, s8, 0
	;; [unrolled: 3-line block ×4, first 2 shown]
	v_fma_mixhi_f16 v1, v11, s8, 0
	v_fma_mixhi_f16 v0, v9, s8, 0
	;; [unrolled: 1-line block ×8, first 2 shown]
	ds_store_2addr_b64 v7, v[0:1], v[26:27] offset0:176 offset1:208
	ds_store_2addr_b64 v32, v[28:29], v[30:31] offset0:112 offset1:144
	s_and_saveexec_b32 s2, vcc_lo
	s_cbranch_execz .LBB9_10
; %bb.9:
	global_load_b128 v[0:3], v[2:3], off offset:2048
	s_waitcnt vmcnt(0)
	v_fma_mixlo_f16 v8, v2, s8, 0
	v_fma_mixlo_f16 v7, v0, s8, 0
	s_delay_alu instid0(VALU_DEP_2) | instskip(NEXT) | instid1(VALU_DEP_2)
	v_fma_mixhi_f16 v8, v3, s8, 0
	v_fma_mixhi_f16 v7, v1, s8, 0
	ds_store_b64 v6, v[7:8] offset:4480
.LBB9_10:
	s_or_b32 exec_lo, exec_lo, s2
	s_cmp_eq_u64 s[26:27], 0
	s_waitcnt lgkmcnt(0)
	s_barrier
	buffer_gl0_inv
	s_cbranch_scc1 .LBB9_12
; %bb.11:
	s_load_b32 s2, s[0:1], 0xd0
	s_mov_b32 s5, 0
	s_waitcnt lgkmcnt(0)
	s_mul_i32 s2, s2, s33
	s_delay_alu instid0(SALU_CYCLE_1) | instskip(NEXT) | instid1(SALU_CYCLE_1)
	s_add_i32 s4, s2, s13
	s_lshl_b64 s[4:5], s[4:5], 2
	s_delay_alu instid0(SALU_CYCLE_1)
	s_add_u32 s4, s26, s4
	s_addc_u32 s5, s27, s5
	s_load_b32 s34, s[4:5], 0x0
.LBB9_12:
	v_lshlrev_b32_e32 v31, 2, v17
	v_mbcnt_lo_u32_b32 v32, -1, 0
	s_lshl_b32 s13, s14, 7
	s_waitcnt lgkmcnt(0)
	s_cmp_lt_i32 s13, s34
	s_cbranch_scc1 .LBB9_14
; %bb.13:
	v_mbcnt_lo_u32_b32 v7, -1, 0
	v_mov_b32_e32 v6, 32
	s_mov_b32 s2, 0
	s_mov_b32 s4, 0xfeffffff
	s_delay_alu instid0(VALU_DEP_2)
	v_xor_b32_e32 v12, 16, v7
	v_xor_b32_e32 v13, 8, v7
	;; [unrolled: 1-line block ×5, first 2 shown]
	s_branch .LBB9_15
.LBB9_14:
	s_mov_b32 s2, -1
                                        ; implicit-def: $sgpr4
                                        ; implicit-def: $vgpr7
                                        ; implicit-def: $vgpr6
                                        ; implicit-def: $vgpr12
                                        ; implicit-def: $vgpr13
                                        ; implicit-def: $vgpr14
                                        ; implicit-def: $vgpr15
                                        ; implicit-def: $vgpr54
.LBB9_15:
	s_delay_alu instid0(SALU_CYCLE_1) | instskip(SKIP_3) | instid1(VALU_DEP_4)
	v_cndmask_b32_e64 v0, 0, 1, s2
	v_dual_mov_b32 v3, s4 :: v_dual_mov_b32 v2, s4
	v_mov_b32_e32 v77, s2
	v_dual_mov_b32 v71, s2 :: v_dual_mov_b32 v78, s2
	v_cmp_ne_u32_e32 vcc_lo, 1, v0
	v_dual_mov_b32 v1, s4 :: v_dual_mov_b32 v80, s2
	v_dual_mov_b32 v0, s4 :: v_dual_mov_b32 v79, s2
	;; [unrolled: 1-line block ×3, first 2 shown]
	v_mov_b32_e32 v82, s2
	v_dual_mov_b32 v74, s2 :: v_dual_mov_b32 v75, s2
	v_dual_mov_b32 v72, s2 :: v_dual_mov_b32 v73, s2
	;; [unrolled: 1-line block ×14, first 2 shown]
	s_cbranch_vccnz .LBB9_24
; %bb.16:
	s_clause 0x1
	s_load_b128 s[8:11], s[0:1], 0x98
	s_load_b64 s[4:5], s[0:1], 0x8c
	s_sub_i32 s2, 0, s35
	s_abs_i32 s22, s12
	s_mul_i32 s2, s2, s38
	s_ashr_i32 s26, s15, 31
	s_mul_hi_u32 s2, s38, s2
	s_ashr_i32 s27, s33, 31
	s_add_i32 s38, s38, s2
	s_ashr_i32 s2, s3, 1
	s_mul_hi_u32 s3, s22, s38
	s_ashr_i32 s23, s12, 31
	s_load_b64 s[16:17], s[0:1], 0xa8
	s_mul_i32 s38, s3, s35
	v_lshrrev_b32_e32 v0, 3, v17
	v_dual_mov_b32 v47, 0 :: v_dual_and_b32 v12, 28, v31
	v_dual_mov_b32 v46, 0 :: v_dual_lshlrev_b32 v11, 10, v4
	v_mov_b32_e32 v90, 0xfeffffff
	s_waitcnt lgkmcnt(0)
	s_mul_i32 s39, s27, s8
	s_ashr_i32 s15, s4, 2
	s_mul_i32 s4, s33, s9
	s_mul_hi_u32 s9, s33, s8
	s_mul_i32 s8, s33, s8
	s_add_i32 s4, s9, s4
	s_ashr_i32 s10, s10, 2
	s_add_i32 s4, s4, s39
	s_add_u32 s8, s18, s8
	s_addc_u32 s4, s19, s4
	s_sub_i32 s18, s22, s38
	s_xor_b32 s9, s23, s26
	s_add_i32 s19, s3, 1
	s_sub_i32 s22, s18, s35
	s_cmp_ge_u32 s18, s35
	v_lshl_add_u32 v1, v4, 2, v0
	s_cselect_b32 s3, s19, s3
	s_cselect_b32 s18, s22, s18
	s_add_i32 s19, s3, 1
	s_cmp_ge_u32 s18, s35
	s_mul_i32 s17, s33, s17
	s_cselect_b32 s3, s19, s3
	s_mul_hi_u32 s18, s33, s16
	s_xor_b32 s3, s3, s9
	s_mul_i32 s27, s27, s16
	s_sub_i32 s3, s3, s9
	v_mul_lo_u32 v0, s15, v1
	s_mul_i32 s5, s3, s5
	s_mul_i32 s16, s33, s16
	s_ashr_i32 s9, s5, 31
	s_add_u32 s8, s8, s5
	s_addc_u32 s9, s4, s9
	s_add_i32 s4, s18, s17
	s_mul_i32 s3, s3, s11
	s_add_i32 s4, s4, s27
	s_add_u32 s5, s20, s16
	s_addc_u32 s4, s21, s4
	s_ashr_i32 s16, s3, 31
	s_add_u32 s11, s5, s3
	s_addc_u32 s16, s4, s16
	s_lshl_b32 s3, s15, 5
	v_mul_lo_u32 v10, s10, v4
	v_dual_mov_b32 v51, 0 :: v_dual_add_nc_u32 v2, s3, v0
	v_lshlrev_b32_e32 v3, 2, v12
	v_mul_u32_u24_e32 v38, 0x1200, v4
	s_delay_alu instid0(VALU_DEP_3) | instskip(SKIP_1) | instid1(VALU_DEP_4)
	v_dual_mov_b32 v49, 0 :: v_dual_add_nc_u32 v6, s3, v2
	v_lshl_add_u32 v13, v31, 2, v11
	v_mad_u32_u24 v9, 0x90, v1, v3
	v_lshl_add_u32 v4, s10, 3, v10
	v_ashrrev_i32_e32 v1, 31, v0
	v_dual_mov_b32 v57, 0 :: v_dual_add_nc_u32 v8, s3, v6
	s_delay_alu instid0(VALU_DEP_4)
	v_dual_mov_b32 v50, 0 :: v_dual_add_nc_u32 v33, 0x9000, v9
	v_dual_mov_b32 v53, 0 :: v_dual_add_nc_u32 v34, 0xa200, v9
	v_ashrrev_i32_e32 v3, 31, v2
	v_dual_mov_b32 v48, 0 :: v_dual_add_nc_u32 v35, 0xb400, v9
	v_ashrrev_i32_e32 v7, 31, v6
	;; [unrolled: 2-line block ×3, first 2 shown]
	v_mad_u64_u32 v[18:19], null, v5, s2, v[17:18]
	v_dual_mov_b32 v52, 0 :: v_dual_add_nc_u32 v39, 0xd800, v11
	v_ashrrev_i32_e32 v11, 31, v10
	v_ashrrev_i32_e32 v5, 31, v4
	v_lshlrev_b64 v[19:20], 2, v[0:1]
	v_lshlrev_b64 v[21:22], 2, v[2:3]
	;; [unrolled: 1-line block ×6, first 2 shown]
	v_mul_u32_u24_e32 v37, 0x90, v17
	v_dual_mov_b32 v59, 0 :: v_dual_lshlrev_b32 v40, 3, v17
	v_dual_mov_b32 v56, 0 :: v_dual_add_nc_u32 v41, 0x9000, v13
	v_dual_mov_b32 v55, 0 :: v_dual_add_nc_u32 v42, 0x9200, v13
	;; [unrolled: 1-line block ×4, first 2 shown]
	v_dual_mov_b32 v58, 0 :: v_dual_lshlrev_b32 v45, 2, v12
	v_dual_mov_b32 v62, 0 :: v_dual_mov_b32 v69, 0
	v_dual_mov_b32 v64, 0 :: v_dual_mov_b32 v67, 0
	;; [unrolled: 1-line block ×11, first 2 shown]
	v_mov_b32_e32 v88, 0
	s_add_u32 s2, s0, 0xd0
	s_addc_u32 s3, s1, 0
	s_mov_b32 s5, 0
.LBB9_17:                               ; =>This Loop Header: Depth=1
                                        ;     Child Loop BB9_19 Depth 2
	s_mul_hi_i32 s19, s13, s15
	s_mul_i32 s18, s13, s15
	v_dual_mov_b32 v77, 0 :: v_dual_mov_b32 v54, 0
	s_lshl_b64 s[18:19], s[18:19], 2
	v_dual_mov_b32 v79, 0 :: v_dual_mov_b32 v78, 0
	v_dual_mov_b32 v98, 0 :: v_dual_mov_b32 v95, 0
	;; [unrolled: 1-line block ×6, first 2 shown]
	v_mov_b32_e32 v80, 0
	v_mov_b32_e32 v94, 0
	s_add_u32 s17, s8, s18
	s_addc_u32 s18, s9, s19
	s_mov_b32 s19, s5
	s_branch .LBB9_19
.LBB9_18:                               ;   in Loop: Header=BB9_19 Depth=2
	s_and_b32 vcc_lo, exec_lo, s4
	s_addk_i32 s19, 0xc0
	s_cbranch_vccnz .LBB9_21
.LBB9_19:                               ;   Parent Loop BB9_17 Depth=1
                                        ; =>  This Inner Loop Header: Depth=2
	s_lshr_b32 s4, s19, 1
	s_delay_alu instid0(SALU_CYCLE_1) | instskip(NEXT) | instid1(SALU_CYCLE_1)
	s_lshl_b64 s[20:21], s[4:5], 2
	s_add_u32 s4, s17, s20
	s_addc_u32 s20, s18, s21
	v_add_co_u32 v0, vcc_lo, s4, v19
	v_add_co_ci_u32_e32 v1, vcc_lo, s20, v20, vcc_lo
	v_add_co_u32 v2, vcc_lo, s4, v21
	v_add_co_ci_u32_e32 v3, vcc_lo, s20, v22, vcc_lo
	s_delay_alu instid0(VALU_DEP_4) | instskip(NEXT) | instid1(VALU_DEP_4)
	v_add_co_u32 v0, vcc_lo, v0, v45
	v_add_co_ci_u32_e32 v1, vcc_lo, 0, v1, vcc_lo
	s_delay_alu instid0(VALU_DEP_4) | instskip(NEXT) | instid1(VALU_DEP_4)
	v_add_co_u32 v4, vcc_lo, v2, v45
	v_add_co_ci_u32_e32 v5, vcc_lo, 0, v3, vcc_lo
	v_add_co_u32 v2, vcc_lo, s4, v23
	v_add_co_ci_u32_e32 v3, vcc_lo, s20, v24, vcc_lo
	;; [unrolled: 2-line block ×3, first 2 shown]
	s_delay_alu instid0(VALU_DEP_4) | instskip(NEXT) | instid1(VALU_DEP_4)
	v_add_co_u32 v8, vcc_lo, v2, v45
	v_add_co_ci_u32_e32 v9, vcc_lo, 0, v3, vcc_lo
	s_delay_alu instid0(VALU_DEP_4) | instskip(NEXT) | instid1(VALU_DEP_4)
	v_add_co_u32 v12, vcc_lo, v6, v45
	v_add_co_ci_u32_e32 v13, vcc_lo, 0, v7, vcc_lo
	s_clause 0x3
	global_load_b128 v[0:3], v[0:1], off
	global_load_b128 v[4:7], v[4:5], off
	;; [unrolled: 1-line block ×4, first 2 shown]
	s_lshl_b32 s20, s19, 1
	s_add_i32 s21, s19, 64
	v_add_nc_u32_e32 v89, s20, v38
	v_add3_u32 v119, s20, 16, v38
	v_add3_u32 v125, 0x70, s20, v38
	s_lshr_b32 s4, s21, 1
	s_waitcnt vmcnt(3)
	ds_store_b128 v33, v[0:3]
	s_waitcnt vmcnt(2)
	ds_store_b128 v34, v[4:7]
	;; [unrolled: 2-line block ×4, first 2 shown]
	s_waitcnt lgkmcnt(0)
	s_barrier
	buffer_gl0_inv
	ds_load_b128 v[0:3], v37 offset:36864
	ds_load_b128 v[4:7], v89
	ds_load_b128 v[8:11], v89 offset:1152
	ds_load_b128 v[12:15], v89 offset:2304
	;; [unrolled: 1-line block ×6, first 2 shown]
	s_lshl_b64 s[22:23], s[4:5], 2
	s_waitcnt lgkmcnt(6)
	;;#ASMSTART
	v_dot2_f32_f16 v77, v0, v4, v77
	;;#ASMEND
	;;#ASMSTART
	v_dot2_f32_f16 v77, v1, v5, v77
	;;#ASMEND
	;;#ASMSTART
	v_dot2_f32_f16 v77, v2, v6, v77
	;;#ASMEND
	;;#ASMSTART
	v_dot2_f32_f16 v77, v3, v7, v77
	;;#ASMEND
	s_waitcnt lgkmcnt(5)
	;;#ASMSTART
	v_dot2_f32_f16 v79, v0, v8, v79
	;;#ASMEND
	;;#ASMSTART
	v_dot2_f32_f16 v79, v1, v9, v79
	;;#ASMEND
	;;#ASMSTART
	v_dot2_f32_f16 v79, v2, v10, v79
	;;#ASMEND
	;;#ASMSTART
	v_dot2_f32_f16 v79, v3, v11, v79
	;;#ASMEND
	;; [unrolled: 13-line block ×5, first 2 shown]
	;;#ASMSTART
	v_dot2_f32_f16 v96, v107, v8, v96
	;;#ASMEND
	;;#ASMSTART
	v_dot2_f32_f16 v96, v108, v9, v96
	;;#ASMEND
	;; [unrolled: 3-line block ×12, first 2 shown]
	s_waitcnt lgkmcnt(1)
	;;#ASMSTART
	v_dot2_f32_f16 v102, v111, v4, v102
	;;#ASMEND
	;;#ASMSTART
	v_dot2_f32_f16 v102, v112, v5, v102
	;;#ASMEND
	;; [unrolled: 3-line block ×16, first 2 shown]
	s_waitcnt lgkmcnt(0)
	;;#ASMSTART
	v_dot2_f32_f16 v84, v115, v4, v84
	;;#ASMEND
	;;#ASMSTART
	v_dot2_f32_f16 v84, v116, v5, v84
	;;#ASMEND
	;; [unrolled: 3-line block ×16, first 2 shown]
	ds_load_b128 v[0:3], v37 offset:36880
	ds_load_b128 v[4:7], v89 offset:16
	;; [unrolled: 1-line block ×8, first 2 shown]
	s_waitcnt lgkmcnt(6)
	;;#ASMSTART
	v_dot2_f32_f16 v77, v0, v4, v77
	;;#ASMEND
	;;#ASMSTART
	v_dot2_f32_f16 v77, v1, v5, v77
	;;#ASMEND
	;;#ASMSTART
	v_dot2_f32_f16 v77, v2, v6, v77
	;;#ASMEND
	;;#ASMSTART
	v_dot2_f32_f16 v77, v3, v7, v77
	;;#ASMEND
	s_waitcnt lgkmcnt(5)
	;;#ASMSTART
	v_dot2_f32_f16 v79, v0, v8, v79
	;;#ASMEND
	;;#ASMSTART
	v_dot2_f32_f16 v79, v1, v9, v79
	;;#ASMEND
	;;#ASMSTART
	v_dot2_f32_f16 v79, v2, v10, v79
	;;#ASMEND
	;;#ASMSTART
	v_dot2_f32_f16 v79, v3, v11, v79
	;;#ASMEND
	;; [unrolled: 13-line block ×5, first 2 shown]
	;;#ASMSTART
	v_dot2_f32_f16 v96, v107, v8, v96
	;;#ASMEND
	;;#ASMSTART
	v_dot2_f32_f16 v96, v108, v9, v96
	;;#ASMEND
	;; [unrolled: 3-line block ×12, first 2 shown]
	s_waitcnt lgkmcnt(1)
	;;#ASMSTART
	v_dot2_f32_f16 v102, v111, v4, v102
	;;#ASMEND
	;;#ASMSTART
	v_dot2_f32_f16 v102, v112, v5, v102
	;;#ASMEND
	;; [unrolled: 3-line block ×16, first 2 shown]
	s_waitcnt lgkmcnt(0)
	;;#ASMSTART
	v_dot2_f32_f16 v84, v115, v4, v84
	;;#ASMEND
	;;#ASMSTART
	v_dot2_f32_f16 v84, v116, v5, v84
	;;#ASMEND
	;; [unrolled: 3-line block ×11, first 2 shown]
	v_add3_u32 v119, s20, 32, v38
	;;#ASMSTART
	v_dot2_f32_f16 v80, v118, v15, v80
	;;#ASMEND
	;;#ASMSTART
	v_dot2_f32_f16 v94, v115, v103, v94
	;;#ASMEND
	;; [unrolled: 3-line block ×5, first 2 shown]
	ds_load_b128 v[0:3], v37 offset:36896
	ds_load_b128 v[4:7], v89 offset:32
	ds_load_b128 v[8:11], v119 offset:1152
	ds_load_b128 v[12:15], v119 offset:2304
	ds_load_b128 v[103:106], v119 offset:3456
	ds_load_b128 v[107:110], v37 offset:41504
	ds_load_b128 v[111:114], v37 offset:46112
	ds_load_b128 v[115:118], v37 offset:50720
	s_waitcnt lgkmcnt(6)
	;;#ASMSTART
	v_dot2_f32_f16 v77, v0, v4, v77
	;;#ASMEND
	;;#ASMSTART
	v_dot2_f32_f16 v77, v1, v5, v77
	;;#ASMEND
	;;#ASMSTART
	v_dot2_f32_f16 v77, v2, v6, v77
	;;#ASMEND
	;;#ASMSTART
	v_dot2_f32_f16 v77, v3, v7, v77
	;;#ASMEND
	s_waitcnt lgkmcnt(5)
	;;#ASMSTART
	v_dot2_f32_f16 v79, v0, v8, v79
	;;#ASMEND
	;;#ASMSTART
	v_dot2_f32_f16 v79, v1, v9, v79
	;;#ASMEND
	;;#ASMSTART
	v_dot2_f32_f16 v79, v2, v10, v79
	;;#ASMEND
	;;#ASMSTART
	v_dot2_f32_f16 v79, v3, v11, v79
	;;#ASMEND
	;; [unrolled: 13-line block ×5, first 2 shown]
	;;#ASMSTART
	v_dot2_f32_f16 v96, v107, v8, v96
	;;#ASMEND
	;;#ASMSTART
	v_dot2_f32_f16 v96, v108, v9, v96
	;;#ASMEND
	;; [unrolled: 3-line block ×12, first 2 shown]
	s_waitcnt lgkmcnt(1)
	;;#ASMSTART
	v_dot2_f32_f16 v102, v111, v4, v102
	;;#ASMEND
	;;#ASMSTART
	v_dot2_f32_f16 v102, v112, v5, v102
	;;#ASMEND
	;; [unrolled: 3-line block ×16, first 2 shown]
	s_waitcnt lgkmcnt(0)
	;;#ASMSTART
	v_dot2_f32_f16 v84, v115, v4, v84
	;;#ASMEND
	;;#ASMSTART
	v_dot2_f32_f16 v84, v116, v5, v84
	;;#ASMEND
	;; [unrolled: 3-line block ×11, first 2 shown]
	v_add3_u32 v119, s20, 48, v38
	;;#ASMSTART
	v_dot2_f32_f16 v80, v118, v15, v80
	;;#ASMEND
	;;#ASMSTART
	v_dot2_f32_f16 v94, v115, v103, v94
	;;#ASMEND
	;; [unrolled: 3-line block ×5, first 2 shown]
	ds_load_b128 v[0:3], v37 offset:36912
	ds_load_b128 v[4:7], v89 offset:48
	;; [unrolled: 1-line block ×8, first 2 shown]
	s_waitcnt lgkmcnt(6)
	;;#ASMSTART
	v_dot2_f32_f16 v77, v0, v4, v77
	;;#ASMEND
	;;#ASMSTART
	v_dot2_f32_f16 v77, v1, v5, v77
	;;#ASMEND
	;;#ASMSTART
	v_dot2_f32_f16 v77, v2, v6, v77
	;;#ASMEND
	;;#ASMSTART
	v_dot2_f32_f16 v77, v3, v7, v77
	;;#ASMEND
	s_waitcnt lgkmcnt(5)
	;;#ASMSTART
	v_dot2_f32_f16 v79, v0, v8, v79
	;;#ASMEND
	;;#ASMSTART
	v_dot2_f32_f16 v79, v1, v9, v79
	;;#ASMEND
	;;#ASMSTART
	v_dot2_f32_f16 v79, v2, v10, v79
	;;#ASMEND
	;;#ASMSTART
	v_dot2_f32_f16 v79, v3, v11, v79
	;;#ASMEND
	;; [unrolled: 13-line block ×5, first 2 shown]
	;;#ASMSTART
	v_dot2_f32_f16 v96, v107, v8, v96
	;;#ASMEND
	;;#ASMSTART
	v_dot2_f32_f16 v96, v108, v9, v96
	;;#ASMEND
	;; [unrolled: 3-line block ×12, first 2 shown]
	s_waitcnt lgkmcnt(1)
	;;#ASMSTART
	v_dot2_f32_f16 v102, v111, v4, v102
	;;#ASMEND
	;;#ASMSTART
	v_dot2_f32_f16 v102, v112, v5, v102
	;;#ASMEND
	;; [unrolled: 3-line block ×16, first 2 shown]
	s_waitcnt lgkmcnt(0)
	;;#ASMSTART
	v_dot2_f32_f16 v84, v115, v4, v84
	;;#ASMEND
	;;#ASMSTART
	v_dot2_f32_f16 v84, v116, v5, v84
	;;#ASMEND
	;;#ASMSTART
	v_dot2_f32_f16 v84, v117, v6, v84
	;;#ASMEND
	;;#ASMSTART
	v_dot2_f32_f16 v84, v118, v7, v84
	;;#ASMEND
	;;#ASMSTART
	v_dot2_f32_f16 v97, v115, v8, v97
	;;#ASMEND
	;;#ASMSTART
	v_dot2_f32_f16 v97, v116, v9, v97
	;;#ASMEND
	;;#ASMSTART
	v_dot2_f32_f16 v97, v117, v10, v97
	;;#ASMEND
	;;#ASMSTART
	v_dot2_f32_f16 v97, v118, v11, v97
	;;#ASMEND
	;;#ASMSTART
	v_dot2_f32_f16 v80, v115, v12, v80
	;;#ASMEND
	;;#ASMSTART
	v_dot2_f32_f16 v80, v116, v13, v80
	;;#ASMEND
	;;#ASMSTART
	v_dot2_f32_f16 v80, v117, v14, v80
	;;#ASMEND
	v_add3_u32 v119, s20, 64, v38
	;;#ASMSTART
	v_dot2_f32_f16 v80, v118, v15, v80
	;;#ASMEND
	;;#ASMSTART
	v_dot2_f32_f16 v94, v115, v103, v94
	;;#ASMEND
	;; [unrolled: 3-line block ×5, first 2 shown]
	ds_load_b128 v[0:3], v37 offset:36928
	ds_load_b128 v[4:7], v89 offset:64
	;; [unrolled: 1-line block ×8, first 2 shown]
	s_waitcnt lgkmcnt(6)
	;;#ASMSTART
	v_dot2_f32_f16 v77, v0, v4, v77
	;;#ASMEND
	;;#ASMSTART
	v_dot2_f32_f16 v77, v1, v5, v77
	;;#ASMEND
	;;#ASMSTART
	v_dot2_f32_f16 v77, v2, v6, v77
	;;#ASMEND
	;;#ASMSTART
	v_dot2_f32_f16 v77, v3, v7, v77
	;;#ASMEND
	s_waitcnt lgkmcnt(5)
	;;#ASMSTART
	v_dot2_f32_f16 v79, v0, v8, v79
	;;#ASMEND
	;;#ASMSTART
	v_dot2_f32_f16 v79, v1, v9, v79
	;;#ASMEND
	;;#ASMSTART
	v_dot2_f32_f16 v79, v2, v10, v79
	;;#ASMEND
	;;#ASMSTART
	v_dot2_f32_f16 v79, v3, v11, v79
	;;#ASMEND
	;; [unrolled: 13-line block ×5, first 2 shown]
	;;#ASMSTART
	v_dot2_f32_f16 v96, v108, v8, v96
	;;#ASMEND
	;;#ASMSTART
	v_dot2_f32_f16 v96, v109, v9, v96
	;;#ASMEND
	;; [unrolled: 3-line block ×12, first 2 shown]
	s_waitcnt lgkmcnt(1)
	;;#ASMSTART
	v_dot2_f32_f16 v102, v112, v4, v102
	;;#ASMEND
	;;#ASMSTART
	v_dot2_f32_f16 v102, v113, v5, v102
	;;#ASMEND
	;; [unrolled: 3-line block ×16, first 2 shown]
	s_waitcnt lgkmcnt(0)
	;;#ASMSTART
	v_dot2_f32_f16 v84, v116, v4, v84
	;;#ASMEND
	;;#ASMSTART
	v_dot2_f32_f16 v84, v117, v5, v84
	;;#ASMEND
	;; [unrolled: 3-line block ×11, first 2 shown]
	v_add3_u32 v103, 0x50, s20, v38
	;;#ASMSTART
	v_dot2_f32_f16 v80, v119, v15, v80
	;;#ASMEND
	;;#ASMSTART
	v_dot2_f32_f16 v94, v116, v104, v94
	;;#ASMEND
	;; [unrolled: 3-line block ×5, first 2 shown]
	ds_load_b128 v[12:15], v37 offset:36944
	ds_load_b128 v[8:11], v89 offset:80
	;; [unrolled: 1-line block ×8, first 2 shown]
	s_waitcnt lgkmcnt(6)
	;;#ASMSTART
	v_dot2_f32_f16 v77, v12, v8, v77
	;;#ASMEND
	;;#ASMSTART
	v_dot2_f32_f16 v77, v13, v9, v77
	;;#ASMEND
	;;#ASMSTART
	v_dot2_f32_f16 v77, v14, v10, v77
	;;#ASMEND
	;;#ASMSTART
	v_dot2_f32_f16 v77, v15, v11, v77
	;;#ASMEND
	s_waitcnt lgkmcnt(5)
	;;#ASMSTART
	v_dot2_f32_f16 v79, v12, v0, v79
	;;#ASMEND
	;;#ASMSTART
	v_dot2_f32_f16 v79, v13, v1, v79
	;;#ASMEND
	;;#ASMSTART
	v_dot2_f32_f16 v79, v14, v2, v79
	;;#ASMEND
	;;#ASMSTART
	v_dot2_f32_f16 v79, v15, v3, v79
	;;#ASMEND
	;; [unrolled: 13-line block ×5, first 2 shown]
	;;#ASMSTART
	v_dot2_f32_f16 v96, v107, v0, v96
	;;#ASMEND
	;;#ASMSTART
	v_dot2_f32_f16 v96, v108, v1, v96
	;;#ASMEND
	;; [unrolled: 3-line block ×12, first 2 shown]
	s_waitcnt lgkmcnt(1)
	;;#ASMSTART
	v_dot2_f32_f16 v102, v111, v8, v102
	;;#ASMEND
	;;#ASMSTART
	v_dot2_f32_f16 v102, v112, v9, v102
	;;#ASMEND
	;; [unrolled: 3-line block ×16, first 2 shown]
	s_waitcnt lgkmcnt(0)
	;;#ASMSTART
	v_dot2_f32_f16 v84, v115, v8, v84
	;;#ASMEND
	;;#ASMSTART
	v_dot2_f32_f16 v84, v116, v9, v84
	;;#ASMEND
	;; [unrolled: 3-line block ×16, first 2 shown]
	ds_load_b128 v[0:3], v37 offset:36960
	ds_load_b128 v[4:7], v89 offset:96
	v_add3_u32 v119, 0x60, s20, v38
	s_add_u32 s4, s17, s22
	s_addc_u32 s20, s18, s23
	v_add_co_u32 v120, vcc_lo, s4, v19
	ds_load_b128 v[8:11], v119 offset:1152
	ds_load_b128 v[12:15], v119 offset:2304
	;; [unrolled: 1-line block ×6, first 2 shown]
	s_waitcnt lgkmcnt(6)
	;;#ASMSTART
	v_dot2_f32_f16 v77, v0, v4, v77
	;;#ASMEND
	;;#ASMSTART
	v_dot2_f32_f16 v77, v1, v5, v77
	;;#ASMEND
	;;#ASMSTART
	v_dot2_f32_f16 v77, v2, v6, v77
	;;#ASMEND
	;;#ASMSTART
	v_dot2_f32_f16 v77, v3, v7, v77
	;;#ASMEND
	s_waitcnt lgkmcnt(5)
	;;#ASMSTART
	v_dot2_f32_f16 v79, v0, v8, v79
	;;#ASMEND
	;;#ASMSTART
	v_dot2_f32_f16 v79, v1, v9, v79
	;;#ASMEND
	;;#ASMSTART
	v_dot2_f32_f16 v79, v2, v10, v79
	;;#ASMEND
	;;#ASMSTART
	v_dot2_f32_f16 v79, v3, v11, v79
	;;#ASMEND
	;; [unrolled: 13-line block ×5, first 2 shown]
	;;#ASMSTART
	v_dot2_f32_f16 v96, v107, v8, v96
	;;#ASMEND
	;;#ASMSTART
	v_dot2_f32_f16 v96, v108, v9, v96
	;;#ASMEND
	;; [unrolled: 3-line block ×12, first 2 shown]
	s_waitcnt lgkmcnt(1)
	;;#ASMSTART
	v_dot2_f32_f16 v102, v111, v4, v102
	;;#ASMEND
	;;#ASMSTART
	v_dot2_f32_f16 v102, v112, v5, v102
	;;#ASMEND
	;; [unrolled: 3-line block ×16, first 2 shown]
	s_waitcnt lgkmcnt(0)
	;;#ASMSTART
	v_dot2_f32_f16 v84, v115, v4, v84
	;;#ASMEND
	;;#ASMSTART
	v_dot2_f32_f16 v84, v116, v5, v84
	;;#ASMEND
	;; [unrolled: 3-line block ×16, first 2 shown]
	ds_load_b128 v[0:3], v37 offset:36976
	ds_load_b128 v[4:7], v89 offset:112
	;; [unrolled: 1-line block ×8, first 2 shown]
	s_waitcnt lgkmcnt(6)
	;;#ASMSTART
	v_dot2_f32_f16 v77, v0, v4, v77
	;;#ASMEND
	;;#ASMSTART
	v_dot2_f32_f16 v77, v1, v5, v77
	;;#ASMEND
	;;#ASMSTART
	v_dot2_f32_f16 v77, v2, v6, v77
	;;#ASMEND
	;;#ASMSTART
	v_dot2_f32_f16 v77, v3, v7, v77
	;;#ASMEND
	s_waitcnt lgkmcnt(5)
	;;#ASMSTART
	v_dot2_f32_f16 v79, v0, v8, v79
	;;#ASMEND
	;;#ASMSTART
	v_dot2_f32_f16 v79, v1, v9, v79
	;;#ASMEND
	;;#ASMSTART
	v_dot2_f32_f16 v79, v2, v10, v79
	;;#ASMEND
	;;#ASMSTART
	v_dot2_f32_f16 v79, v3, v11, v79
	;;#ASMEND
	;; [unrolled: 13-line block ×5, first 2 shown]
	;;#ASMSTART
	v_dot2_f32_f16 v96, v107, v8, v96
	;;#ASMEND
	;;#ASMSTART
	v_dot2_f32_f16 v96, v108, v9, v96
	;;#ASMEND
	;; [unrolled: 3-line block ×12, first 2 shown]
	s_waitcnt lgkmcnt(1)
	;;#ASMSTART
	v_dot2_f32_f16 v102, v111, v4, v102
	;;#ASMEND
	v_add_co_ci_u32_e32 v121, vcc_lo, s20, v20, vcc_lo
	;;#ASMSTART
	v_dot2_f32_f16 v102, v112, v5, v102
	;;#ASMEND
	v_add_co_u32 v122, vcc_lo, s4, v21
	;;#ASMSTART
	v_dot2_f32_f16 v102, v113, v6, v102
	;;#ASMEND
	;;#ASMSTART
	v_dot2_f32_f16 v102, v114, v7, v102
	;;#ASMEND
	;;#ASMSTART
	v_dot2_f32_f16 v101, v111, v8, v101
	;;#ASMEND
	v_add_co_ci_u32_e32 v123, vcc_lo, s20, v22, vcc_lo
	;;#ASMSTART
	v_dot2_f32_f16 v101, v112, v9, v101
	;;#ASMEND
	v_add_co_u32 v124, vcc_lo, s4, v23
	;;#ASMSTART
	v_dot2_f32_f16 v101, v113, v10, v101
	;;#ASMEND
	;;#ASMSTART
	v_dot2_f32_f16 v101, v114, v11, v101
	;;#ASMEND
	;; [unrolled: 14-line block ×4, first 2 shown]
	s_waitcnt lgkmcnt(0)
	;;#ASMSTART
	v_dot2_f32_f16 v84, v115, v4, v84
	;;#ASMEND
	v_add_co_ci_u32_e32 v120, vcc_lo, 0, v121, vcc_lo
	;;#ASMSTART
	v_dot2_f32_f16 v84, v116, v5, v84
	;;#ASMEND
	v_add_co_u32 v121, vcc_lo, v122, v45
	;;#ASMSTART
	v_dot2_f32_f16 v84, v117, v6, v84
	;;#ASMEND
	;;#ASMSTART
	v_dot2_f32_f16 v84, v118, v7, v84
	;;#ASMEND
	;;#ASMSTART
	v_dot2_f32_f16 v97, v115, v8, v97
	;;#ASMEND
	v_add_co_ci_u32_e32 v122, vcc_lo, 0, v123, vcc_lo
	;;#ASMSTART
	v_dot2_f32_f16 v97, v116, v9, v97
	;;#ASMEND
	v_add_co_u32 v123, vcc_lo, v124, v45
	;;#ASMSTART
	v_dot2_f32_f16 v97, v117, v10, v97
	;;#ASMEND
	;;#ASMSTART
	v_dot2_f32_f16 v97, v118, v11, v97
	;;#ASMEND
	;; [unrolled: 14-line block ×3, first 2 shown]
	;;#ASMSTART
	v_dot2_f32_f16 v94, v115, v103, v94
	;;#ASMEND
	v_add_co_ci_u32_e32 v126, vcc_lo, 0, v128, vcc_lo
	;;#ASMSTART
	v_dot2_f32_f16 v94, v116, v104, v94
	;;#ASMEND
	;;#ASMSTART
	v_dot2_f32_f16 v94, v117, v105, v94
	;;#ASMEND
	;; [unrolled: 3-line block ×3, first 2 shown]
	s_barrier
	buffer_gl0_inv
	s_clause 0x3
	global_load_b128 v[0:3], v[119:120], off
	global_load_b128 v[4:7], v[121:122], off
	;; [unrolled: 1-line block ×4, first 2 shown]
	s_lshl_b32 s20, s21, 1
	s_add_i32 s21, s19, 0x80
	v_add_nc_u32_e32 v89, s20, v38
	v_add3_u32 v119, s20, 16, v38
	v_add3_u32 v125, 0x70, s20, v38
	s_lshr_b32 s4, s21, 1
	s_waitcnt vmcnt(3)
	ds_store_b128 v33, v[0:3]
	s_waitcnt vmcnt(2)
	ds_store_b128 v34, v[4:7]
	;; [unrolled: 2-line block ×4, first 2 shown]
	s_waitcnt lgkmcnt(0)
	s_barrier
	buffer_gl0_inv
	ds_load_b128 v[0:3], v37 offset:36864
	ds_load_b128 v[4:7], v89
	ds_load_b128 v[8:11], v89 offset:1152
	ds_load_b128 v[12:15], v89 offset:2304
	;; [unrolled: 1-line block ×6, first 2 shown]
	s_waitcnt lgkmcnt(6)
	;;#ASMSTART
	v_dot2_f32_f16 v77, v0, v4, v77
	;;#ASMEND
	;;#ASMSTART
	v_dot2_f32_f16 v77, v1, v5, v77
	;;#ASMEND
	;;#ASMSTART
	v_dot2_f32_f16 v77, v2, v6, v77
	;;#ASMEND
	;;#ASMSTART
	v_dot2_f32_f16 v77, v3, v7, v77
	;;#ASMEND
	s_waitcnt lgkmcnt(5)
	;;#ASMSTART
	v_dot2_f32_f16 v79, v0, v8, v79
	;;#ASMEND
	;;#ASMSTART
	v_dot2_f32_f16 v79, v1, v9, v79
	;;#ASMEND
	;;#ASMSTART
	v_dot2_f32_f16 v79, v2, v10, v79
	;;#ASMEND
	;;#ASMSTART
	v_dot2_f32_f16 v79, v3, v11, v79
	;;#ASMEND
	;; [unrolled: 13-line block ×5, first 2 shown]
	;;#ASMSTART
	v_dot2_f32_f16 v96, v107, v8, v96
	;;#ASMEND
	;;#ASMSTART
	v_dot2_f32_f16 v96, v108, v9, v96
	;;#ASMEND
	;; [unrolled: 3-line block ×12, first 2 shown]
	s_waitcnt lgkmcnt(1)
	;;#ASMSTART
	v_dot2_f32_f16 v102, v111, v4, v102
	;;#ASMEND
	;;#ASMSTART
	v_dot2_f32_f16 v102, v112, v5, v102
	;;#ASMEND
	;; [unrolled: 3-line block ×16, first 2 shown]
	s_waitcnt lgkmcnt(0)
	;;#ASMSTART
	v_dot2_f32_f16 v84, v115, v4, v84
	;;#ASMEND
	;;#ASMSTART
	v_dot2_f32_f16 v84, v116, v5, v84
	;;#ASMEND
	;;#ASMSTART
	v_dot2_f32_f16 v84, v117, v6, v84
	;;#ASMEND
	;;#ASMSTART
	v_dot2_f32_f16 v84, v118, v7, v84
	;;#ASMEND
	;;#ASMSTART
	v_dot2_f32_f16 v97, v115, v8, v97
	;;#ASMEND
	;;#ASMSTART
	v_dot2_f32_f16 v97, v116, v9, v97
	;;#ASMEND
	;;#ASMSTART
	v_dot2_f32_f16 v97, v117, v10, v97
	;;#ASMEND
	;;#ASMSTART
	v_dot2_f32_f16 v97, v118, v11, v97
	;;#ASMEND
	;;#ASMSTART
	v_dot2_f32_f16 v80, v115, v12, v80
	;;#ASMEND
	;;#ASMSTART
	v_dot2_f32_f16 v80, v116, v13, v80
	;;#ASMEND
	;;#ASMSTART
	v_dot2_f32_f16 v80, v117, v14, v80
	;;#ASMEND
	;;#ASMSTART
	v_dot2_f32_f16 v80, v118, v15, v80
	;;#ASMEND
	;;#ASMSTART
	v_dot2_f32_f16 v94, v115, v103, v94
	;;#ASMEND
	;;#ASMSTART
	v_dot2_f32_f16 v94, v116, v104, v94
	;;#ASMEND
	;;#ASMSTART
	v_dot2_f32_f16 v94, v117, v105, v94
	;;#ASMEND
	;;#ASMSTART
	v_dot2_f32_f16 v94, v118, v106, v94
	;;#ASMEND
	ds_load_b128 v[0:3], v37 offset:36880
	ds_load_b128 v[4:7], v89 offset:16
	;; [unrolled: 1-line block ×8, first 2 shown]
	s_waitcnt lgkmcnt(6)
	;;#ASMSTART
	v_dot2_f32_f16 v77, v0, v4, v77
	;;#ASMEND
	;;#ASMSTART
	v_dot2_f32_f16 v77, v1, v5, v77
	;;#ASMEND
	;;#ASMSTART
	v_dot2_f32_f16 v77, v2, v6, v77
	;;#ASMEND
	;;#ASMSTART
	v_dot2_f32_f16 v77, v3, v7, v77
	;;#ASMEND
	s_waitcnt lgkmcnt(5)
	;;#ASMSTART
	v_dot2_f32_f16 v79, v0, v8, v79
	;;#ASMEND
	;;#ASMSTART
	v_dot2_f32_f16 v79, v1, v9, v79
	;;#ASMEND
	;;#ASMSTART
	v_dot2_f32_f16 v79, v2, v10, v79
	;;#ASMEND
	;;#ASMSTART
	v_dot2_f32_f16 v79, v3, v11, v79
	;;#ASMEND
	;; [unrolled: 13-line block ×5, first 2 shown]
	;;#ASMSTART
	v_dot2_f32_f16 v96, v107, v8, v96
	;;#ASMEND
	;;#ASMSTART
	v_dot2_f32_f16 v96, v108, v9, v96
	;;#ASMEND
	;; [unrolled: 3-line block ×12, first 2 shown]
	s_waitcnt lgkmcnt(1)
	;;#ASMSTART
	v_dot2_f32_f16 v102, v111, v4, v102
	;;#ASMEND
	;;#ASMSTART
	v_dot2_f32_f16 v102, v112, v5, v102
	;;#ASMEND
	;; [unrolled: 3-line block ×16, first 2 shown]
	s_waitcnt lgkmcnt(0)
	;;#ASMSTART
	v_dot2_f32_f16 v84, v115, v4, v84
	;;#ASMEND
	;;#ASMSTART
	v_dot2_f32_f16 v84, v116, v5, v84
	;;#ASMEND
	;;#ASMSTART
	v_dot2_f32_f16 v84, v117, v6, v84
	;;#ASMEND
	;;#ASMSTART
	v_dot2_f32_f16 v84, v118, v7, v84
	;;#ASMEND
	;;#ASMSTART
	v_dot2_f32_f16 v97, v115, v8, v97
	;;#ASMEND
	;;#ASMSTART
	v_dot2_f32_f16 v97, v116, v9, v97
	;;#ASMEND
	;;#ASMSTART
	v_dot2_f32_f16 v97, v117, v10, v97
	;;#ASMEND
	;;#ASMSTART
	v_dot2_f32_f16 v97, v118, v11, v97
	;;#ASMEND
	;;#ASMSTART
	v_dot2_f32_f16 v80, v115, v12, v80
	;;#ASMEND
	;;#ASMSTART
	v_dot2_f32_f16 v80, v116, v13, v80
	;;#ASMEND
	;;#ASMSTART
	v_dot2_f32_f16 v80, v117, v14, v80
	;;#ASMEND
	v_add3_u32 v119, s20, 32, v38
	;;#ASMSTART
	v_dot2_f32_f16 v80, v118, v15, v80
	;;#ASMEND
	;;#ASMSTART
	v_dot2_f32_f16 v94, v115, v103, v94
	;;#ASMEND
	;; [unrolled: 3-line block ×5, first 2 shown]
	ds_load_b128 v[0:3], v37 offset:36896
	ds_load_b128 v[4:7], v89 offset:32
	;; [unrolled: 1-line block ×8, first 2 shown]
	s_waitcnt lgkmcnt(6)
	;;#ASMSTART
	v_dot2_f32_f16 v77, v0, v4, v77
	;;#ASMEND
	;;#ASMSTART
	v_dot2_f32_f16 v77, v1, v5, v77
	;;#ASMEND
	;;#ASMSTART
	v_dot2_f32_f16 v77, v2, v6, v77
	;;#ASMEND
	;;#ASMSTART
	v_dot2_f32_f16 v77, v3, v7, v77
	;;#ASMEND
	s_waitcnt lgkmcnt(5)
	;;#ASMSTART
	v_dot2_f32_f16 v79, v0, v8, v79
	;;#ASMEND
	;;#ASMSTART
	v_dot2_f32_f16 v79, v1, v9, v79
	;;#ASMEND
	;;#ASMSTART
	v_dot2_f32_f16 v79, v2, v10, v79
	;;#ASMEND
	;;#ASMSTART
	v_dot2_f32_f16 v79, v3, v11, v79
	;;#ASMEND
	;; [unrolled: 13-line block ×5, first 2 shown]
	;;#ASMSTART
	v_dot2_f32_f16 v96, v107, v8, v96
	;;#ASMEND
	;;#ASMSTART
	v_dot2_f32_f16 v96, v108, v9, v96
	;;#ASMEND
	;; [unrolled: 3-line block ×12, first 2 shown]
	s_waitcnt lgkmcnt(1)
	;;#ASMSTART
	v_dot2_f32_f16 v102, v111, v4, v102
	;;#ASMEND
	;;#ASMSTART
	v_dot2_f32_f16 v102, v112, v5, v102
	;;#ASMEND
	;; [unrolled: 3-line block ×16, first 2 shown]
	s_waitcnt lgkmcnt(0)
	;;#ASMSTART
	v_dot2_f32_f16 v84, v115, v4, v84
	;;#ASMEND
	;;#ASMSTART
	v_dot2_f32_f16 v84, v116, v5, v84
	;;#ASMEND
	;; [unrolled: 3-line block ×11, first 2 shown]
	v_add3_u32 v119, s20, 48, v38
	;;#ASMSTART
	v_dot2_f32_f16 v80, v118, v15, v80
	;;#ASMEND
	;;#ASMSTART
	v_dot2_f32_f16 v94, v115, v103, v94
	;;#ASMEND
	;; [unrolled: 3-line block ×5, first 2 shown]
	ds_load_b128 v[0:3], v37 offset:36912
	ds_load_b128 v[4:7], v89 offset:48
	;; [unrolled: 1-line block ×8, first 2 shown]
	s_waitcnt lgkmcnt(6)
	;;#ASMSTART
	v_dot2_f32_f16 v77, v0, v4, v77
	;;#ASMEND
	;;#ASMSTART
	v_dot2_f32_f16 v77, v1, v5, v77
	;;#ASMEND
	;;#ASMSTART
	v_dot2_f32_f16 v77, v2, v6, v77
	;;#ASMEND
	;;#ASMSTART
	v_dot2_f32_f16 v77, v3, v7, v77
	;;#ASMEND
	s_waitcnt lgkmcnt(5)
	;;#ASMSTART
	v_dot2_f32_f16 v79, v0, v8, v79
	;;#ASMEND
	;;#ASMSTART
	v_dot2_f32_f16 v79, v1, v9, v79
	;;#ASMEND
	;;#ASMSTART
	v_dot2_f32_f16 v79, v2, v10, v79
	;;#ASMEND
	;;#ASMSTART
	v_dot2_f32_f16 v79, v3, v11, v79
	;;#ASMEND
	;; [unrolled: 13-line block ×5, first 2 shown]
	;;#ASMSTART
	v_dot2_f32_f16 v96, v107, v8, v96
	;;#ASMEND
	;;#ASMSTART
	v_dot2_f32_f16 v96, v108, v9, v96
	;;#ASMEND
	;; [unrolled: 3-line block ×12, first 2 shown]
	s_waitcnt lgkmcnt(1)
	;;#ASMSTART
	v_dot2_f32_f16 v102, v111, v4, v102
	;;#ASMEND
	;;#ASMSTART
	v_dot2_f32_f16 v102, v112, v5, v102
	;;#ASMEND
	;; [unrolled: 3-line block ×16, first 2 shown]
	s_waitcnt lgkmcnt(0)
	;;#ASMSTART
	v_dot2_f32_f16 v84, v115, v4, v84
	;;#ASMEND
	;;#ASMSTART
	v_dot2_f32_f16 v84, v116, v5, v84
	;;#ASMEND
	;; [unrolled: 3-line block ×11, first 2 shown]
	v_add3_u32 v119, s20, 64, v38
	;;#ASMSTART
	v_dot2_f32_f16 v80, v118, v15, v80
	;;#ASMEND
	;;#ASMSTART
	v_dot2_f32_f16 v94, v115, v103, v94
	;;#ASMEND
	;; [unrolled: 3-line block ×5, first 2 shown]
	ds_load_b128 v[0:3], v37 offset:36928
	ds_load_b128 v[4:7], v89 offset:64
	;; [unrolled: 1-line block ×8, first 2 shown]
	s_waitcnt lgkmcnt(6)
	;;#ASMSTART
	v_dot2_f32_f16 v77, v0, v4, v77
	;;#ASMEND
	;;#ASMSTART
	v_dot2_f32_f16 v77, v1, v5, v77
	;;#ASMEND
	;;#ASMSTART
	v_dot2_f32_f16 v77, v2, v6, v77
	;;#ASMEND
	;;#ASMSTART
	v_dot2_f32_f16 v77, v3, v7, v77
	;;#ASMEND
	s_waitcnt lgkmcnt(5)
	;;#ASMSTART
	v_dot2_f32_f16 v79, v0, v8, v79
	;;#ASMEND
	;;#ASMSTART
	v_dot2_f32_f16 v79, v1, v9, v79
	;;#ASMEND
	;;#ASMSTART
	v_dot2_f32_f16 v79, v2, v10, v79
	;;#ASMEND
	;;#ASMSTART
	v_dot2_f32_f16 v79, v3, v11, v79
	;;#ASMEND
	;; [unrolled: 13-line block ×5, first 2 shown]
	;;#ASMSTART
	v_dot2_f32_f16 v96, v108, v8, v96
	;;#ASMEND
	;;#ASMSTART
	v_dot2_f32_f16 v96, v109, v9, v96
	;;#ASMEND
	;; [unrolled: 3-line block ×12, first 2 shown]
	s_waitcnt lgkmcnt(1)
	;;#ASMSTART
	v_dot2_f32_f16 v102, v112, v4, v102
	;;#ASMEND
	;;#ASMSTART
	v_dot2_f32_f16 v102, v113, v5, v102
	;;#ASMEND
	;; [unrolled: 3-line block ×16, first 2 shown]
	s_waitcnt lgkmcnt(0)
	;;#ASMSTART
	v_dot2_f32_f16 v84, v116, v4, v84
	;;#ASMEND
	;;#ASMSTART
	v_dot2_f32_f16 v84, v117, v5, v84
	;;#ASMEND
	;; [unrolled: 3-line block ×11, first 2 shown]
	v_add3_u32 v103, 0x50, s20, v38
	;;#ASMSTART
	v_dot2_f32_f16 v80, v119, v15, v80
	;;#ASMEND
	;;#ASMSTART
	v_dot2_f32_f16 v94, v116, v104, v94
	;;#ASMEND
	;; [unrolled: 3-line block ×5, first 2 shown]
	ds_load_b128 v[12:15], v37 offset:36944
	ds_load_b128 v[8:11], v89 offset:80
	;; [unrolled: 1-line block ×8, first 2 shown]
	s_waitcnt lgkmcnt(6)
	;;#ASMSTART
	v_dot2_f32_f16 v77, v12, v8, v77
	;;#ASMEND
	;;#ASMSTART
	v_dot2_f32_f16 v77, v13, v9, v77
	;;#ASMEND
	;;#ASMSTART
	v_dot2_f32_f16 v77, v14, v10, v77
	;;#ASMEND
	;;#ASMSTART
	v_dot2_f32_f16 v77, v15, v11, v77
	;;#ASMEND
	s_waitcnt lgkmcnt(5)
	;;#ASMSTART
	v_dot2_f32_f16 v79, v12, v0, v79
	;;#ASMEND
	;;#ASMSTART
	v_dot2_f32_f16 v79, v13, v1, v79
	;;#ASMEND
	;;#ASMSTART
	v_dot2_f32_f16 v79, v14, v2, v79
	;;#ASMEND
	;;#ASMSTART
	v_dot2_f32_f16 v79, v15, v3, v79
	;;#ASMEND
	;; [unrolled: 13-line block ×5, first 2 shown]
	;;#ASMSTART
	v_dot2_f32_f16 v96, v107, v0, v96
	;;#ASMEND
	;;#ASMSTART
	v_dot2_f32_f16 v96, v108, v1, v96
	;;#ASMEND
	;; [unrolled: 3-line block ×12, first 2 shown]
	s_waitcnt lgkmcnt(1)
	;;#ASMSTART
	v_dot2_f32_f16 v102, v111, v8, v102
	;;#ASMEND
	;;#ASMSTART
	v_dot2_f32_f16 v102, v112, v9, v102
	;;#ASMEND
	;; [unrolled: 3-line block ×16, first 2 shown]
	s_waitcnt lgkmcnt(0)
	;;#ASMSTART
	v_dot2_f32_f16 v84, v115, v8, v84
	;;#ASMEND
	;;#ASMSTART
	v_dot2_f32_f16 v84, v116, v9, v84
	;;#ASMEND
	;; [unrolled: 3-line block ×16, first 2 shown]
	ds_load_b128 v[0:3], v37 offset:36960
	ds_load_b128 v[4:7], v89 offset:96
	v_add3_u32 v119, 0x60, s20, v38
	s_lshl_b64 s[22:23], s[4:5], 2
	s_delay_alu instid0(SALU_CYCLE_1)
	s_add_u32 s4, s17, s22
	s_addc_u32 s20, s18, s23
	ds_load_b128 v[8:11], v119 offset:1152
	ds_load_b128 v[12:15], v119 offset:2304
	;; [unrolled: 1-line block ×6, first 2 shown]
	s_waitcnt lgkmcnt(6)
	;;#ASMSTART
	v_dot2_f32_f16 v77, v0, v4, v77
	;;#ASMEND
	;;#ASMSTART
	v_dot2_f32_f16 v77, v1, v5, v77
	;;#ASMEND
	;;#ASMSTART
	v_dot2_f32_f16 v77, v2, v6, v77
	;;#ASMEND
	;;#ASMSTART
	v_dot2_f32_f16 v77, v3, v7, v77
	;;#ASMEND
	s_waitcnt lgkmcnt(5)
	;;#ASMSTART
	v_dot2_f32_f16 v79, v0, v8, v79
	;;#ASMEND
	;;#ASMSTART
	v_dot2_f32_f16 v79, v1, v9, v79
	;;#ASMEND
	;;#ASMSTART
	v_dot2_f32_f16 v79, v2, v10, v79
	;;#ASMEND
	;;#ASMSTART
	v_dot2_f32_f16 v79, v3, v11, v79
	;;#ASMEND
	;; [unrolled: 13-line block ×5, first 2 shown]
	;;#ASMSTART
	v_dot2_f32_f16 v96, v107, v8, v96
	;;#ASMEND
	;;#ASMSTART
	v_dot2_f32_f16 v96, v108, v9, v96
	;;#ASMEND
	;; [unrolled: 3-line block ×12, first 2 shown]
	s_waitcnt lgkmcnt(1)
	;;#ASMSTART
	v_dot2_f32_f16 v102, v111, v4, v102
	;;#ASMEND
	;;#ASMSTART
	v_dot2_f32_f16 v102, v112, v5, v102
	;;#ASMEND
	;;#ASMSTART
	v_dot2_f32_f16 v102, v113, v6, v102
	;;#ASMEND
	;;#ASMSTART
	v_dot2_f32_f16 v102, v114, v7, v102
	;;#ASMEND
	;;#ASMSTART
	v_dot2_f32_f16 v101, v111, v8, v101
	;;#ASMEND
	;;#ASMSTART
	v_dot2_f32_f16 v101, v112, v9, v101
	;;#ASMEND
	;;#ASMSTART
	v_dot2_f32_f16 v101, v113, v10, v101
	;;#ASMEND
	;;#ASMSTART
	v_dot2_f32_f16 v101, v114, v11, v101
	;;#ASMEND
	;;#ASMSTART
	v_dot2_f32_f16 v100, v111, v12, v100
	;;#ASMEND
	;;#ASMSTART
	v_dot2_f32_f16 v100, v112, v13, v100
	;;#ASMEND
	;;#ASMSTART
	v_dot2_f32_f16 v100, v113, v14, v100
	;;#ASMEND
	;;#ASMSTART
	v_dot2_f32_f16 v100, v114, v15, v100
	;;#ASMEND
	;;#ASMSTART
	v_dot2_f32_f16 v99, v111, v103, v99
	;;#ASMEND
	;;#ASMSTART
	v_dot2_f32_f16 v99, v112, v104, v99
	;;#ASMEND
	;;#ASMSTART
	v_dot2_f32_f16 v99, v113, v105, v99
	;;#ASMEND
	;;#ASMSTART
	v_dot2_f32_f16 v99, v114, v106, v99
	;;#ASMEND
	s_waitcnt lgkmcnt(0)
	;;#ASMSTART
	v_dot2_f32_f16 v84, v115, v4, v84
	;;#ASMEND
	;;#ASMSTART
	v_dot2_f32_f16 v84, v116, v5, v84
	;;#ASMEND
	;; [unrolled: 3-line block ×16, first 2 shown]
	ds_load_b128 v[0:3], v37 offset:36976
	ds_load_b128 v[4:7], v89 offset:112
	;; [unrolled: 1-line block ×8, first 2 shown]
	s_waitcnt lgkmcnt(6)
	;;#ASMSTART
	v_dot2_f32_f16 v77, v0, v4, v77
	;;#ASMEND
	;;#ASMSTART
	v_dot2_f32_f16 v77, v1, v5, v77
	;;#ASMEND
	;;#ASMSTART
	v_dot2_f32_f16 v77, v2, v6, v77
	;;#ASMEND
	;;#ASMSTART
	v_dot2_f32_f16 v77, v3, v7, v77
	;;#ASMEND
	s_waitcnt lgkmcnt(5)
	;;#ASMSTART
	v_dot2_f32_f16 v79, v0, v8, v79
	;;#ASMEND
	;;#ASMSTART
	v_dot2_f32_f16 v79, v1, v9, v79
	;;#ASMEND
	;;#ASMSTART
	v_dot2_f32_f16 v79, v2, v10, v79
	;;#ASMEND
	;;#ASMSTART
	v_dot2_f32_f16 v79, v3, v11, v79
	;;#ASMEND
	;; [unrolled: 13-line block ×5, first 2 shown]
	;;#ASMSTART
	v_dot2_f32_f16 v96, v107, v8, v96
	;;#ASMEND
	;;#ASMSTART
	v_dot2_f32_f16 v96, v108, v9, v96
	;;#ASMEND
	;; [unrolled: 3-line block ×10, first 2 shown]
	v_add_co_u32 v120, vcc_lo, s4, v19
	;;#ASMSTART
	v_dot2_f32_f16 v83, v109, v105, v83
	;;#ASMEND
	;;#ASMSTART
	v_dot2_f32_f16 v83, v110, v106, v83
	;;#ASMEND
	s_waitcnt lgkmcnt(1)
	;;#ASMSTART
	v_dot2_f32_f16 v102, v111, v4, v102
	;;#ASMEND
	v_add_co_ci_u32_e32 v121, vcc_lo, s20, v20, vcc_lo
	;;#ASMSTART
	v_dot2_f32_f16 v102, v112, v5, v102
	;;#ASMEND
	v_add_co_u32 v122, vcc_lo, s4, v21
	;;#ASMSTART
	v_dot2_f32_f16 v102, v113, v6, v102
	;;#ASMEND
	;;#ASMSTART
	v_dot2_f32_f16 v102, v114, v7, v102
	;;#ASMEND
	;;#ASMSTART
	v_dot2_f32_f16 v101, v111, v8, v101
	;;#ASMEND
	v_add_co_ci_u32_e32 v123, vcc_lo, s20, v22, vcc_lo
	;;#ASMSTART
	v_dot2_f32_f16 v101, v112, v9, v101
	;;#ASMEND
	v_add_co_u32 v124, vcc_lo, s4, v23
	;;#ASMSTART
	v_dot2_f32_f16 v101, v113, v10, v101
	;;#ASMEND
	;;#ASMSTART
	v_dot2_f32_f16 v101, v114, v11, v101
	;;#ASMEND
	;; [unrolled: 14-line block ×4, first 2 shown]
	s_waitcnt lgkmcnt(0)
	;;#ASMSTART
	v_dot2_f32_f16 v84, v115, v4, v84
	;;#ASMEND
	v_add_co_ci_u32_e32 v120, vcc_lo, 0, v121, vcc_lo
	;;#ASMSTART
	v_dot2_f32_f16 v84, v116, v5, v84
	;;#ASMEND
	v_add_co_u32 v121, vcc_lo, v122, v45
	;;#ASMSTART
	v_dot2_f32_f16 v84, v117, v6, v84
	;;#ASMEND
	;;#ASMSTART
	v_dot2_f32_f16 v84, v118, v7, v84
	;;#ASMEND
	;;#ASMSTART
	v_dot2_f32_f16 v97, v115, v8, v97
	;;#ASMEND
	v_add_co_ci_u32_e32 v122, vcc_lo, 0, v123, vcc_lo
	;;#ASMSTART
	v_dot2_f32_f16 v97, v116, v9, v97
	;;#ASMEND
	v_add_co_u32 v123, vcc_lo, v124, v45
	;;#ASMSTART
	v_dot2_f32_f16 v97, v117, v10, v97
	;;#ASMEND
	;;#ASMSTART
	v_dot2_f32_f16 v97, v118, v11, v97
	;;#ASMEND
	;; [unrolled: 14-line block ×3, first 2 shown]
	;;#ASMSTART
	v_dot2_f32_f16 v94, v115, v103, v94
	;;#ASMEND
	v_add_co_ci_u32_e32 v126, vcc_lo, 0, v128, vcc_lo
	;;#ASMSTART
	v_dot2_f32_f16 v94, v116, v104, v94
	;;#ASMEND
	;;#ASMSTART
	v_dot2_f32_f16 v94, v117, v105, v94
	;;#ASMEND
	;; [unrolled: 3-line block ×3, first 2 shown]
	s_barrier
	buffer_gl0_inv
	s_clause 0x3
	global_load_b128 v[1:4], v[119:120], off
	global_load_b128 v[5:8], v[121:122], off
	;; [unrolled: 1-line block ×4, first 2 shown]
	s_lshl_b32 s4, s21, 1
	s_waitcnt vmcnt(3)
	ds_store_b128 v33, v[1:4]
	s_waitcnt vmcnt(2)
	ds_store_b128 v34, v[5:8]
	;; [unrolled: 2-line block ×4, first 2 shown]
	v_add_nc_u32_e32 v0, s4, v38
	s_waitcnt lgkmcnt(0)
	s_barrier
	buffer_gl0_inv
	ds_load_b128 v[1:4], v37 offset:36864
	ds_load_b128 v[5:8], v0
	ds_load_b128 v[9:12], v0 offset:1152
	ds_load_b128 v[103:106], v0 offset:2304
	ds_load_b128 v[107:110], v0 offset:3456
	ds_load_b128 v[111:114], v37 offset:41472
	ds_load_b128 v[115:118], v37 offset:46080
	ds_load_b128 v[119:122], v37 offset:50688
	s_waitcnt lgkmcnt(6)
	;;#ASMSTART
	v_dot2_f32_f16 v77, v1, v5, v77
	;;#ASMEND
	;;#ASMSTART
	v_dot2_f32_f16 v77, v2, v6, v77
	;;#ASMEND
	;;#ASMSTART
	v_dot2_f32_f16 v77, v3, v7, v77
	;;#ASMEND
	;;#ASMSTART
	v_dot2_f32_f16 v77, v4, v8, v77
	;;#ASMEND
	s_waitcnt lgkmcnt(5)
	;;#ASMSTART
	v_dot2_f32_f16 v79, v1, v9, v79
	;;#ASMEND
	;;#ASMSTART
	v_dot2_f32_f16 v79, v2, v10, v79
	;;#ASMEND
	;;#ASMSTART
	v_dot2_f32_f16 v79, v3, v11, v79
	;;#ASMEND
	;;#ASMSTART
	v_dot2_f32_f16 v79, v4, v12, v79
	;;#ASMEND
	;; [unrolled: 13-line block ×5, first 2 shown]
	;;#ASMSTART
	v_dot2_f32_f16 v96, v111, v9, v96
	;;#ASMEND
	;;#ASMSTART
	v_dot2_f32_f16 v96, v112, v10, v96
	;;#ASMEND
	;; [unrolled: 3-line block ×12, first 2 shown]
	s_waitcnt lgkmcnt(1)
	;;#ASMSTART
	v_dot2_f32_f16 v102, v115, v5, v102
	;;#ASMEND
	;;#ASMSTART
	v_dot2_f32_f16 v102, v116, v6, v102
	;;#ASMEND
	;; [unrolled: 3-line block ×16, first 2 shown]
	s_waitcnt lgkmcnt(0)
	;;#ASMSTART
	v_dot2_f32_f16 v84, v119, v5, v84
	;;#ASMEND
	;;#ASMSTART
	v_dot2_f32_f16 v84, v120, v6, v84
	;;#ASMEND
	;; [unrolled: 3-line block ×11, first 2 shown]
	v_add3_u32 v13, s4, 16, v38
	;;#ASMSTART
	v_dot2_f32_f16 v80, v122, v106, v80
	;;#ASMEND
	;;#ASMSTART
	v_dot2_f32_f16 v94, v119, v107, v94
	;;#ASMEND
	;; [unrolled: 3-line block ×5, first 2 shown]
	ds_load_b128 v[1:4], v37 offset:36880
	ds_load_b128 v[5:8], v0 offset:16
	ds_load_b128 v[9:12], v13 offset:1152
	ds_load_b128 v[103:106], v13 offset:2304
	ds_load_b128 v[107:110], v13 offset:3456
	ds_load_b128 v[111:114], v37 offset:41488
	ds_load_b128 v[115:118], v37 offset:46096
	ds_load_b128 v[119:122], v37 offset:50704
	s_waitcnt lgkmcnt(6)
	;;#ASMSTART
	v_dot2_f32_f16 v77, v1, v5, v77
	;;#ASMEND
	;;#ASMSTART
	v_dot2_f32_f16 v77, v2, v6, v77
	;;#ASMEND
	;;#ASMSTART
	v_dot2_f32_f16 v77, v3, v7, v77
	;;#ASMEND
	;;#ASMSTART
	v_dot2_f32_f16 v77, v4, v8, v77
	;;#ASMEND
	s_waitcnt lgkmcnt(5)
	;;#ASMSTART
	v_dot2_f32_f16 v79, v1, v9, v79
	;;#ASMEND
	;;#ASMSTART
	v_dot2_f32_f16 v79, v2, v10, v79
	;;#ASMEND
	;;#ASMSTART
	v_dot2_f32_f16 v79, v3, v11, v79
	;;#ASMEND
	;;#ASMSTART
	v_dot2_f32_f16 v79, v4, v12, v79
	;;#ASMEND
	s_waitcnt lgkmcnt(4)
	;;#ASMSTART
	v_dot2_f32_f16 v54, v1, v103, v54
	;;#ASMEND
	;;#ASMSTART
	v_dot2_f32_f16 v54, v2, v104, v54
	;;#ASMEND
	;;#ASMSTART
	v_dot2_f32_f16 v54, v3, v105, v54
	;;#ASMEND
	;;#ASMSTART
	v_dot2_f32_f16 v54, v4, v106, v54
	;;#ASMEND
	s_waitcnt lgkmcnt(3)
	;;#ASMSTART
	v_dot2_f32_f16 v78, v1, v107, v78
	;;#ASMEND
	;;#ASMSTART
	v_dot2_f32_f16 v78, v2, v108, v78
	;;#ASMEND
	;;#ASMSTART
	v_dot2_f32_f16 v78, v3, v109, v78
	;;#ASMEND
	;;#ASMSTART
	v_dot2_f32_f16 v78, v4, v110, v78
	;;#ASMEND
	s_waitcnt lgkmcnt(2)
	;;#ASMSTART
	v_dot2_f32_f16 v98, v111, v5, v98
	;;#ASMEND
	;;#ASMSTART
	v_dot2_f32_f16 v98, v112, v6, v98
	;;#ASMEND
	;;#ASMSTART
	v_dot2_f32_f16 v98, v113, v7, v98
	;;#ASMEND
	;;#ASMSTART
	v_dot2_f32_f16 v98, v114, v8, v98
	;;#ASMEND
	;;#ASMSTART
	v_dot2_f32_f16 v96, v111, v9, v96
	;;#ASMEND
	;;#ASMSTART
	v_dot2_f32_f16 v96, v112, v10, v96
	;;#ASMEND
	;;#ASMSTART
	v_dot2_f32_f16 v96, v113, v11, v96
	;;#ASMEND
	;;#ASMSTART
	v_dot2_f32_f16 v96, v114, v12, v96
	;;#ASMEND
	;;#ASMSTART
	v_dot2_f32_f16 v95, v111, v103, v95
	;;#ASMEND
	;;#ASMSTART
	v_dot2_f32_f16 v95, v112, v104, v95
	;;#ASMEND
	;;#ASMSTART
	v_dot2_f32_f16 v95, v113, v105, v95
	;;#ASMEND
	;;#ASMSTART
	v_dot2_f32_f16 v95, v114, v106, v95
	;;#ASMEND
	;;#ASMSTART
	v_dot2_f32_f16 v83, v111, v107, v83
	;;#ASMEND
	;;#ASMSTART
	v_dot2_f32_f16 v83, v112, v108, v83
	;;#ASMEND
	;;#ASMSTART
	v_dot2_f32_f16 v83, v113, v109, v83
	;;#ASMEND
	;;#ASMSTART
	v_dot2_f32_f16 v83, v114, v110, v83
	;;#ASMEND
	s_waitcnt lgkmcnt(1)
	;;#ASMSTART
	v_dot2_f32_f16 v102, v115, v5, v102
	;;#ASMEND
	;;#ASMSTART
	v_dot2_f32_f16 v102, v116, v6, v102
	;;#ASMEND
	;; [unrolled: 3-line block ×16, first 2 shown]
	s_waitcnt lgkmcnt(0)
	;;#ASMSTART
	v_dot2_f32_f16 v84, v119, v5, v84
	;;#ASMEND
	;;#ASMSTART
	v_dot2_f32_f16 v84, v120, v6, v84
	;;#ASMEND
	;; [unrolled: 3-line block ×11, first 2 shown]
	v_add3_u32 v13, s4, 32, v38
	;;#ASMSTART
	v_dot2_f32_f16 v80, v122, v106, v80
	;;#ASMEND
	;;#ASMSTART
	v_dot2_f32_f16 v94, v119, v107, v94
	;;#ASMEND
	;; [unrolled: 3-line block ×5, first 2 shown]
	ds_load_b128 v[1:4], v37 offset:36896
	ds_load_b128 v[5:8], v0 offset:32
	;; [unrolled: 1-line block ×8, first 2 shown]
	s_waitcnt lgkmcnt(6)
	;;#ASMSTART
	v_dot2_f32_f16 v77, v1, v5, v77
	;;#ASMEND
	;;#ASMSTART
	v_dot2_f32_f16 v77, v2, v6, v77
	;;#ASMEND
	;;#ASMSTART
	v_dot2_f32_f16 v77, v3, v7, v77
	;;#ASMEND
	;;#ASMSTART
	v_dot2_f32_f16 v77, v4, v8, v77
	;;#ASMEND
	s_waitcnt lgkmcnt(5)
	;;#ASMSTART
	v_dot2_f32_f16 v79, v1, v9, v79
	;;#ASMEND
	;;#ASMSTART
	v_dot2_f32_f16 v79, v2, v10, v79
	;;#ASMEND
	;;#ASMSTART
	v_dot2_f32_f16 v79, v3, v11, v79
	;;#ASMEND
	;;#ASMSTART
	v_dot2_f32_f16 v79, v4, v12, v79
	;;#ASMEND
	;; [unrolled: 13-line block ×5, first 2 shown]
	;;#ASMSTART
	v_dot2_f32_f16 v96, v111, v9, v96
	;;#ASMEND
	;;#ASMSTART
	v_dot2_f32_f16 v96, v112, v10, v96
	;;#ASMEND
	;; [unrolled: 3-line block ×12, first 2 shown]
	s_waitcnt lgkmcnt(1)
	;;#ASMSTART
	v_dot2_f32_f16 v102, v115, v5, v102
	;;#ASMEND
	;;#ASMSTART
	v_dot2_f32_f16 v102, v116, v6, v102
	;;#ASMEND
	;; [unrolled: 3-line block ×16, first 2 shown]
	s_waitcnt lgkmcnt(0)
	;;#ASMSTART
	v_dot2_f32_f16 v84, v119, v5, v84
	;;#ASMEND
	;;#ASMSTART
	v_dot2_f32_f16 v84, v120, v6, v84
	;;#ASMEND
	;; [unrolled: 3-line block ×11, first 2 shown]
	v_add3_u32 v13, s4, 48, v38
	;;#ASMSTART
	v_dot2_f32_f16 v80, v122, v106, v80
	;;#ASMEND
	;;#ASMSTART
	v_dot2_f32_f16 v94, v119, v107, v94
	;;#ASMEND
	;; [unrolled: 3-line block ×5, first 2 shown]
	ds_load_b128 v[1:4], v37 offset:36912
	ds_load_b128 v[5:8], v0 offset:48
	;; [unrolled: 1-line block ×8, first 2 shown]
	s_waitcnt lgkmcnt(6)
	;;#ASMSTART
	v_dot2_f32_f16 v77, v1, v5, v77
	;;#ASMEND
	;;#ASMSTART
	v_dot2_f32_f16 v77, v2, v6, v77
	;;#ASMEND
	;;#ASMSTART
	v_dot2_f32_f16 v77, v3, v7, v77
	;;#ASMEND
	;;#ASMSTART
	v_dot2_f32_f16 v77, v4, v8, v77
	;;#ASMEND
	s_waitcnt lgkmcnt(5)
	;;#ASMSTART
	v_dot2_f32_f16 v79, v1, v9, v79
	;;#ASMEND
	;;#ASMSTART
	v_dot2_f32_f16 v79, v2, v10, v79
	;;#ASMEND
	;;#ASMSTART
	v_dot2_f32_f16 v79, v3, v11, v79
	;;#ASMEND
	;;#ASMSTART
	v_dot2_f32_f16 v79, v4, v12, v79
	;;#ASMEND
	s_waitcnt lgkmcnt(4)
	;;#ASMSTART
	v_dot2_f32_f16 v54, v1, v103, v54
	;;#ASMEND
	;;#ASMSTART
	v_dot2_f32_f16 v54, v2, v104, v54
	;;#ASMEND
	;;#ASMSTART
	v_dot2_f32_f16 v54, v3, v105, v54
	;;#ASMEND
	;;#ASMSTART
	v_dot2_f32_f16 v54, v4, v106, v54
	;;#ASMEND
	s_waitcnt lgkmcnt(3)
	;;#ASMSTART
	v_dot2_f32_f16 v78, v1, v107, v78
	;;#ASMEND
	;;#ASMSTART
	v_dot2_f32_f16 v78, v2, v108, v78
	;;#ASMEND
	;;#ASMSTART
	v_dot2_f32_f16 v78, v3, v109, v78
	;;#ASMEND
	;;#ASMSTART
	v_dot2_f32_f16 v78, v4, v110, v78
	;;#ASMEND
	s_waitcnt lgkmcnt(2)
	;;#ASMSTART
	v_dot2_f32_f16 v98, v111, v5, v98
	;;#ASMEND
	;;#ASMSTART
	v_dot2_f32_f16 v98, v112, v6, v98
	;;#ASMEND
	;;#ASMSTART
	v_dot2_f32_f16 v98, v113, v7, v98
	;;#ASMEND
	;;#ASMSTART
	v_dot2_f32_f16 v98, v114, v8, v98
	;;#ASMEND
	;;#ASMSTART
	v_dot2_f32_f16 v96, v111, v9, v96
	;;#ASMEND
	;;#ASMSTART
	v_dot2_f32_f16 v96, v112, v10, v96
	;;#ASMEND
	;; [unrolled: 3-line block ×12, first 2 shown]
	s_waitcnt lgkmcnt(1)
	;;#ASMSTART
	v_dot2_f32_f16 v102, v115, v5, v102
	;;#ASMEND
	;;#ASMSTART
	v_dot2_f32_f16 v102, v116, v6, v102
	;;#ASMEND
	;;#ASMSTART
	v_dot2_f32_f16 v102, v117, v7, v102
	;;#ASMEND
	;;#ASMSTART
	v_dot2_f32_f16 v102, v118, v8, v102
	;;#ASMEND
	;;#ASMSTART
	v_dot2_f32_f16 v101, v115, v9, v101
	;;#ASMEND
	;;#ASMSTART
	v_dot2_f32_f16 v101, v116, v10, v101
	;;#ASMEND
	;;#ASMSTART
	v_dot2_f32_f16 v101, v117, v11, v101
	;;#ASMEND
	;;#ASMSTART
	v_dot2_f32_f16 v101, v118, v12, v101
	;;#ASMEND
	;;#ASMSTART
	v_dot2_f32_f16 v100, v115, v103, v100
	;;#ASMEND
	;;#ASMSTART
	v_dot2_f32_f16 v100, v116, v104, v100
	;;#ASMEND
	;;#ASMSTART
	v_dot2_f32_f16 v100, v117, v105, v100
	;;#ASMEND
	;;#ASMSTART
	v_dot2_f32_f16 v100, v118, v106, v100
	;;#ASMEND
	;;#ASMSTART
	v_dot2_f32_f16 v99, v115, v107, v99
	;;#ASMEND
	;;#ASMSTART
	v_dot2_f32_f16 v99, v116, v108, v99
	;;#ASMEND
	;;#ASMSTART
	v_dot2_f32_f16 v99, v117, v109, v99
	;;#ASMEND
	;;#ASMSTART
	v_dot2_f32_f16 v99, v118, v110, v99
	;;#ASMEND
	s_waitcnt lgkmcnt(0)
	;;#ASMSTART
	v_dot2_f32_f16 v84, v119, v5, v84
	;;#ASMEND
	;;#ASMSTART
	v_dot2_f32_f16 v84, v120, v6, v84
	;;#ASMEND
	;; [unrolled: 3-line block ×11, first 2 shown]
	v_add3_u32 v13, s4, 64, v38
	;;#ASMSTART
	v_dot2_f32_f16 v80, v122, v106, v80
	;;#ASMEND
	;;#ASMSTART
	v_dot2_f32_f16 v94, v119, v107, v94
	;;#ASMEND
	;; [unrolled: 3-line block ×5, first 2 shown]
	ds_load_b128 v[1:4], v37 offset:36928
	ds_load_b128 v[5:8], v0 offset:64
	;; [unrolled: 1-line block ×8, first 2 shown]
	s_waitcnt lgkmcnt(6)
	;;#ASMSTART
	v_dot2_f32_f16 v77, v1, v5, v77
	;;#ASMEND
	;;#ASMSTART
	v_dot2_f32_f16 v77, v2, v6, v77
	;;#ASMEND
	;;#ASMSTART
	v_dot2_f32_f16 v77, v3, v7, v77
	;;#ASMEND
	;;#ASMSTART
	v_dot2_f32_f16 v77, v4, v8, v77
	;;#ASMEND
	s_waitcnt lgkmcnt(5)
	;;#ASMSTART
	v_dot2_f32_f16 v79, v1, v9, v79
	;;#ASMEND
	;;#ASMSTART
	v_dot2_f32_f16 v79, v2, v10, v79
	;;#ASMEND
	;;#ASMSTART
	v_dot2_f32_f16 v79, v3, v11, v79
	;;#ASMEND
	;;#ASMSTART
	v_dot2_f32_f16 v79, v4, v12, v79
	;;#ASMEND
	;; [unrolled: 13-line block ×5, first 2 shown]
	;;#ASMSTART
	v_dot2_f32_f16 v96, v111, v9, v96
	;;#ASMEND
	;;#ASMSTART
	v_dot2_f32_f16 v96, v112, v10, v96
	;;#ASMEND
	;; [unrolled: 3-line block ×12, first 2 shown]
	s_waitcnt lgkmcnt(1)
	;;#ASMSTART
	v_dot2_f32_f16 v102, v115, v5, v102
	;;#ASMEND
	;;#ASMSTART
	v_dot2_f32_f16 v102, v116, v6, v102
	;;#ASMEND
	;; [unrolled: 3-line block ×16, first 2 shown]
	s_waitcnt lgkmcnt(0)
	;;#ASMSTART
	v_dot2_f32_f16 v84, v119, v5, v84
	;;#ASMEND
	;;#ASMSTART
	v_dot2_f32_f16 v84, v120, v6, v84
	;;#ASMEND
	;; [unrolled: 3-line block ×11, first 2 shown]
	v_add3_u32 v13, 0x50, s4, v38
	;;#ASMSTART
	v_dot2_f32_f16 v80, v122, v106, v80
	;;#ASMEND
	;;#ASMSTART
	v_dot2_f32_f16 v94, v119, v107, v94
	;;#ASMEND
	;; [unrolled: 3-line block ×5, first 2 shown]
	ds_load_b128 v[1:4], v37 offset:36944
	ds_load_b128 v[5:8], v0 offset:80
	;; [unrolled: 1-line block ×8, first 2 shown]
	s_waitcnt lgkmcnt(6)
	;;#ASMSTART
	v_dot2_f32_f16 v77, v1, v5, v77
	;;#ASMEND
	;;#ASMSTART
	v_dot2_f32_f16 v77, v2, v6, v77
	;;#ASMEND
	;;#ASMSTART
	v_dot2_f32_f16 v77, v3, v7, v77
	;;#ASMEND
	;;#ASMSTART
	v_dot2_f32_f16 v77, v4, v8, v77
	;;#ASMEND
	s_waitcnt lgkmcnt(5)
	;;#ASMSTART
	v_dot2_f32_f16 v79, v1, v9, v79
	;;#ASMEND
	;;#ASMSTART
	v_dot2_f32_f16 v79, v2, v10, v79
	;;#ASMEND
	;;#ASMSTART
	v_dot2_f32_f16 v79, v3, v11, v79
	;;#ASMEND
	;;#ASMSTART
	v_dot2_f32_f16 v79, v4, v12, v79
	;;#ASMEND
	;; [unrolled: 13-line block ×5, first 2 shown]
	;;#ASMSTART
	v_dot2_f32_f16 v96, v111, v9, v96
	;;#ASMEND
	;;#ASMSTART
	v_dot2_f32_f16 v96, v112, v10, v96
	;;#ASMEND
	;; [unrolled: 3-line block ×12, first 2 shown]
	s_waitcnt lgkmcnt(1)
	;;#ASMSTART
	v_dot2_f32_f16 v102, v115, v5, v102
	;;#ASMEND
	;;#ASMSTART
	v_dot2_f32_f16 v102, v116, v6, v102
	;;#ASMEND
	;; [unrolled: 3-line block ×16, first 2 shown]
	s_waitcnt lgkmcnt(0)
	;;#ASMSTART
	v_dot2_f32_f16 v84, v119, v5, v84
	;;#ASMEND
	;;#ASMSTART
	v_dot2_f32_f16 v84, v120, v6, v84
	;;#ASMEND
	;; [unrolled: 3-line block ×11, first 2 shown]
	v_add3_u32 v13, 0x60, s4, v38
	;;#ASMSTART
	v_dot2_f32_f16 v80, v122, v106, v80
	;;#ASMEND
	;;#ASMSTART
	v_dot2_f32_f16 v94, v119, v107, v94
	;;#ASMEND
	;; [unrolled: 3-line block ×5, first 2 shown]
	ds_load_b128 v[1:4], v37 offset:36960
	ds_load_b128 v[5:8], v0 offset:96
	;; [unrolled: 1-line block ×8, first 2 shown]
	s_waitcnt lgkmcnt(6)
	;;#ASMSTART
	v_dot2_f32_f16 v77, v1, v5, v77
	;;#ASMEND
	;;#ASMSTART
	v_dot2_f32_f16 v77, v2, v6, v77
	;;#ASMEND
	;;#ASMSTART
	v_dot2_f32_f16 v77, v3, v7, v77
	;;#ASMEND
	;;#ASMSTART
	v_dot2_f32_f16 v77, v4, v8, v77
	;;#ASMEND
	s_waitcnt lgkmcnt(5)
	;;#ASMSTART
	v_dot2_f32_f16 v79, v1, v9, v79
	;;#ASMEND
	;;#ASMSTART
	v_dot2_f32_f16 v79, v2, v10, v79
	;;#ASMEND
	;;#ASMSTART
	v_dot2_f32_f16 v79, v3, v11, v79
	;;#ASMEND
	;;#ASMSTART
	v_dot2_f32_f16 v79, v4, v12, v79
	;;#ASMEND
	;; [unrolled: 13-line block ×5, first 2 shown]
	;;#ASMSTART
	v_dot2_f32_f16 v96, v111, v9, v96
	;;#ASMEND
	;;#ASMSTART
	v_dot2_f32_f16 v96, v112, v10, v96
	;;#ASMEND
	;; [unrolled: 3-line block ×12, first 2 shown]
	s_waitcnt lgkmcnt(1)
	;;#ASMSTART
	v_dot2_f32_f16 v102, v115, v5, v102
	;;#ASMEND
	;;#ASMSTART
	v_dot2_f32_f16 v102, v116, v6, v102
	;;#ASMEND
	;; [unrolled: 3-line block ×16, first 2 shown]
	s_waitcnt lgkmcnt(0)
	;;#ASMSTART
	v_dot2_f32_f16 v84, v119, v5, v84
	;;#ASMEND
	;;#ASMSTART
	v_dot2_f32_f16 v84, v120, v6, v84
	;;#ASMEND
	;; [unrolled: 3-line block ×11, first 2 shown]
	v_add3_u32 v13, 0x70, s4, v38
	;;#ASMSTART
	v_dot2_f32_f16 v80, v122, v106, v80
	;;#ASMEND
	;;#ASMSTART
	v_dot2_f32_f16 v94, v119, v107, v94
	;;#ASMEND
	;; [unrolled: 3-line block ×5, first 2 shown]
	ds_load_b128 v[1:4], v37 offset:36976
	ds_load_b128 v[5:8], v0 offset:112
	;; [unrolled: 1-line block ×8, first 2 shown]
	s_waitcnt lgkmcnt(6)
	;;#ASMSTART
	v_dot2_f32_f16 v77, v1, v5, v77
	;;#ASMEND
	;;#ASMSTART
	v_dot2_f32_f16 v77, v2, v6, v77
	;;#ASMEND
	;;#ASMSTART
	v_dot2_f32_f16 v77, v3, v7, v77
	;;#ASMEND
	;;#ASMSTART
	v_dot2_f32_f16 v77, v4, v8, v77
	;;#ASMEND
	s_waitcnt lgkmcnt(5)
	;;#ASMSTART
	v_dot2_f32_f16 v79, v1, v9, v79
	;;#ASMEND
	;;#ASMSTART
	v_dot2_f32_f16 v79, v2, v10, v79
	;;#ASMEND
	;;#ASMSTART
	v_dot2_f32_f16 v79, v3, v11, v79
	;;#ASMEND
	;;#ASMSTART
	v_dot2_f32_f16 v79, v4, v12, v79
	;;#ASMEND
	;; [unrolled: 13-line block ×5, first 2 shown]
	;;#ASMSTART
	v_dot2_f32_f16 v96, v111, v9, v96
	;;#ASMEND
	;;#ASMSTART
	v_dot2_f32_f16 v96, v112, v10, v96
	;;#ASMEND
	;; [unrolled: 3-line block ×12, first 2 shown]
	s_waitcnt lgkmcnt(1)
	;;#ASMSTART
	v_dot2_f32_f16 v102, v115, v5, v102
	;;#ASMEND
	;;#ASMSTART
	v_dot2_f32_f16 v102, v116, v6, v102
	;;#ASMEND
	;; [unrolled: 3-line block ×16, first 2 shown]
	s_waitcnt lgkmcnt(0)
	;;#ASMSTART
	v_dot2_f32_f16 v84, v119, v5, v84
	;;#ASMEND
	;;#ASMSTART
	v_dot2_f32_f16 v84, v120, v6, v84
	;;#ASMEND
	;; [unrolled: 3-line block ×7, first 2 shown]
	s_cmpk_gt_u32 s19, 0x17f
	;;#ASMSTART
	v_dot2_f32_f16 v97, v122, v12, v97
	;;#ASMEND
	;;#ASMSTART
	v_dot2_f32_f16 v80, v119, v103, v80
	;;#ASMEND
	;; [unrolled: 3-line block ×3, first 2 shown]
	s_cselect_b32 s4, -1, 0
	;;#ASMSTART
	v_dot2_f32_f16 v80, v121, v105, v80
	;;#ASMEND
	;;#ASMSTART
	v_dot2_f32_f16 v80, v122, v106, v80
	;;#ASMEND
	;; [unrolled: 3-line block ×3, first 2 shown]
	s_and_b32 vcc_lo, exec_lo, s4
	;;#ASMSTART
	v_dot2_f32_f16 v94, v120, v108, v94
	;;#ASMEND
	;;#ASMSTART
	v_dot2_f32_f16 v94, v121, v109, v94
	;;#ASMEND
	;; [unrolled: 3-line block ×3, first 2 shown]
	s_cbranch_vccnz .LBB9_18
; %bb.20:                               ;   in Loop: Header=BB9_19 Depth=2
	s_barrier
	buffer_gl0_inv
	s_branch .LBB9_18
.LBB9_21:                               ;   in Loop: Header=BB9_17 Depth=1
	v_xor_b32_e32 v12, 16, v32
	v_add_nc_u32_e32 v0, s13, v18
	s_mul_hi_i32 s19, s13, s10
	s_mul_i32 s18, s13, s10
	s_delay_alu instid0(SALU_CYCLE_1) | instskip(NEXT) | instid1(VALU_DEP_1)
	s_lshl_b64 s[18:19], s[18:19], 2
	v_ashrrev_i32_e32 v1, 31, v0
	s_add_u32 s4, s11, s18
	s_addc_u32 s17, s16, s19
	s_delay_alu instid0(VALU_DEP_1) | instskip(NEXT) | instid1(VALU_DEP_1)
	v_lshlrev_b64 v[0:1], 1, v[0:1]
	v_add_co_u32 v3, vcc_lo, s36, v0
	s_delay_alu instid0(VALU_DEP_2)
	v_add_co_ci_u32_e32 v4, vcc_lo, s37, v1, vcc_lo
	s_clause 0x3
	flat_load_u16 v0, v[3:4] offset:64
	flat_load_u16 v2, v[3:4] offset:128
	flat_load_u16 v1, v[3:4]
	flat_load_u16 v3, v[3:4] offset:192
	v_add_co_u32 v4, vcc_lo, s4, v27
	v_add_co_ci_u32_e32 v5, vcc_lo, s17, v28, vcc_lo
	s_waitcnt vmcnt(0) lgkmcnt(0)
	s_barrier
	buffer_gl0_inv
	v_cvt_f32_f16_e32 v0, v0
	v_lshlrev_b32_e32 v89, 2, v31
	v_cvt_f32_f16_e32 v2, v2
	v_cvt_f32_f16_e32 v1, v1
	;; [unrolled: 1-line block ×3, first 2 shown]
	v_add_f32_e32 v98, v98, v0
	v_add_co_u32 v8, vcc_lo, v4, v89
	v_add_co_ci_u32_e32 v9, vcc_lo, 0, v5, vcc_lo
	v_cmp_gt_i32_e32 vcc_lo, 32, v12
	s_clause 0x1
	global_load_b128 v[4:7], v[8:9], off
	global_load_b128 v[8:11], v[8:9], off offset:512
	v_dual_add_f32 v100, v100, v2 :: v_dual_add_f32 v105, v83, v0
	v_cndmask_b32_e32 v13, v32, v12, vcc_lo
	v_dual_add_f32 v107, v77, v1 :: v_dual_add_f32 v112, v94, v3
	v_dual_add_f32 v102, v102, v2 :: v_dual_add_f32 v103, v96, v0
	v_add_f32_e32 v106, v79, v1
	s_delay_alu instid0(VALU_DEP_4) | instskip(SKIP_4) | instid1(VALU_DEP_4)
	v_lshlrev_b32_e32 v13, 2, v13
	v_dual_add_f32 v101, v101, v2 :: v_dual_add_f32 v104, v95, v0
	v_dual_add_f32 v99, v99, v2 :: v_dual_add_f32 v108, v97, v3
	v_dual_add_f32 v109, v84, v3 :: v_dual_add_f32 v110, v78, v1
	v_dual_add_f32 v111, v54, v1 :: v_dual_add_f32 v0, 0x40051340, v98
	v_dual_add_f32 v113, v80, v3 :: v_dual_add_f32 v2, 0x40051340, v104
	v_dual_add_f32 v3, 0x40051340, v105 :: v_dual_add_f32 v14, 0x40051340, v107
	v_dual_add_f32 v1, 0x40051340, v103 :: v_dual_add_f32 v54, 0x40051340, v102
	v_dual_add_f32 v15, 0x40051340, v106 :: v_dual_add_f32 v78, 0x40051340, v109
	v_dual_add_f32 v77, 0x40051340, v101 :: v_dual_add_f32 v80, 0x40051340, v111
	v_dual_add_f32 v83, 0x40051340, v110 :: v_dual_add_f32 v84, 0x40051340, v100
	v_max3_f32 v0, v90, v14, v0
	v_dual_add_f32 v79, 0x40051340, v108 :: v_dual_add_f32 v94, 0x40051340, v99
	v_dual_add_f32 v95, 0x40051340, v113 :: v_dual_add_f32 v14, 0x40051340, v112
	s_delay_alu instid0(VALU_DEP_4) | instskip(SKIP_3) | instid1(VALU_DEP_4)
	v_max3_f32 v3, v91, v83, v3
	v_max3_f32 v2, v92, v80, v2
	;; [unrolled: 1-line block ×5, first 2 shown]
	s_delay_alu instid0(VALU_DEP_4)
	v_max3_f32 v2, v2, v84, v95
	ds_bpermute_b32 v14, v13, v0
	v_max3_f32 v1, v1, v77, v79
	ds_bpermute_b32 v54, v13, v3
	ds_bpermute_b32 v77, v13, v2
	;; [unrolled: 1-line block ×3, first 2 shown]
	v_xor_b32_e32 v13, 8, v32
	s_delay_alu instid0(VALU_DEP_1) | instskip(SKIP_3) | instid1(VALU_DEP_1)
	v_cmp_gt_i32_e32 vcc_lo, 32, v13
	v_cndmask_b32_e32 v78, v32, v13, vcc_lo
	s_waitcnt lgkmcnt(1)
	v_dual_max_f32 v14, v14, v14 :: v_dual_max_f32 v77, v77, v77
	v_max_f32_e32 v0, v0, v14
	v_xor_b32_e32 v14, 4, v32
	s_waitcnt lgkmcnt(0)
	v_dual_max_f32 v15, v15, v15 :: v_dual_lshlrev_b32 v78, 2, v78
	v_max_f32_e32 v2, v2, v77
	s_delay_alu instid0(VALU_DEP_3) | instskip(NEXT) | instid1(VALU_DEP_3)
	v_cmp_gt_i32_e32 vcc_lo, 32, v14
	v_max_f32_e32 v1, v1, v15
	v_cndmask_b32_e32 v79, v32, v14, vcc_lo
	s_delay_alu instid0(VALU_DEP_1) | instskip(SKIP_3) | instid1(VALU_DEP_1)
	v_lshlrev_b32_e32 v79, 2, v79
	ds_bpermute_b32 v15, v78, v0
	s_waitcnt lgkmcnt(0)
	v_dual_max_f32 v54, v54, v54 :: v_dual_max_f32 v15, v15, v15
	v_max_f32_e32 v3, v3, v54
	ds_bpermute_b32 v54, v78, v1
	ds_bpermute_b32 v77, v78, v3
	;; [unrolled: 1-line block ×3, first 2 shown]
	s_waitcnt lgkmcnt(1)
	v_dual_max_f32 v54, v54, v54 :: v_dual_max_f32 v77, v77, v77
	s_delay_alu instid0(VALU_DEP_1)
	v_dual_max_f32 v0, v0, v15 :: v_dual_max_f32 v1, v1, v54
	s_waitcnt lgkmcnt(0)
	v_max_f32_e32 v78, v78, v78
	v_xor_b32_e32 v15, 2, v32
	v_max_f32_e32 v3, v3, v77
	ds_bpermute_b32 v54, v79, v0
	ds_bpermute_b32 v77, v79, v1
	v_max_f32_e32 v2, v2, v78
	v_cmp_gt_i32_e32 vcc_lo, 32, v15
	ds_bpermute_b32 v78, v79, v3
	s_waitcnt lgkmcnt(1)
	v_max_f32_e32 v77, v77, v77
	ds_bpermute_b32 v79, v79, v2
	v_max_f32_e32 v54, v54, v54
	v_dual_cndmask_b32 v80, v32, v15 :: v_dual_max_f32 v1, v1, v77
	s_waitcnt lgkmcnt(0)
	s_delay_alu instid0(VALU_DEP_1) | instskip(NEXT) | instid1(VALU_DEP_3)
	v_dual_max_f32 v79, v79, v79 :: v_dual_lshlrev_b32 v80, 2, v80
	v_max_f32_e32 v0, v0, v54
	v_xor_b32_e32 v54, 1, v32
	s_delay_alu instid0(VALU_DEP_3) | instskip(NEXT) | instid1(VALU_DEP_2)
	v_max_f32_e32 v2, v2, v79
	v_cmp_gt_i32_e32 vcc_lo, 32, v54
	v_cndmask_b32_e32 v83, v32, v54, vcc_lo
	s_delay_alu instid0(VALU_DEP_1) | instskip(SKIP_3) | instid1(VALU_DEP_1)
	v_lshlrev_b32_e32 v83, 2, v83
	ds_bpermute_b32 v77, v80, v0
	s_waitcnt lgkmcnt(0)
	v_dual_max_f32 v78, v78, v78 :: v_dual_max_f32 v77, v77, v77
	v_max_f32_e32 v3, v3, v78
	ds_bpermute_b32 v78, v80, v1
	ds_bpermute_b32 v79, v80, v3
	;; [unrolled: 1-line block ×3, first 2 shown]
	s_waitcnt lgkmcnt(1)
	v_dual_max_f32 v78, v78, v78 :: v_dual_max_f32 v79, v79, v79
	v_max_f32_e32 v114, v0, v77
	v_add_co_u32 v0, vcc_lo, s4, v29
	s_waitcnt lgkmcnt(0)
	s_delay_alu instid0(VALU_DEP_3)
	v_dual_max_f32 v80, v80, v80 :: v_dual_max_f32 v115, v1, v78
	v_max_f32_e32 v3, v3, v79
	ds_bpermute_b32 v77, v83, v114
	v_add_co_ci_u32_e32 v1, vcc_lo, s17, v30, vcc_lo
	v_add_co_u32 v0, vcc_lo, v0, v89
	v_max_f32_e32 v2, v2, v80
	s_delay_alu instid0(VALU_DEP_3)
	v_add_co_ci_u32_e32 v1, vcc_lo, 0, v1, vcc_lo
	v_add_nc_u32_e32 v119, v39, v40
	ds_bpermute_b32 v116, v83, v115
	ds_bpermute_b32 v117, v83, v3
	;; [unrolled: 1-line block ×3, first 2 shown]
	v_add_nc_u32_e32 v84, 0x9000, v40
	v_add_nc_u32_e32 v83, 0x9800, v40
	s_or_b32 s4, s13, 16
	s_delay_alu instid0(SALU_CYCLE_1) | instskip(SKIP_1) | instid1(SALU_CYCLE_1)
	s_mul_hi_i32 s19, s4, s10
	s_mul_i32 s18, s4, s10
	s_lshl_b64 s[18:19], s[18:19], 2
	s_waitcnt lgkmcnt(3)
	v_max_f32_e32 v120, v77, v77
	s_clause 0x1
	global_load_b128 v[77:80], v[0:1], off
	global_load_b128 v[94:97], v[0:1], off offset:512
	s_add_u32 s4, s11, s18
	s_addc_u32 s17, s16, s19
	s_waitcnt vmcnt(3)
	ds_store_b128 v41, v[4:7]
	s_waitcnt vmcnt(2)
	ds_store_b128 v42, v[8:11]
	s_waitcnt lgkmcnt(3)
	v_dual_max_f32 v1, v116, v116 :: v_dual_max_f32 v116, v117, v117
	s_waitcnt lgkmcnt(2)
	v_max_f32_e32 v117, v118, v118
	s_delay_alu instid0(VALU_DEP_1) | instskip(NEXT) | instid1(VALU_DEP_3)
	v_max_f32_e32 v2, v2, v117
	v_dual_max_f32 v0, v114, v120 :: v_dual_max_f32 v1, v115, v1
	s_delay_alu instid0(VALU_DEP_2) | instskip(NEXT) | instid1(VALU_DEP_2)
	v_dual_max_f32 v3, v3, v116 :: v_dual_sub_f32 v92, v92, v2
	v_dual_sub_f32 v4, v90, v0 :: v_dual_sub_f32 v11, v103, v1
	v_dual_sub_f32 v5, v98, v0 :: v_dual_sub_f32 v90, v101, v1
	;; [unrolled: 1-line block ×6, first 2 shown]
	v_sub_f32_e32 v91, v91, v3
	v_sub_f32_e32 v102, v110, v3
	s_delay_alu instid0(VALU_DEP_4)
	v_dual_sub_f32 v104, v105, v3 :: v_dual_mul_f32 v109, 0x3fb8aa3b, v8
	v_dual_sub_f32 v105, v112, v3 :: v_dual_mul_f32 v108, 0x3fb8aa3b, v6
	v_dual_mul_f32 v107, 0x3fb8aa3b, v7 :: v_dual_mul_f32 v110, 0x3fb8aa3b, v9
	v_dual_mul_f32 v111, 0x3fb8aa3b, v4 :: v_dual_mul_f32 v112, 0x3fb8aa3b, v11
	;; [unrolled: 1-line block ×3, first 2 shown]
	v_dual_sub_f32 v100, v100, v2 :: v_dual_sub_f32 v99, v99, v3
	v_mul_f32_e32 v117, 0x3fb8aa3b, v102
	v_rndne_f32_e32 v130, v107
	v_mul_f32_e32 v126, 0x3fb8aa3b, v91
	v_fma_f32 v139, 0x3fb8aa3b, v11, -v112
	v_fma_f32 v151, 0x3fb8aa3b, v101, -v118
	v_rndne_f32_e32 v152, v118
	v_dual_sub_f32 v103, v113, v2 :: v_dual_mul_f32 v106, 0x3fb8aa3b, v5
	v_mul_f32_e32 v120, 0x3fb8aa3b, v100
	v_fma_f32 v129, 0x3fb8aa3b, v7, -v107
	v_rndne_f32_e32 v150, v117
	v_sub_f32_e32 v107, v107, v130
	v_rndne_f32_e32 v166, v126
	v_dual_fmac_f32 v139, 0x32a5705f, v11 :: v_dual_sub_f32 v118, v118, v152
	v_fmac_f32_e32 v151, 0x32a5705f, v101
	v_dual_mul_f32 v113, 0x3fb8aa3b, v90 :: v_dual_mul_f32 v114, 0x3fb8aa3b, v93
	v_fma_f32 v127, 0x3fb8aa3b, v5, -v106
	v_rndne_f32_e32 v128, v106
	v_fma_f32 v149, 0x3fb8aa3b, v102, -v117
	v_fma_f32 v165, 0x3fb8aa3b, v91, -v126
	v_sub_f32_e32 v126, v126, v166
	v_dual_sub_f32 v117, v117, v150 :: v_dual_add_f32 v118, v118, v151
	v_fma_f32 v141, 0x3fb8aa3b, v90, -v113
	v_dual_fmac_f32 v127, 0x32a5705f, v5 :: v_dual_sub_f32 v106, v106, v128
	v_fma_f32 v131, 0x3fb8aa3b, v6, -v108
	s_delay_alu instid0(VALU_DEP_4)
	v_exp_f32_e32 v118, v118
	v_rndne_f32_e32 v132, v108
	v_fmac_f32_e32 v129, 0x32a5705f, v7
	v_dual_fmac_f32 v141, 0x32a5705f, v90 :: v_dual_add_f32 v106, v106, v127
	v_cvt_i32_f32_e32 v152, v152
	v_rndne_f32_e32 v136, v110
	v_rndne_f32_e32 v142, v113
	v_dual_fmac_f32 v131, 0x32a5705f, v6 :: v_dual_sub_f32 v108, v108, v132
	v_exp_f32_e32 v106, v106
	s_delay_alu instid0(TRANS32_DEP_2)
	v_ldexp_f32 v118, v118, v152
	v_add_f32_e32 v107, v107, v129
	v_dual_mul_f32 v123, 0x3fb8aa3b, v104 :: v_dual_mul_f32 v124, 0x3fb8aa3b, v99
	v_fma_f32 v135, 0x3fb8aa3b, v9, -v110
	v_cvt_i32_f32_e32 v128, v128
	v_dual_sub_f32 v110, v110, v136 :: v_dual_sub_f32 v113, v113, v142
	v_add_f32_e32 v108, v108, v131
	v_exp_f32_e32 v107, v107
	v_fma_f32 v133, 0x3fb8aa3b, v8, -v109
	v_rndne_f32_e32 v134, v109
	v_fma_f32 v159, 0x3fb8aa3b, v104, -v123
	v_cvt_i32_f32_e32 v130, v130
	v_exp_f32_e32 v108, v108
	v_ldexp_f32 v106, v106, v128
	v_cmp_ngt_f32_e32 vcc_lo, 0xc2ce8ed0, v5
	v_dual_mul_f32 v116, 0x3fb8aa3b, v98 :: v_dual_mul_f32 v121, 0x3fb8aa3b, v103
	v_rndne_f32_e32 v140, v112
	v_fma_f32 v143, 0x3fb8aa3b, v93, -v114
	v_rndne_f32_e32 v154, v120
	v_fma_f32 v161, 0x3fb8aa3b, v99, -v124
	v_rndne_f32_e32 v162, v124
	v_cvt_i32_f32_e32 v132, v132
	v_fmac_f32_e32 v133, 0x32a5705f, v8
	v_dual_sub_f32 v109, v109, v134 :: v_dual_sub_f32 v112, v112, v140
	v_dual_fmac_f32 v159, 0x32a5705f, v104 :: v_dual_cndmask_b32 v106, 0, v106
	v_ldexp_f32 v107, v107, v130
	v_cmp_ngt_f32_e32 vcc_lo, 0xc2ce8ed0, v7
	v_dual_mul_f32 v122, 0x3fb8aa3b, v92 :: v_dual_mul_f32 v125, 0x3fb8aa3b, v105
	v_fma_f32 v137, 0x3fb8aa3b, v4, -v111
	v_rndne_f32_e32 v138, v111
	v_rndne_f32_e32 v144, v114
	v_fma_f32 v145, 0x3fb8aa3b, v10, -v115
	v_fma_f32 v153, 0x3fb8aa3b, v100, -v120
	v_rndne_f32_e32 v156, v121
	s_delay_alu instid0(VALU_DEP_4)
	v_dual_fmac_f32 v135, 0x32a5705f, v9 :: v_dual_sub_f32 v114, v114, v144
	v_dual_fmac_f32 v143, 0x32a5705f, v93 :: v_dual_sub_f32 v124, v124, v162
	v_dual_sub_f32 v120, v120, v154 :: v_dual_add_f32 v109, v109, v133
	v_ldexp_f32 v108, v108, v132
	v_cndmask_b32_e32 v107, 0, v107, vcc_lo
	v_cmp_ngt_f32_e32 vcc_lo, 0xc2ce8ed0, v6
	v_fmac_f32_e32 v161, 0x32a5705f, v99
	v_rndne_f32_e32 v148, v116
	v_fma_f32 v155, 0x3fb8aa3b, v103, -v121
	v_rndne_f32_e32 v158, v122
	v_cndmask_b32_e32 v108, 0, v108, vcc_lo
	v_fmac_f32_e32 v137, 0x32a5705f, v4
	v_sub_f32_e32 v111, v111, v138
	v_dual_fmac_f32 v145, 0x32a5705f, v10 :: v_dual_add_f32 v110, v110, v135
	v_dual_sub_f32 v121, v121, v156 :: v_dual_add_f32 v124, v124, v161
	v_exp_f32_e32 v109, v109
	v_rndne_f32_e32 v146, v115
	v_fma_f32 v147, 0x3fb8aa3b, v98, -v116
	v_fma_f32 v157, 0x3fb8aa3b, v92, -v122
	v_cvt_i32_f32_e32 v134, v134
	v_sub_f32_e32 v116, v116, v148
	v_dual_sub_f32 v122, v122, v158 :: v_dual_add_f32 v111, v111, v137
	v_exp_f32_e32 v110, v110
	v_exp_f32_e32 v124, v124
	v_cvt_i32_f32_e32 v136, v136
	v_dual_sub_f32 v115, v115, v146 :: v_dual_add_f32 v112, v112, v139
	v_cvt_i32_f32_e32 v162, v162
	v_exp_f32_e32 v111, v111
	v_ldexp_f32 v109, v109, v134
	v_cmp_ngt_f32_e32 vcc_lo, 0xc2ce8ed0, v8
	v_rndne_f32_e32 v160, v123
	v_cvt_i32_f32_e32 v138, v138
	v_exp_f32_e32 v112, v112
	v_ldexp_f32 v110, v110, v136
	v_ldexp_f32 v124, v124, v162
	v_add_f32_e32 v113, v113, v141
	v_cndmask_b32_e32 v109, 0, v109, vcc_lo
	v_cmp_ngt_f32_e32 vcc_lo, 0xc2ce8ed0, v9
	v_cvt_i32_f32_e32 v140, v140
	v_dual_fmac_f32 v147, 0x32a5705f, v98 :: v_dual_add_f32 v114, v114, v143
	v_dual_sub_f32 v123, v123, v160 :: v_dual_cndmask_b32 v110, 0, v110
	v_exp_f32_e32 v113, v113
	v_ldexp_f32 v111, v111, v138
	v_cmp_ngt_f32_e32 vcc_lo, 0xc2ce8ed0, v4
	v_fma_f32 v163, 0x3fb8aa3b, v105, -v125
	v_cvt_i32_f32_e32 v142, v142
	v_add_f32_e32 v115, v115, v145
	v_exp_f32_e32 v114, v114
	v_ldexp_f32 v112, v112, v140
	v_cndmask_b32_e32 v111, 0, v111, vcc_lo
	v_cmp_ngt_f32_e32 vcc_lo, 0xc2ce8ed0, v11
	v_cvt_i32_f32_e32 v144, v144
	v_dual_fmac_f32 v149, 0x32a5705f, v102 :: v_dual_add_f32 v116, v116, v147
	v_dual_fmac_f32 v163, 0x32a5705f, v105 :: v_dual_cndmask_b32 v112, 0, v112
	v_exp_f32_e32 v115, v115
	v_ldexp_f32 v113, v113, v142
	v_cmp_ngt_f32_e32 vcc_lo, 0xc2ce8ed0, v90
	v_rndne_f32_e32 v164, v125
	v_cvt_i32_f32_e32 v146, v146
	v_exp_f32_e32 v116, v116
	v_ldexp_f32 v114, v114, v144
	v_cndmask_b32_e32 v113, 0, v113, vcc_lo
	v_cmp_ngt_f32_e32 vcc_lo, 0xc2ce8ed0, v93
	v_cvt_i32_f32_e32 v148, v148
	v_sub_f32_e32 v125, v125, v164
	v_ldexp_f32 v115, v115, v146
	v_dual_add_f32 v117, v117, v149 :: v_dual_cndmask_b32 v114, 0, v114
	v_cmp_ngt_f32_e32 vcc_lo, 0xc2ce8ed0, v10
	s_delay_alu instid0(TRANS32_DEP_1) | instskip(SKIP_1) | instid1(VALU_DEP_4)
	v_ldexp_f32 v116, v116, v148
	v_cvt_i32_f32_e32 v150, v150
	v_exp_f32_e32 v117, v117
	v_cvt_i32_f32_e32 v154, v154
	v_cndmask_b32_e32 v115, 0, v115, vcc_lo
	v_cmp_ngt_f32_e32 vcc_lo, 0xc2ce8ed0, v98
	v_fmac_f32_e32 v165, 0x32a5705f, v91
	v_cvt_i32_f32_e32 v156, v156
	v_add_f32_e32 v123, v123, v159
	v_cvt_i32_f32_e32 v158, v158
	v_cndmask_b32_e32 v116, 0, v116, vcc_lo
	v_dual_fmac_f32 v157, 0x32a5705f, v92 :: v_dual_add_f32 v126, v126, v165
	v_fmac_f32_e32 v153, 0x32a5705f, v100
	v_ldexp_f32 v117, v117, v150
	v_cmp_ngt_f32_e32 vcc_lo, 0xc2ce8ed0, v102
	s_delay_alu instid0(VALU_DEP_4) | instskip(NEXT) | instid1(VALU_DEP_4)
	v_dual_add_f32 v122, v122, v157 :: v_dual_fmac_f32 v155, 0x32a5705f, v103
	v_add_f32_e32 v120, v120, v153
	v_exp_f32_e32 v123, v123
	v_cndmask_b32_e32 v117, 0, v117, vcc_lo
	v_cmp_ngt_f32_e32 vcc_lo, 0xc2ce8ed0, v101
	v_add_f32_e32 v121, v121, v155
	v_exp_f32_e32 v120, v120
	v_exp_f32_e32 v122, v122
	v_cvt_i32_f32_e32 v160, v160
	v_cndmask_b32_e32 v118, 0, v118, vcc_lo
	v_exp_f32_e32 v121, v121
	v_cmp_ngt_f32_e32 vcc_lo, 0xc2ce8ed0, v100
	v_add_f32_e32 v125, v125, v163
	v_ldexp_f32 v123, v123, v160
	v_cvt_i32_f32_e32 v164, v164
	v_exp_f32_e32 v126, v126
	v_ldexp_f32 v120, v120, v154
	v_ldexp_f32 v122, v122, v158
	v_exp_f32_e32 v125, v125
	v_cvt_i32_f32_e32 v166, v166
	v_ldexp_f32 v121, v121, v156
	v_cndmask_b32_e32 v120, 0, v120, vcc_lo
	v_cmp_ngt_f32_e32 vcc_lo, 0xc2ce8ed0, v103
	s_delay_alu instid0(TRANS32_DEP_2) | instid1(VALU_DEP_4)
	v_ldexp_f32 v126, v126, v166
	s_delay_alu instid0(VALU_DEP_4) | instskip(SKIP_1) | instid1(TRANS32_DEP_1)
	v_cndmask_b32_e32 v121, 0, v121, vcc_lo
	v_cmp_ngt_f32_e32 vcc_lo, 0xc2ce8ed0, v92
	v_ldexp_f32 v125, v125, v164
	v_cndmask_b32_e32 v122, 0, v122, vcc_lo
	v_cmp_ngt_f32_e32 vcc_lo, 0xc2ce8ed0, v104
	v_cndmask_b32_e32 v123, 0, v123, vcc_lo
	v_cmp_ngt_f32_e32 vcc_lo, 0xc2ce8ed0, v99
	;; [unrolled: 2-line block ×4, first 2 shown]
	v_cndmask_b32_e32 v126, 0, v126, vcc_lo
	v_cmp_nlt_f32_e32 vcc_lo, 0x42b17218, v5
	v_cndmask_b32_e32 v5, 0x7f800000, v106, vcc_lo
	v_cmp_nlt_f32_e32 vcc_lo, 0x42b17218, v7
	;; [unrolled: 2-line block ×6, first 2 shown]
	s_delay_alu instid0(VALU_DEP_2) | instskip(SKIP_3) | instid1(VALU_DEP_3)
	v_cvt_f16_f32_e32 v109, v106
	v_cndmask_b32_e32 v107, 0x7f800000, v111, vcc_lo
	v_cmp_nlt_f32_e32 vcc_lo, 0x42b17218, v11
	v_cvt_f16_f32_e32 v111, v7
	v_cvt_f16_f32_e32 v110, v107
	v_cndmask_b32_e32 v4, 0x7f800000, v112, vcc_lo
	v_cmp_nlt_f32_e32 vcc_lo, 0x42b17218, v90
	s_delay_alu instid0(VALU_DEP_3) | instskip(NEXT) | instid1(VALU_DEP_3)
	v_pk_mul_f16 v81, v110, v81 op_sel_hi:[0,1]
	v_cvt_f16_f32_e32 v112, v4
	v_cndmask_b32_e32 v9, 0x7f800000, v113, vcc_lo
	v_cmp_nlt_f32_e32 vcc_lo, 0x42b17218, v93
	v_pk_mul_f16 v76, v110, v76 op_sel_hi:[0,1]
	v_pk_mul_f16 v82, v110, v82 op_sel_hi:[0,1]
	s_delay_alu instid0(VALU_DEP_4)
	v_cvt_f16_f32_e32 v113, v9
	v_cndmask_b32_e32 v90, 0x7f800000, v114, vcc_lo
	v_cmp_nlt_f32_e32 vcc_lo, 0x42b17218, v10
	v_cndmask_b32_e32 v108, 0x7f800000, v115, vcc_lo
	v_cmp_nlt_f32_e32 vcc_lo, 0x42b17218, v98
	;; [unrolled: 2-line block ×5, first 2 shown]
	s_delay_alu instid0(VALU_DEP_4)
	v_cvt_f16_f32_e32 v118, v11
	v_cndmask_b32_e32 v98, 0x7f800000, v120, vcc_lo
	v_cmp_nlt_f32_e32 vcc_lo, 0x42b17218, v103
	v_cndmask_b32_e32 v100, 0x7f800000, v121, vcc_lo
	v_cmp_nlt_f32_e32 vcc_lo, 0x42b17218, v92
	;; [unrolled: 2-line block ×3, first 2 shown]
	v_cvt_f16_f32_e32 v104, v5
	v_cndmask_b32_e32 v92, 0x7f800000, v123, vcc_lo
	v_cmp_nlt_f32_e32 vcc_lo, 0x42b17218, v99
	v_pk_mul_f16 v123, v110, v74 op_sel_hi:[0,1]
	s_delay_alu instid0(VALU_DEP_3)
	v_add_f32_e32 v11, v11, v92
	v_cndmask_b32_e32 v99, 0x7f800000, v124, vcc_lo
	v_cmp_nlt_f32_e32 vcc_lo, 0x42b17218, v105
	v_cvt_f16_f32_e32 v92, v92
	v_cvt_f16_f32_e32 v105, v8
	;; [unrolled: 1-line block ×4, first 2 shown]
	v_cndmask_b32_e32 v101, 0x7f800000, v125, vcc_lo
	v_cmp_nlt_f32_e32 vcc_lo, 0x42b17218, v91
	v_add_f32_e32 v91, v6, v5
	v_cvt_f16_f32_e32 v6, v6
	v_add_f32_e32 v5, v7, v4
	v_cvt_f16_f32_e32 v114, v90
	v_cvt_f16_f32_e32 v121, v101
	v_dual_add_f32 v91, v8, v91 :: v_dual_add_f32 v4, v93, v10
	v_cvt_f16_f32_e32 v7, v10
	v_cvt_f16_f32_e32 v93, v93
	;; [unrolled: 1-line block ×3, first 2 shown]
	v_cndmask_b32_e32 v103, 0x7f800000, v126, vcc_lo
	v_cvt_f16_f32_e32 v115, v108
	v_pk_mul_f16 v125, v110, v72 op_sel_hi:[0,1]
	v_pk_mul_f16 v126, v110, v73 op_sel_hi:[0,1]
	v_dual_add_f32 v72, v9, v5 :: v_dual_add_f32 v73, v98, v4
	v_cvt_f16_f32_e32 v117, v102
	v_pack_b32_f16 v5, v93, v118
	v_pack_b32_f16 v4, v6, v111
	;; [unrolled: 1-line block ×4, first 2 shown]
	v_add_f32_e32 v74, v99, v11
	v_pack_b32_f16 v9, v10, v120
	v_pack_b32_f16 v8, v105, v113
	;; [unrolled: 1-line block ×4, first 2 shown]
	v_pk_mul_f16 v127, v115, v67 op_sel_hi:[0,1]
	v_pk_mul_f16 v128, v115, v66 op_sel_hi:[0,1]
	;; [unrolled: 1-line block ×8, first 2 shown]
	ds_store_2addr_b64 v119, v[4:5], v[6:7] offset1:32
	ds_store_2addr_b64 v119, v[8:9], v[10:11] offset0:64 offset1:96
	s_waitcnt vmcnt(1)
	ds_store_b128 v43, v[77:80]
	s_waitcnt vmcnt(0)
	ds_store_b128 v44, v[94:97]
	v_add_f32_e32 v79, v90, v72
	s_waitcnt lgkmcnt(0)
	s_barrier
	buffer_gl0_inv
	ds_load_2addr_b64 v[56:59], v84 offset1:32
	ds_load_b128 v[64:67], v39
	v_cvt_f16_f32_e32 v122, v103
	v_pk_mul_f16 v124, v110, v75 op_sel_hi:[0,1]
	v_add_f32_e32 v80, v106, v91
	v_dual_add_f32 v78, v100, v73 :: v_dual_add_f32 v77, v101, v74
	s_delay_alu instid0(VALU_DEP_4)
	v_pk_mul_f16 v135, v122, v52 op_sel_hi:[0,1]
	v_pk_mul_f16 v136, v122, v53 op_sel_hi:[0,1]
	;; [unrolled: 1-line block ×8, first 2 shown]
	ds_load_2addr_b64 v[46:49], v84 offset0:64 offset1:96
	ds_load_b128 v[50:53], v39 offset:16
	ds_load_b128 v[8:11], v39 offset:32
	;; [unrolled: 1-line block ×3, first 2 shown]
	ds_load_2addr_b64 v[72:75], v84 offset0:128 offset1:160
	ds_load_2addr_b64 v[90:93], v84 offset0:192 offset1:224
	ds_load_2addr_b64 v[94:97], v83 offset1:32
	ds_load_2addr_b64 v[98:101], v83 offset0:64 offset1:96
	v_pk_mul_f16 v70, v115, v70 op_sel_hi:[0,1]
	v_pk_mul_f16 v69, v115, v69 op_sel_hi:[0,1]
	;; [unrolled: 1-line block ×6, first 2 shown]
	v_dual_fmac_f32 v80, v85, v107 :: v_dual_fmac_f32 v79, v86, v108
	v_fmac_f32_e32 v78, v87, v102
	s_waitcnt lgkmcnt(8)
	v_pk_mul_f16 v85, v56, v64 op_sel_hi:[1,0]
	v_pk_mul_f16 v86, v56, v64 op_sel:[0,1]
	v_pk_mul_f16 v87, v56, v65 op_sel_hi:[1,0]
	v_fmac_f32_e32 v77, v88, v103
	v_pk_fma_f16 v56, v56, v65, v135 op_sel:[0,1,0]
	v_pk_fma_f16 v81, v57, v64, v81 op_sel_hi:[1,0,1]
	v_pk_fma_f16 v70, v57, v64, v70 op_sel:[0,1,0]
	v_pk_fma_f16 v62, v57, v65, v62 op_sel_hi:[1,0,1]
	;; [unrolled: 2-line block ×6, first 2 shown]
	v_pk_fma_f16 v59, v59, v65, v105 op_sel:[0,1,0]
	s_waitcnt lgkmcnt(7)
	v_pk_fma_f16 v103, v46, v64, v123 op_sel_hi:[1,0,1]
	v_pk_fma_f16 v104, v46, v64, v128 op_sel:[0,1,0]
	v_pk_fma_f16 v105, v46, v65, v132 op_sel_hi:[1,0,1]
	v_pk_fma_f16 v46, v46, v65, v109 op_sel:[0,1,0]
	;; [unrolled: 2-line block ×8, first 2 shown]
	v_pk_fma_f16 v65, v110, v71, v85 op_sel_hi:[0,1,1]
	v_pk_fma_f16 v63, v115, v63, v86 op_sel_hi:[0,1,1]
	;; [unrolled: 1-line block ×3, first 2 shown]
	s_waitcnt lgkmcnt(3)
	v_pk_fma_f16 v71, v73, v66, v81 op_sel_hi:[1,0,1]
	v_pk_fma_f16 v70, v73, v66, v70 op_sel:[0,1,0]
	v_pk_fma_f16 v62, v73, v67, v62 op_sel_hi:[1,0,1]
	v_pk_fma_f16 v57, v73, v67, v57 op_sel:[0,1,0]
	;; [unrolled: 2-line block ×6, first 2 shown]
	s_waitcnt lgkmcnt(2)
	v_pk_fma_f16 v75, v90, v66, v103 op_sel_hi:[1,0,1]
	v_pk_fma_f16 v82, v90, v66, v104 op_sel:[0,1,0]
	v_pk_fma_f16 v85, v90, v67, v105 op_sel_hi:[1,0,1]
	v_pk_fma_f16 v86, v90, v67, v46 op_sel:[0,1,0]
	;; [unrolled: 2-line block ×10, first 2 shown]
	s_waitcnt lgkmcnt(1)
	v_pk_fma_f16 v65, v95, v50, v71 op_sel_hi:[1,0,1]
	v_pk_fma_f16 v66, v95, v50, v70 op_sel:[0,1,0]
	v_pk_fma_f16 v67, v94, v50, v46 op_sel_hi:[1,0,1]
	v_pk_fma_f16 v70, v94, v50, v47 op_sel:[0,1,0]
	v_pk_fma_f16 v71, v94, v51, v48 op_sel_hi:[1,0,1]
	ds_load_2addr_b64 v[46:49], v83 offset0:128 offset1:160
	v_pk_fma_f16 v63, v94, v51, v56 op_sel:[0,1,0]
	v_pk_fma_f16 v62, v95, v51, v62 op_sel_hi:[1,0,1]
	v_pk_fma_f16 v72, v95, v51, v57 op_sel:[0,1,0]
	v_pk_fma_f16 v73, v96, v50, v73 op_sel_hi:[1,0,1]
	;; [unrolled: 2-line block ×5, first 2 shown]
	v_pk_fma_f16 v96, v97, v51, v59 op_sel:[0,1,0]
	s_waitcnt lgkmcnt(1)
	v_pk_fma_f16 v75, v98, v50, v75 op_sel_hi:[1,0,1]
	v_pk_fma_f16 v82, v98, v50, v82 op_sel:[0,1,0]
	v_pk_fma_f16 v87, v99, v50, v87 op_sel_hi:[1,0,1]
	v_pk_fma_f16 v68, v99, v50, v68 op_sel:[0,1,0]
	;; [unrolled: 2-line block ×5, first 2 shown]
	v_add_nc_u32_e32 v50, 0xa000, v40
	ds_load_2addr_b64 v[55:58], v83 offset0:192 offset1:224
	v_pk_fma_f16 v85, v98, v51, v85 op_sel_hi:[1,0,1]
	v_pk_fma_f16 v86, v98, v51, v86 op_sel:[0,1,0]
	v_pk_fma_f16 v98, v100, v51, v102 op_sel_hi:[1,0,1]
	v_pk_fma_f16 v92, v100, v51, v92 op_sel:[0,1,0]
	;; [unrolled: 2-line block ×3, first 2 shown]
	s_waitcnt lgkmcnt(1)
	v_pk_fma_f16 v93, v47, v53, v62 op_sel_hi:[1,0,1]
	ds_load_2addr_b64 v[59:62], v50 offset1:32
	v_pk_fma_f16 v67, v46, v52, v67 op_sel_hi:[1,0,1]
	v_pk_fma_f16 v70, v46, v52, v70 op_sel:[0,1,0]
	v_pk_fma_f16 v71, v46, v53, v71 op_sel_hi:[1,0,1]
	v_pk_fma_f16 v63, v46, v53, v63 op_sel:[0,1,0]
	v_pk_fma_f16 v65, v47, v52, v65 op_sel_hi:[1,0,1]
	v_pk_fma_f16 v66, v47, v52, v66 op_sel:[0,1,0]
	v_pk_fma_f16 v72, v47, v53, v72 op_sel:[0,1,0]
	v_pk_fma_f16 v73, v48, v52, v73 op_sel_hi:[1,0,1]
	v_pk_fma_f16 v76, v48, v52, v76 op_sel:[0,1,0]
	v_pk_fma_f16 v81, v48, v53, v81 op_sel_hi:[1,0,1]
	v_pk_fma_f16 v94, v48, v53, v94 op_sel:[0,1,0]
	v_pk_fma_f16 v74, v49, v52, v74 op_sel_hi:[1,0,1]
	v_pk_fma_f16 v69, v49, v52, v69 op_sel:[0,1,0]
	v_pk_fma_f16 v95, v49, v53, v95 op_sel_hi:[1,0,1]
	v_pk_fma_f16 v96, v49, v53, v96 op_sel:[0,1,0]
	ds_load_2addr_b64 v[46:49], v50 offset0:64 offset1:96
	s_waitcnt lgkmcnt(2)
	v_pk_fma_f16 v75, v55, v52, v75 op_sel_hi:[1,0,1]
	v_pk_fma_f16 v82, v55, v52, v82 op_sel:[0,1,0]
	v_pk_fma_f16 v85, v55, v53, v85 op_sel_hi:[1,0,1]
	v_pk_fma_f16 v86, v55, v53, v86 op_sel:[0,1,0]
	v_pk_fma_f16 v87, v56, v52, v87 op_sel_hi:[1,0,1]
	v_pk_fma_f16 v68, v56, v52, v68 op_sel:[0,1,0]
	v_pk_fma_f16 v97, v56, v53, v97 op_sel_hi:[1,0,1]
	v_pk_fma_f16 v88, v56, v53, v88 op_sel:[0,1,0]
	v_pk_fma_f16 v90, v57, v52, v90 op_sel_hi:[1,0,1]
	v_pk_fma_f16 v91, v57, v52, v91 op_sel:[0,1,0]
	v_pk_fma_f16 v98, v57, v53, v98 op_sel_hi:[1,0,1]
	v_pk_fma_f16 v92, v57, v53, v92 op_sel:[0,1,0]
	v_pk_fma_f16 v99, v58, v52, v99 op_sel_hi:[1,0,1]
	v_pk_fma_f16 v52, v58, v52, v64 op_sel:[0,1,0]
	v_pk_fma_f16 v64, v58, v53, v100 op_sel_hi:[1,0,1]
	v_pk_fma_f16 v51, v58, v53, v51 op_sel:[0,1,0]
	ds_load_2addr_b64 v[55:58], v50 offset0:128 offset1:160
	s_waitcnt lgkmcnt(2)
	v_pk_fma_f16 v53, v59, v8, v67 op_sel_hi:[1,0,1]
	v_pk_fma_f16 v67, v59, v8, v70 op_sel:[0,1,0]
	v_pk_fma_f16 v70, v59, v9, v71 op_sel_hi:[1,0,1]
	v_pk_fma_f16 v63, v59, v9, v63 op_sel:[0,1,0]
	v_pk_fma_f16 v65, v60, v8, v65 op_sel_hi:[1,0,1]
	v_pk_fma_f16 v66, v60, v8, v66 op_sel:[0,1,0]
	v_pk_fma_f16 v71, v60, v9, v93 op_sel_hi:[1,0,1]
	v_pk_fma_f16 v72, v60, v9, v72 op_sel:[0,1,0]
	v_pk_fma_f16 v73, v61, v8, v73 op_sel_hi:[1,0,1]
	v_pk_fma_f16 v76, v61, v8, v76 op_sel:[0,1,0]
	v_pk_fma_f16 v81, v61, v9, v81 op_sel_hi:[1,0,1]
	v_pk_fma_f16 v93, v61, v9, v94 op_sel:[0,1,0]
	v_pk_fma_f16 v74, v62, v8, v74 op_sel_hi:[1,0,1]
	v_pk_fma_f16 v69, v62, v8, v69 op_sel:[0,1,0]
	v_pk_fma_f16 v94, v62, v9, v95 op_sel_hi:[1,0,1]
	v_pk_fma_f16 v95, v62, v9, v96 op_sel:[0,1,0]
	ds_load_2addr_b64 v[59:62], v50 offset0:192 offset1:224
	s_waitcnt lgkmcnt(2)
	v_pk_fma_f16 v75, v46, v8, v75 op_sel_hi:[1,0,1]
	v_pk_fma_f16 v82, v46, v8, v82 op_sel:[0,1,0]
	v_pk_fma_f16 v85, v46, v9, v85 op_sel_hi:[1,0,1]
	v_pk_fma_f16 v46, v46, v9, v86 op_sel:[0,1,0]
	v_pk_fma_f16 v86, v47, v8, v87 op_sel_hi:[1,0,1]
	v_pk_fma_f16 v182, v47, v8, v68 op_sel:[0,1,0]
	v_pk_fma_f16 v185, v48, v8, v90 op_sel_hi:[1,0,1]
	v_pk_fma_f16 v186, v48, v8, v91 op_sel:[0,1,0]
	v_pk_fma_f16 v189, v49, v8, v99 op_sel_hi:[1,0,1]
	v_pk_fma_f16 v190, v49, v8, v52 op_sel:[0,1,0]
	v_add_co_u32 v8, vcc_lo, s4, v27
	v_pk_fma_f16 v183, v47, v9, v97 op_sel_hi:[1,0,1]
	v_pk_fma_f16 v184, v47, v9, v88 op_sel:[0,1,0]
	v_pk_fma_f16 v187, v48, v9, v98 op_sel_hi:[1,0,1]
	v_pk_fma_f16 v188, v48, v9, v92 op_sel:[0,1,0]
	;; [unrolled: 2-line block ×3, first 2 shown]
	v_add_co_ci_u32_e32 v9, vcc_lo, s17, v28, vcc_lo
	v_add_co_u32 v52, vcc_lo, s4, v29
	s_waitcnt lgkmcnt(1)
	v_pk_fma_f16 v193, v55, v10, v53 op_sel_hi:[1,0,1]
	v_add_co_ci_u32_e32 v53, vcc_lo, s17, v30, vcc_lo
	v_add_co_u32 v8, vcc_lo, v8, v89
	v_add_co_ci_u32_e32 v9, vcc_lo, 0, v9, vcc_lo
	s_waitcnt lgkmcnt(0)
	v_pk_fma_f16 v75, v59, v10, v75 op_sel_hi:[1,0,1]
	v_add_nc_u32_e32 v51, 0xa800, v40
	v_pk_fma_f16 v82, v59, v10, v82 op_sel:[0,1,0]
	v_pk_fma_f16 v207, v59, v11, v85 op_sel_hi:[1,0,1]
	v_pk_fma_f16 v59, v59, v11, v46 op_sel:[0,1,0]
	v_add_nc_u32_e32 v46, 0xc800, v40
	v_add_nc_u32_e32 v49, 0xb000, v40
	;; [unrolled: 1-line block ×3, first 2 shown]
	v_add_co_u32 v52, vcc_lo, v52, v89
	v_add_nc_u32_e32 v48, 0xb800, v40
	v_add_co_ci_u32_e32 v53, vcc_lo, 0, v53, vcc_lo
	v_pk_fma_f16 v194, v55, v10, v67 op_sel:[0,1,0]
	v_pk_fma_f16 v195, v55, v11, v70 op_sel_hi:[1,0,1]
	v_pk_fma_f16 v196, v55, v11, v63 op_sel:[0,1,0]
	v_pk_fma_f16 v197, v56, v10, v65 op_sel_hi:[1,0,1]
	;; [unrolled: 2-line block ×8, first 2 shown]
	ds_load_2addr_b64 v[55:58], v51 offset1:32
	ds_load_2addr_b64 v[63:66], v51 offset0:64 offset1:96
	ds_load_2addr_b64 v[67:70], v51 offset0:128 offset1:160
	;; [unrolled: 1-line block ×3, first 2 shown]
	ds_load_2addr_b64 v[85:88], v49 offset1:32
	ds_load_2addr_b64 v[90:93], v49 offset0:64 offset1:96
	ds_load_2addr_b64 v[94:97], v49 offset0:128 offset1:160
	ds_load_2addr_b64 v[98:101], v49 offset0:192 offset1:224
	ds_load_2addr_b64 v[102:105], v48 offset1:32
	ds_load_2addr_b64 v[106:109], v48 offset0:64 offset1:96
	ds_load_b128 v[110:113], v39 offset:64
	ds_load_b128 v[114:117], v39 offset:80
	ds_load_2addr_b64 v[118:121], v48 offset0:128 offset1:160
	ds_load_2addr_b64 v[122:125], v48 offset0:192 offset1:224
	ds_load_2addr_b64 v[126:129], v47 offset1:32
	ds_load_2addr_b64 v[130:133], v47 offset0:64 offset1:96
	ds_load_2addr_b64 v[134:137], v47 offset0:128 offset1:160
	;; [unrolled: 1-line block ×3, first 2 shown]
	ds_load_2addr_b64 v[142:145], v46 offset1:32
	ds_load_2addr_b64 v[146:149], v46 offset0:64 offset1:96
	ds_load_b128 v[150:153], v39 offset:96
	ds_load_b128 v[154:157], v39 offset:112
	ds_load_2addr_b64 v[158:161], v46 offset0:128 offset1:160
	ds_load_2addr_b64 v[162:165], v46 offset0:192 offset1:224
	s_waitcnt lgkmcnt(0)
	s_barrier
	buffer_gl0_inv
	s_clause 0x3
	global_load_b128 v[166:169], v[8:9], off
	global_load_b128 v[170:173], v[8:9], off offset:512
	global_load_b128 v[174:177], v[52:53], off
	global_load_b128 v[178:181], v[52:53], off offset:512
	v_pk_fma_f16 v8, v60, v10, v182 op_sel:[0,1,0]
	v_pk_fma_f16 v9, v60, v11, v183 op_sel_hi:[1,0,1]
	v_pk_fma_f16 v52, v60, v11, v184 op_sel:[0,1,0]
	v_pk_fma_f16 v53, v61, v10, v185 op_sel_hi:[1,0,1]
	;; [unrolled: 2-line block ×24, first 2 shown]
	v_pk_fma_f16 v56, v68, v7, v56 op_sel:[0,1,0]
	v_pk_fma_f16 v57, v69, v7, v57 op_sel:[0,1,0]
	;; [unrolled: 1-line block ×4, first 2 shown]
	v_pk_fma_f16 v183, v68, v7, v189 op_sel_hi:[1,0,1]
	v_pk_fma_f16 v68, v69, v6, v190 op_sel_hi:[1,0,1]
	v_pk_fma_f16 v76, v69, v6, v76 op_sel:[0,1,0]
	v_pk_fma_f16 v81, v69, v7, v81 op_sel_hi:[1,0,1]
	v_pk_fma_f16 v69, v70, v6, v191 op_sel_hi:[1,0,1]
	v_pk_fma_f16 v184, v70, v6, v192 op_sel:[0,1,0]
	;; [unrolled: 3-line block ×3, first 2 shown]
	v_pk_fma_f16 v59, v71, v7, v59 op_sel:[0,1,0]
	v_pk_fma_f16 v63, v72, v6, v63 op_sel_hi:[1,0,1]
	v_pk_fma_f16 v8, v72, v6, v8 op_sel:[0,1,0]
	v_pk_fma_f16 v53, v73, v6, v53 op_sel_hi:[1,0,1]
	v_pk_fma_f16 v60, v73, v6, v60 op_sel:[0,1,0]
	v_pk_fma_f16 v61, v73, v7, v61 op_sel:[0,1,0]
	v_pk_fma_f16 v65, v74, v6, v65 op_sel_hi:[1,0,1]
	v_pk_fma_f16 v4, v74, v6, v4 op_sel:[0,1,0]
	v_pk_fma_f16 v6, v74, v7, v10 op_sel_hi:[1,0,1]
	v_pk_fma_f16 v10, v85, v110, v62 op_sel:[0,1,0]
	v_pk_fma_f16 v55, v85, v111, v55 op_sel:[0,1,0]
	v_pk_fma_f16 v62, v86, v110, v67 op_sel_hi:[1,0,1]
	v_pk_fma_f16 v56, v86, v111, v56 op_sel:[0,1,0]
	v_pk_fma_f16 v57, v87, v111, v57 op_sel:[0,1,0]
	;; [unrolled: 1-line block ×7, first 2 shown]
	v_pk_fma_f16 v62, v95, v112, v62 op_sel_hi:[1,0,1]
	v_pk_fma_f16 v56, v95, v113, v56 op_sel:[0,1,0]
	v_pk_fma_f16 v57, v96, v113, v57 op_sel:[0,1,0]
	;; [unrolled: 1-line block ×7, first 2 shown]
	v_pk_fma_f16 v62, v103, v114, v62 op_sel_hi:[1,0,1]
	v_pk_fma_f16 v56, v103, v115, v56 op_sel:[0,1,0]
	v_pk_fma_f16 v57, v104, v115, v57 op_sel:[0,1,0]
	v_pk_fma_f16 v58, v105, v115, v58 op_sel:[0,1,0]
	v_pk_fma_f16 v9, v72, v7, v9 op_sel_hi:[1,0,1]
	v_pk_fma_f16 v64, v73, v7, v64 op_sel_hi:[1,0,1]
	v_pk_fma_f16 v5, v74, v7, v5 op_sel:[0,1,0]
	v_pk_fma_f16 v82, v71, v7, v194 op_sel_hi:[1,0,1]
	v_pk_fma_f16 v52, v72, v7, v52 op_sel:[0,1,0]
	v_pk_fma_f16 v7, v85, v110, v11 op_sel_hi:[1,0,1]
	v_pk_fma_f16 v11, v85, v111, v66 op_sel_hi:[1,0,1]
	v_pk_fma_f16 v66, v86, v110, v182 op_sel:[0,1,0]
	v_pk_fma_f16 v67, v86, v111, v183 op_sel_hi:[1,0,1]
	v_pk_fma_f16 v68, v87, v110, v68 op_sel_hi:[1,0,1]
	v_pk_fma_f16 v71, v87, v110, v76 op_sel:[0,1,0]
	v_pk_fma_f16 v72, v87, v111, v81 op_sel_hi:[1,0,1]
	v_pk_fma_f16 v69, v88, v110, v69 op_sel_hi:[1,0,1]
	v_pk_fma_f16 v73, v88, v110, v184 op_sel:[0,1,0]
	v_pk_fma_f16 v74, v88, v111, v185 op_sel_hi:[1,0,1]
	v_pk_fma_f16 v59, v106, v115, v59 op_sel:[0,1,0]
	v_pk_fma_f16 v60, v108, v114, v60 op_sel:[0,1,0]
	;; [unrolled: 1-line block ×4, first 2 shown]
	v_pk_fma_f16 v62, v119, v116, v62 op_sel_hi:[1,0,1]
	v_pk_fma_f16 v56, v119, v117, v56 op_sel:[0,1,0]
	v_pk_fma_f16 v57, v120, v117, v57 op_sel:[0,1,0]
	v_pk_fma_f16 v58, v121, v117, v58 op_sel:[0,1,0]
	v_pk_fma_f16 v70, v90, v110, v70 op_sel_hi:[1,0,1]
	v_pk_fma_f16 v63, v91, v110, v63 op_sel_hi:[1,0,1]
	v_pk_fma_f16 v8, v91, v110, v8 op_sel:[0,1,0]
	v_pk_fma_f16 v9, v91, v111, v9 op_sel_hi:[1,0,1]
	v_pk_fma_f16 v64, v92, v111, v64 op_sel_hi:[1,0,1]
	;; [unrolled: 1-line block ×3, first 2 shown]
	v_pk_fma_f16 v4, v93, v110, v4 op_sel:[0,1,0]
	v_pk_fma_f16 v6, v93, v111, v6 op_sel_hi:[1,0,1]
	v_pk_fma_f16 v5, v93, v111, v5 op_sel:[0,1,0]
	v_pk_fma_f16 v7, v94, v112, v7 op_sel_hi:[1,0,1]
	;; [unrolled: 2-line block ×4, first 2 shown]
	v_pk_fma_f16 v68, v96, v112, v68 op_sel_hi:[1,0,1]
	v_pk_fma_f16 v71, v96, v112, v71 op_sel:[0,1,0]
	v_pk_fma_f16 v72, v96, v113, v72 op_sel_hi:[1,0,1]
	v_pk_fma_f16 v69, v97, v112, v69 op_sel_hi:[1,0,1]
	v_pk_fma_f16 v73, v97, v112, v73 op_sel:[0,1,0]
	v_pk_fma_f16 v74, v97, v113, v74 op_sel_hi:[1,0,1]
	v_pk_fma_f16 v59, v122, v117, v59 op_sel:[0,1,0]
	v_pk_fma_f16 v60, v124, v116, v60 op_sel:[0,1,0]
	;; [unrolled: 1-line block ×4, first 2 shown]
	v_pk_fma_f16 v62, v127, v150, v62 op_sel_hi:[1,0,1]
	v_pk_fma_f16 v56, v127, v151, v56 op_sel:[0,1,0]
	v_pk_fma_f16 v57, v128, v151, v57 op_sel:[0,1,0]
	;; [unrolled: 1-line block ×3, first 2 shown]
	v_pk_fma_f16 v70, v98, v112, v70 op_sel_hi:[1,0,1]
	v_pk_fma_f16 v63, v99, v112, v63 op_sel_hi:[1,0,1]
	v_pk_fma_f16 v8, v99, v112, v8 op_sel:[0,1,0]
	v_pk_fma_f16 v9, v99, v113, v9 op_sel_hi:[1,0,1]
	v_pk_fma_f16 v64, v100, v113, v64 op_sel_hi:[1,0,1]
	;; [unrolled: 1-line block ×3, first 2 shown]
	v_pk_fma_f16 v4, v101, v112, v4 op_sel:[0,1,0]
	v_pk_fma_f16 v6, v101, v113, v6 op_sel_hi:[1,0,1]
	v_pk_fma_f16 v5, v101, v113, v5 op_sel:[0,1,0]
	v_pk_fma_f16 v7, v102, v114, v7 op_sel_hi:[1,0,1]
	v_pk_fma_f16 v10, v102, v114, v10 op_sel:[0,1,0]
	v_pk_fma_f16 v11, v102, v115, v11 op_sel_hi:[1,0,1]
	v_pk_fma_f16 v66, v103, v114, v66 op_sel:[0,1,0]
	v_pk_fma_f16 v67, v103, v115, v67 op_sel_hi:[1,0,1]
	v_pk_fma_f16 v68, v104, v114, v68 op_sel_hi:[1,0,1]
	v_pk_fma_f16 v71, v104, v114, v71 op_sel:[0,1,0]
	v_pk_fma_f16 v72, v104, v115, v72 op_sel_hi:[1,0,1]
	v_pk_fma_f16 v69, v105, v114, v69 op_sel_hi:[1,0,1]
	v_pk_fma_f16 v73, v105, v114, v73 op_sel:[0,1,0]
	v_pk_fma_f16 v74, v105, v115, v74 op_sel_hi:[1,0,1]
	v_pk_fma_f16 v59, v130, v151, v59 op_sel:[0,1,0]
	v_pk_fma_f16 v60, v132, v150, v60 op_sel:[0,1,0]
	;; [unrolled: 1-line block ×4, first 2 shown]
	v_pk_fma_f16 v62, v135, v152, v62 op_sel_hi:[1,0,1]
	v_pk_fma_f16 v56, v135, v153, v56 op_sel:[0,1,0]
	v_pk_fma_f16 v57, v136, v153, v57 op_sel:[0,1,0]
	;; [unrolled: 1-line block ×3, first 2 shown]
	v_pk_fma_f16 v70, v106, v114, v70 op_sel_hi:[1,0,1]
	v_pk_fma_f16 v63, v107, v114, v63 op_sel_hi:[1,0,1]
	v_pk_fma_f16 v8, v107, v114, v8 op_sel:[0,1,0]
	v_pk_fma_f16 v9, v107, v115, v9 op_sel_hi:[1,0,1]
	v_pk_fma_f16 v64, v108, v115, v64 op_sel_hi:[1,0,1]
	;; [unrolled: 1-line block ×3, first 2 shown]
	v_pk_fma_f16 v4, v109, v114, v4 op_sel:[0,1,0]
	v_pk_fma_f16 v6, v109, v115, v6 op_sel_hi:[1,0,1]
	v_pk_fma_f16 v5, v109, v115, v5 op_sel:[0,1,0]
	v_pk_fma_f16 v75, v90, v110, v75 op_sel:[0,1,0]
	v_pk_fma_f16 v76, v90, v111, v82 op_sel_hi:[1,0,1]
	v_pk_fma_f16 v52, v91, v111, v52 op_sel:[0,1,0]
	v_pk_fma_f16 v53, v92, v110, v53 op_sel_hi:[1,0,1]
	v_pk_fma_f16 v7, v118, v116, v7 op_sel_hi:[1,0,1]
	v_pk_fma_f16 v10, v118, v116, v10 op_sel:[0,1,0]
	v_pk_fma_f16 v11, v118, v117, v11 op_sel_hi:[1,0,1]
	v_pk_fma_f16 v66, v119, v116, v66 op_sel:[0,1,0]
	v_pk_fma_f16 v67, v119, v117, v67 op_sel_hi:[1,0,1]
	v_pk_fma_f16 v68, v120, v116, v68 op_sel_hi:[1,0,1]
	v_pk_fma_f16 v71, v120, v116, v71 op_sel:[0,1,0]
	v_pk_fma_f16 v72, v120, v117, v72 op_sel_hi:[1,0,1]
	;; [unrolled: 3-line block ×3, first 2 shown]
	v_pk_fma_f16 v59, v138, v153, v59 op_sel:[0,1,0]
	v_pk_fma_f16 v60, v140, v152, v60 op_sel:[0,1,0]
	;; [unrolled: 1-line block ×4, first 2 shown]
	v_pk_fma_f16 v62, v143, v154, v62 op_sel_hi:[1,0,1]
	v_pk_fma_f16 v56, v143, v155, v56 op_sel:[0,1,0]
	v_pk_fma_f16 v57, v144, v155, v57 op_sel:[0,1,0]
	;; [unrolled: 1-line block ×3, first 2 shown]
	v_pk_fma_f16 v70, v122, v116, v70 op_sel_hi:[1,0,1]
	v_pk_fma_f16 v63, v123, v116, v63 op_sel_hi:[1,0,1]
	v_pk_fma_f16 v8, v123, v116, v8 op_sel:[0,1,0]
	v_pk_fma_f16 v9, v123, v117, v9 op_sel_hi:[1,0,1]
	v_pk_fma_f16 v64, v124, v117, v64 op_sel_hi:[1,0,1]
	;; [unrolled: 1-line block ×3, first 2 shown]
	v_pk_fma_f16 v4, v125, v116, v4 op_sel:[0,1,0]
	v_pk_fma_f16 v6, v125, v117, v6 op_sel_hi:[1,0,1]
	v_pk_fma_f16 v5, v125, v117, v5 op_sel:[0,1,0]
	v_pk_fma_f16 v75, v98, v112, v75 op_sel:[0,1,0]
	v_pk_fma_f16 v76, v98, v113, v76 op_sel_hi:[1,0,1]
	v_pk_fma_f16 v52, v99, v113, v52 op_sel:[0,1,0]
	v_pk_fma_f16 v53, v100, v112, v53 op_sel_hi:[1,0,1]
	v_pk_fma_f16 v7, v126, v150, v7 op_sel_hi:[1,0,1]
	v_pk_fma_f16 v10, v126, v150, v10 op_sel:[0,1,0]
	v_pk_fma_f16 v11, v126, v151, v11 op_sel_hi:[1,0,1]
	v_pk_fma_f16 v66, v127, v150, v66 op_sel:[0,1,0]
	v_pk_fma_f16 v67, v127, v151, v67 op_sel_hi:[1,0,1]
	v_pk_fma_f16 v68, v128, v150, v68 op_sel_hi:[1,0,1]
	v_pk_fma_f16 v71, v128, v150, v71 op_sel:[0,1,0]
	v_pk_fma_f16 v72, v128, v151, v72 op_sel_hi:[1,0,1]
	;; [unrolled: 3-line block ×3, first 2 shown]
	v_pk_fma_f16 v81, v146, v155, v59 op_sel:[0,1,0]
	v_pk_fma_f16 v82, v148, v154, v60 op_sel:[0,1,0]
	v_pk_fma_f16 v85, v148, v155, v61 op_sel:[0,1,0]
	v_pk_fma_f16 v90, v158, v157, v55 op_sel:[0,1,0]
	v_pk_fma_f16 v91, v159, v156, v62 op_sel_hi:[1,0,1]
	v_pk_fma_f16 v94, v159, v157, v56 op_sel:[0,1,0]
	v_pk_fma_f16 v96, v160, v157, v57 op_sel:[0,1,0]
	;; [unrolled: 1-line block ×3, first 2 shown]
	s_waitcnt vmcnt(3)
	ds_store_b128 v41, v[166:169]
	s_waitcnt vmcnt(2)
	ds_store_b128 v42, v[170:173]
	;; [unrolled: 2-line block ×4, first 2 shown]
	s_waitcnt lgkmcnt(0)
	s_barrier
	buffer_gl0_inv
	ds_load_2addr_b64 v[55:58], v84 offset1:32
	ds_load_b128 v[59:62], v39 offset:128
	v_pk_fma_f16 v70, v130, v150, v70 op_sel_hi:[1,0,1]
	v_pk_fma_f16 v63, v131, v150, v63 op_sel_hi:[1,0,1]
	v_pk_fma_f16 v8, v131, v150, v8 op_sel:[0,1,0]
	v_pk_fma_f16 v9, v131, v151, v9 op_sel_hi:[1,0,1]
	v_pk_fma_f16 v64, v132, v151, v64 op_sel_hi:[1,0,1]
	v_pk_fma_f16 v65, v133, v150, v65 op_sel_hi:[1,0,1]
	v_pk_fma_f16 v4, v133, v150, v4 op_sel:[0,1,0]
	v_pk_fma_f16 v6, v133, v151, v6 op_sel_hi:[1,0,1]
	v_pk_fma_f16 v5, v133, v151, v5 op_sel:[0,1,0]
	v_pk_fma_f16 v75, v106, v114, v75 op_sel:[0,1,0]
	v_pk_fma_f16 v76, v106, v115, v76 op_sel_hi:[1,0,1]
	v_pk_fma_f16 v52, v107, v115, v52 op_sel:[0,1,0]
	v_pk_fma_f16 v53, v108, v114, v53 op_sel_hi:[1,0,1]
	v_pk_fma_f16 v7, v134, v152, v7 op_sel_hi:[1,0,1]
	v_pk_fma_f16 v10, v134, v152, v10 op_sel:[0,1,0]
	v_pk_fma_f16 v11, v134, v153, v11 op_sel_hi:[1,0,1]
	v_pk_fma_f16 v66, v135, v152, v66 op_sel:[0,1,0]
	v_pk_fma_f16 v67, v135, v153, v67 op_sel_hi:[1,0,1]
	v_pk_fma_f16 v68, v136, v152, v68 op_sel_hi:[1,0,1]
	v_pk_fma_f16 v71, v136, v152, v71 op_sel:[0,1,0]
	v_pk_fma_f16 v72, v136, v153, v72 op_sel_hi:[1,0,1]
	v_pk_fma_f16 v69, v137, v152, v69 op_sel_hi:[1,0,1]
	v_pk_fma_f16 v73, v137, v152, v73 op_sel:[0,1,0]
	v_pk_fma_f16 v74, v137, v153, v74 op_sel_hi:[1,0,1]
	v_pk_fma_f16 v70, v138, v152, v70 op_sel_hi:[1,0,1]
	v_pk_fma_f16 v63, v139, v152, v63 op_sel_hi:[1,0,1]
	v_pk_fma_f16 v8, v139, v152, v8 op_sel:[0,1,0]
	v_pk_fma_f16 v9, v139, v153, v9 op_sel_hi:[1,0,1]
	v_pk_fma_f16 v64, v140, v153, v64 op_sel_hi:[1,0,1]
	v_pk_fma_f16 v65, v141, v152, v65 op_sel_hi:[1,0,1]
	v_pk_fma_f16 v4, v141, v152, v4 op_sel:[0,1,0]
	v_pk_fma_f16 v6, v141, v153, v6 op_sel_hi:[1,0,1]
	v_pk_fma_f16 v5, v141, v153, v5 op_sel:[0,1,0]
	v_pk_fma_f16 v75, v122, v116, v75 op_sel:[0,1,0]
	v_pk_fma_f16 v76, v122, v117, v76 op_sel_hi:[1,0,1]
	v_pk_fma_f16 v52, v123, v117, v52 op_sel:[0,1,0]
	v_pk_fma_f16 v53, v124, v116, v53 op_sel_hi:[1,0,1]
	v_pk_fma_f16 v7, v142, v154, v7 op_sel_hi:[1,0,1]
	v_pk_fma_f16 v10, v142, v154, v10 op_sel:[0,1,0]
	v_pk_fma_f16 v11, v142, v155, v11 op_sel_hi:[1,0,1]
	v_pk_fma_f16 v66, v143, v154, v66 op_sel:[0,1,0]
	v_pk_fma_f16 v67, v143, v155, v67 op_sel_hi:[1,0,1]
	v_pk_fma_f16 v68, v144, v154, v68 op_sel_hi:[1,0,1]
	v_pk_fma_f16 v71, v144, v154, v71 op_sel:[0,1,0]
	v_pk_fma_f16 v72, v144, v155, v72 op_sel_hi:[1,0,1]
	v_pk_fma_f16 v69, v145, v154, v69 op_sel_hi:[1,0,1]
	v_pk_fma_f16 v73, v145, v154, v73 op_sel:[0,1,0]
	v_pk_fma_f16 v74, v145, v155, v74 op_sel_hi:[1,0,1]
	;; [unrolled: 24-line block ×3, first 2 shown]
	v_pk_fma_f16 v100, v162, v156, v70 op_sel_hi:[1,0,1]
	v_pk_fma_f16 v101, v163, v156, v63 op_sel_hi:[1,0,1]
	v_pk_fma_f16 v102, v163, v156, v8 op_sel:[0,1,0]
	v_pk_fma_f16 v103, v163, v157, v9 op_sel_hi:[1,0,1]
	v_pk_fma_f16 v104, v164, v157, v64 op_sel_hi:[1,0,1]
	;; [unrolled: 1-line block ×3, first 2 shown]
	v_pk_fma_f16 v106, v165, v156, v4 op_sel:[0,1,0]
	v_pk_fma_f16 v107, v165, v157, v6 op_sel_hi:[1,0,1]
	v_pk_fma_f16 v108, v165, v157, v5 op_sel:[0,1,0]
	ds_load_2addr_b64 v[63:66], v84 offset0:64 offset1:96
	ds_load_b128 v[67:70], v39 offset:144
	ds_load_b128 v[8:11], v39 offset:160
	;; [unrolled: 1-line block ×3, first 2 shown]
	v_pk_fma_f16 v75, v138, v152, v75 op_sel:[0,1,0]
	v_pk_fma_f16 v76, v138, v153, v76 op_sel_hi:[1,0,1]
	v_pk_fma_f16 v52, v139, v153, v52 op_sel:[0,1,0]
	v_pk_fma_f16 v53, v140, v152, v53 op_sel_hi:[1,0,1]
	s_waitcnt lgkmcnt(4)
	v_pk_fma_f16 v86, v55, v59, v86 op_sel_hi:[1,0,1]
	v_pk_fma_f16 v87, v55, v59, v87 op_sel:[0,1,0]
	v_pk_fma_f16 v88, v55, v60, v88 op_sel_hi:[1,0,1]
	v_pk_fma_f16 v90, v55, v60, v90 op_sel:[0,1,0]
	;; [unrolled: 2-line block ×7, first 2 shown]
	ds_load_2addr_b64 v[71:74], v84 offset0:128 offset1:160
	v_pk_fma_f16 v98, v58, v60, v98 op_sel_hi:[1,0,1]
	v_pk_fma_f16 v99, v58, v60, v99 op_sel:[0,1,0]
	ds_load_2addr_b64 v[55:58], v84 offset0:192 offset1:224
	v_pk_fma_f16 v75, v146, v154, v75 op_sel:[0,1,0]
	v_pk_fma_f16 v76, v146, v155, v76 op_sel_hi:[1,0,1]
	v_pk_fma_f16 v52, v147, v155, v52 op_sel:[0,1,0]
	v_pk_fma_f16 v53, v148, v154, v53 op_sel_hi:[1,0,1]
	v_pk_fma_f16 v81, v162, v157, v81 op_sel:[0,1,0]
	v_pk_fma_f16 v75, v162, v156, v75 op_sel:[0,1,0]
	v_pk_fma_f16 v76, v162, v157, v76 op_sel_hi:[1,0,1]
	v_pk_fma_f16 v52, v163, v157, v52 op_sel:[0,1,0]
	v_pk_fma_f16 v53, v164, v156, v53 op_sel_hi:[1,0,1]
	v_pk_fma_f16 v82, v164, v156, v82 op_sel:[0,1,0]
	v_pk_fma_f16 v85, v164, v157, v85 op_sel:[0,1,0]
	s_waitcnt lgkmcnt(5)
	v_pk_fma_f16 v100, v63, v59, v100 op_sel_hi:[1,0,1]
	v_pk_fma_f16 v75, v63, v59, v75 op_sel:[0,1,0]
	v_pk_fma_f16 v76, v63, v60, v76 op_sel_hi:[1,0,1]
	v_pk_fma_f16 v81, v63, v60, v81 op_sel:[0,1,0]
	;; [unrolled: 2-line block ×8, first 2 shown]
	ds_load_2addr_b64 v[63:66], v83 offset1:32
	s_waitcnt lgkmcnt(2)
	v_pk_fma_f16 v86, v71, v61, v86 op_sel_hi:[1,0,1]
	v_pk_fma_f16 v87, v71, v61, v87 op_sel:[0,1,0]
	v_pk_fma_f16 v88, v71, v62, v88 op_sel_hi:[1,0,1]
	v_pk_fma_f16 v90, v71, v62, v90 op_sel:[0,1,0]
	;; [unrolled: 2-line block ×8, first 2 shown]
	s_waitcnt lgkmcnt(1)
	v_pk_fma_f16 v100, v55, v61, v100 op_sel_hi:[1,0,1]
	v_pk_fma_f16 v75, v55, v61, v75 op_sel:[0,1,0]
	v_pk_fma_f16 v76, v55, v62, v76 op_sel_hi:[1,0,1]
	v_pk_fma_f16 v81, v55, v62, v81 op_sel:[0,1,0]
	;; [unrolled: 2-line block ×7, first 2 shown]
	ds_load_2addr_b64 v[71:74], v83 offset0:64 offset1:96
	v_pk_fma_f16 v106, v58, v62, v106 op_sel_hi:[1,0,1]
	v_pk_fma_f16 v110, v58, v62, v60 op_sel:[0,1,0]
	ds_load_2addr_b64 v[55:58], v83 offset0:128 offset1:160
	s_waitcnt lgkmcnt(2)
	v_pk_fma_f16 v86, v63, v67, v86 op_sel_hi:[1,0,1]
	v_pk_fma_f16 v87, v63, v67, v87 op_sel:[0,1,0]
	v_pk_fma_f16 v88, v63, v68, v88 op_sel_hi:[1,0,1]
	v_pk_fma_f16 v63, v63, v68, v90 op_sel:[0,1,0]
	;; [unrolled: 2-line block ×8, first 2 shown]
	s_waitcnt lgkmcnt(1)
	v_pk_fma_f16 v100, v71, v67, v100 op_sel_hi:[1,0,1]
	v_pk_fma_f16 v75, v71, v67, v75 op_sel:[0,1,0]
	v_pk_fma_f16 v76, v71, v68, v76 op_sel_hi:[1,0,1]
	v_pk_fma_f16 v71, v71, v68, v81 op_sel:[0,1,0]
	;; [unrolled: 2-line block ×7, first 2 shown]
	ds_load_2addr_b64 v[59:62], v83 offset0:192 offset1:224
	v_pk_fma_f16 v103, v74, v68, v106 op_sel_hi:[1,0,1]
	v_pk_fma_f16 v68, v74, v68, v110 op_sel:[0,1,0]
	s_waitcnt lgkmcnt(1)
	v_pk_fma_f16 v74, v55, v69, v86 op_sel_hi:[1,0,1]
	v_pk_fma_f16 v86, v55, v69, v87 op_sel:[0,1,0]
	v_pk_fma_f16 v87, v55, v70, v88 op_sel_hi:[1,0,1]
	v_pk_fma_f16 v88, v55, v70, v63 op_sel:[0,1,0]
	v_pk_fma_f16 v104, v56, v70, v64 op_sel:[0,1,0]
	;; [unrolled: 1-line block ×3, first 2 shown]
	ds_load_2addr_b64 v[63:66], v50 offset1:32
	v_pk_fma_f16 v90, v56, v69, v90 op_sel_hi:[1,0,1]
	v_pk_fma_f16 v91, v56, v69, v91 op_sel:[0,1,0]
	v_pk_fma_f16 v92, v56, v70, v92 op_sel_hi:[1,0,1]
	v_pk_fma_f16 v93, v57, v69, v93 op_sel_hi:[1,0,1]
	v_pk_fma_f16 v94, v57, v69, v94 op_sel:[0,1,0]
	v_pk_fma_f16 v95, v57, v70, v95 op_sel_hi:[1,0,1]
	;; [unrolled: 3-line block ×3, first 2 shown]
	v_pk_fma_f16 v99, v58, v70, v99 op_sel:[0,1,0]
	ds_load_2addr_b64 v[55:58], v50 offset0:64 offset1:96
	s_or_b32 s4, s13, 32
	s_waitcnt lgkmcnt(2)
	v_pk_fma_f16 v100, v59, v69, v100 op_sel_hi:[1,0,1]
	v_pk_fma_f16 v75, v59, v69, v75 op_sel:[0,1,0]
	v_pk_fma_f16 v76, v59, v70, v76 op_sel_hi:[1,0,1]
	v_pk_fma_f16 v71, v59, v70, v71 op_sel:[0,1,0]
	;; [unrolled: 2-line block ×8, first 2 shown]
	s_waitcnt lgkmcnt(1)
	v_pk_fma_f16 v70, v63, v8, v74 op_sel_hi:[1,0,1]
	v_pk_fma_f16 v74, v63, v8, v86 op_sel:[0,1,0]
	v_pk_fma_f16 v86, v63, v9, v87 op_sel_hi:[1,0,1]
	v_pk_fma_f16 v87, v63, v9, v88 op_sel:[0,1,0]
	;; [unrolled: 2-line block ×7, first 2 shown]
	ds_load_2addr_b64 v[59:62], v50 offset0:128 offset1:160
	v_pk_fma_f16 v98, v66, v9, v98 op_sel_hi:[1,0,1]
	v_pk_fma_f16 v99, v66, v9, v99 op_sel:[0,1,0]
	ds_load_2addr_b64 v[63:66], v50 offset0:192 offset1:224
	s_mul_hi_i32 s19, s4, s10
	s_mul_i32 s18, s4, s10
	s_waitcnt lgkmcnt(2)
	v_pk_fma_f16 v100, v55, v8, v100 op_sel_hi:[1,0,1]
	s_lshl_b64 s[18:19], s[18:19], 2
	v_pk_fma_f16 v75, v55, v8, v75 op_sel:[0,1,0]
	s_add_u32 s4, s11, s18
	v_pk_fma_f16 v76, v55, v9, v76 op_sel_hi:[1,0,1]
	v_pk_fma_f16 v55, v55, v9, v71 op_sel:[0,1,0]
	v_pk_fma_f16 v71, v56, v8, v81 op_sel_hi:[1,0,1]
	v_pk_fma_f16 v81, v56, v8, v101 op_sel:[0,1,0]
	;; [unrolled: 2-line block ×4, first 2 shown]
	s_addc_u32 s17, s16, s19
	v_add_co_u32 v8, vcc_lo, s4, v27
	v_pk_fma_f16 v182, v56, v9, v102 op_sel_hi:[1,0,1]
	v_pk_fma_f16 v183, v56, v9, v52 op_sel:[0,1,0]
	v_pk_fma_f16 v82, v57, v9, v82 op_sel_hi:[1,0,1]
	v_pk_fma_f16 v186, v57, v9, v73 op_sel:[0,1,0]
	;; [unrolled: 2-line block ×3, first 2 shown]
	v_add_co_ci_u32_e32 v9, vcc_lo, s17, v28, vcc_lo
	v_add_co_u32 v52, vcc_lo, s4, v29
	v_add_co_ci_u32_e32 v53, vcc_lo, s17, v30, vcc_lo
	v_add_co_u32 v8, vcc_lo, v8, v89
	s_delay_alu instid0(VALU_DEP_4) | instskip(NEXT) | instid1(VALU_DEP_4)
	v_add_co_ci_u32_e32 v9, vcc_lo, 0, v9, vcc_lo
	v_add_co_u32 v52, vcc_lo, v52, v89
	s_delay_alu instid0(VALU_DEP_4)
	v_add_co_ci_u32_e32 v53, vcc_lo, 0, v53, vcc_lo
	s_waitcnt lgkmcnt(1)
	v_pk_fma_f16 v191, v59, v10, v70 op_sel_hi:[1,0,1]
	v_pk_fma_f16 v192, v59, v10, v74 op_sel:[0,1,0]
	v_pk_fma_f16 v193, v59, v11, v86 op_sel_hi:[1,0,1]
	v_pk_fma_f16 v194, v59, v11, v87 op_sel:[0,1,0]
	v_pk_fma_f16 v195, v60, v10, v88 op_sel_hi:[1,0,1]
	v_pk_fma_f16 v196, v60, v10, v90 op_sel:[0,1,0]
	v_pk_fma_f16 v197, v60, v11, v91 op_sel_hi:[1,0,1]
	v_pk_fma_f16 v198, v60, v11, v92 op_sel:[0,1,0]
	v_pk_fma_f16 v199, v61, v10, v93 op_sel_hi:[1,0,1]
	v_pk_fma_f16 v200, v61, v10, v94 op_sel:[0,1,0]
	v_pk_fma_f16 v201, v61, v11, v95 op_sel_hi:[1,0,1]
	v_pk_fma_f16 v202, v61, v11, v103 op_sel:[0,1,0]
	v_pk_fma_f16 v203, v62, v10, v96 op_sel_hi:[1,0,1]
	v_pk_fma_f16 v204, v62, v10, v97 op_sel:[0,1,0]
	v_pk_fma_f16 v205, v62, v11, v98 op_sel_hi:[1,0,1]
	v_pk_fma_f16 v206, v62, v11, v99 op_sel:[0,1,0]
	s_waitcnt lgkmcnt(0)
	v_pk_fma_f16 v207, v63, v10, v100 op_sel_hi:[1,0,1]
	v_pk_fma_f16 v75, v63, v10, v75 op_sel:[0,1,0]
	v_pk_fma_f16 v76, v63, v11, v76 op_sel_hi:[1,0,1]
	v_pk_fma_f16 v63, v63, v11, v55 op_sel:[0,1,0]
	v_pk_fma_f16 v208, v64, v10, v71 op_sel_hi:[1,0,1]
	ds_load_2addr_b64 v[55:58], v51 offset1:32
	ds_load_2addr_b64 v[59:62], v51 offset0:64 offset1:96
	ds_load_2addr_b64 v[67:70], v51 offset0:128 offset1:160
	;; [unrolled: 1-line block ×3, first 2 shown]
	ds_load_2addr_b64 v[85:88], v49 offset1:32
	ds_load_2addr_b64 v[90:93], v49 offset0:64 offset1:96
	ds_load_2addr_b64 v[94:97], v49 offset0:128 offset1:160
	;; [unrolled: 1-line block ×3, first 2 shown]
	ds_load_2addr_b64 v[102:105], v48 offset1:32
	ds_load_2addr_b64 v[106:109], v48 offset0:64 offset1:96
	ds_load_b128 v[110:113], v39 offset:192
	ds_load_b128 v[114:117], v39 offset:208
	ds_load_2addr_b64 v[118:121], v48 offset0:128 offset1:160
	ds_load_2addr_b64 v[122:125], v48 offset0:192 offset1:224
	ds_load_2addr_b64 v[126:129], v47 offset1:32
	ds_load_2addr_b64 v[130:133], v47 offset0:64 offset1:96
	ds_load_2addr_b64 v[134:137], v47 offset0:128 offset1:160
	;; [unrolled: 1-line block ×3, first 2 shown]
	ds_load_2addr_b64 v[142:145], v46 offset1:32
	ds_load_2addr_b64 v[146:149], v46 offset0:64 offset1:96
	ds_load_b128 v[150:153], v39 offset:224
	ds_load_b128 v[154:157], v39 offset:240
	ds_load_2addr_b64 v[158:161], v46 offset0:128 offset1:160
	ds_load_2addr_b64 v[162:165], v46 offset0:192 offset1:224
	s_waitcnt lgkmcnt(0)
	s_barrier
	buffer_gl0_inv
	s_clause 0x3
	global_load_b128 v[166:169], v[8:9], off
	global_load_b128 v[170:173], v[8:9], off offset:512
	global_load_b128 v[174:177], v[52:53], off
	global_load_b128 v[178:181], v[52:53], off offset:512
	v_pk_fma_f16 v8, v64, v10, v81 op_sel:[0,1,0]
	v_pk_fma_f16 v9, v64, v11, v182 op_sel_hi:[1,0,1]
	v_pk_fma_f16 v52, v64, v11, v183 op_sel:[0,1,0]
	v_pk_fma_f16 v53, v65, v10, v184 op_sel_hi:[1,0,1]
	;; [unrolled: 2-line block ×24, first 2 shown]
	v_pk_fma_f16 v56, v68, v7, v56 op_sel:[0,1,0]
	v_pk_fma_f16 v57, v69, v7, v57 op_sel:[0,1,0]
	;; [unrolled: 1-line block ×4, first 2 shown]
	v_pk_fma_f16 v82, v68, v7, v187 op_sel_hi:[1,0,1]
	v_pk_fma_f16 v68, v69, v6, v188 op_sel_hi:[1,0,1]
	v_pk_fma_f16 v182, v69, v6, v189 op_sel:[0,1,0]
	v_pk_fma_f16 v183, v69, v7, v190 op_sel_hi:[1,0,1]
	v_pk_fma_f16 v69, v70, v6, v191 op_sel_hi:[1,0,1]
	v_pk_fma_f16 v184, v70, v6, v192 op_sel:[0,1,0]
	;; [unrolled: 3-line block ×3, first 2 shown]
	v_pk_fma_f16 v59, v71, v7, v59 op_sel:[0,1,0]
	v_pk_fma_f16 v63, v72, v6, v63 op_sel_hi:[1,0,1]
	v_pk_fma_f16 v8, v72, v6, v8 op_sel:[0,1,0]
	v_pk_fma_f16 v53, v73, v6, v53 op_sel_hi:[1,0,1]
	v_pk_fma_f16 v60, v73, v6, v60 op_sel:[0,1,0]
	v_pk_fma_f16 v61, v73, v7, v61 op_sel:[0,1,0]
	v_pk_fma_f16 v65, v74, v6, v65 op_sel_hi:[1,0,1]
	v_pk_fma_f16 v4, v74, v6, v4 op_sel:[0,1,0]
	v_pk_fma_f16 v6, v74, v7, v10 op_sel_hi:[1,0,1]
	v_pk_fma_f16 v10, v85, v110, v62 op_sel:[0,1,0]
	v_pk_fma_f16 v55, v85, v111, v55 op_sel:[0,1,0]
	v_pk_fma_f16 v62, v86, v110, v67 op_sel_hi:[1,0,1]
	v_pk_fma_f16 v56, v86, v111, v56 op_sel:[0,1,0]
	v_pk_fma_f16 v57, v87, v111, v57 op_sel:[0,1,0]
	;; [unrolled: 1-line block ×7, first 2 shown]
	v_pk_fma_f16 v62, v95, v112, v62 op_sel_hi:[1,0,1]
	v_pk_fma_f16 v56, v95, v113, v56 op_sel:[0,1,0]
	v_pk_fma_f16 v57, v96, v113, v57 op_sel:[0,1,0]
	;; [unrolled: 1-line block ×7, first 2 shown]
	v_pk_fma_f16 v62, v103, v114, v62 op_sel_hi:[1,0,1]
	v_pk_fma_f16 v56, v103, v115, v56 op_sel:[0,1,0]
	v_pk_fma_f16 v57, v104, v115, v57 op_sel:[0,1,0]
	;; [unrolled: 1-line block ×3, first 2 shown]
	v_pk_fma_f16 v9, v72, v7, v9 op_sel_hi:[1,0,1]
	v_pk_fma_f16 v64, v73, v7, v64 op_sel_hi:[1,0,1]
	v_pk_fma_f16 v5, v74, v7, v5 op_sel:[0,1,0]
	v_pk_fma_f16 v76, v71, v7, v76 op_sel_hi:[1,0,1]
	v_pk_fma_f16 v52, v72, v7, v52 op_sel:[0,1,0]
	v_pk_fma_f16 v7, v85, v110, v11 op_sel_hi:[1,0,1]
	v_pk_fma_f16 v11, v85, v111, v66 op_sel_hi:[1,0,1]
	v_pk_fma_f16 v66, v86, v110, v81 op_sel:[0,1,0]
	v_pk_fma_f16 v67, v86, v111, v82 op_sel_hi:[1,0,1]
	;; [unrolled: 3-line block ×4, first 2 shown]
	v_pk_fma_f16 v59, v106, v115, v59 op_sel:[0,1,0]
	v_pk_fma_f16 v60, v108, v114, v60 op_sel:[0,1,0]
	;; [unrolled: 1-line block ×4, first 2 shown]
	v_pk_fma_f16 v62, v119, v116, v62 op_sel_hi:[1,0,1]
	v_pk_fma_f16 v56, v119, v117, v56 op_sel:[0,1,0]
	v_pk_fma_f16 v57, v120, v117, v57 op_sel:[0,1,0]
	;; [unrolled: 1-line block ×3, first 2 shown]
	v_pk_fma_f16 v70, v90, v110, v70 op_sel_hi:[1,0,1]
	v_pk_fma_f16 v63, v91, v110, v63 op_sel_hi:[1,0,1]
	v_pk_fma_f16 v8, v91, v110, v8 op_sel:[0,1,0]
	v_pk_fma_f16 v9, v91, v111, v9 op_sel_hi:[1,0,1]
	v_pk_fma_f16 v64, v92, v111, v64 op_sel_hi:[1,0,1]
	;; [unrolled: 1-line block ×3, first 2 shown]
	v_pk_fma_f16 v4, v93, v110, v4 op_sel:[0,1,0]
	v_pk_fma_f16 v6, v93, v111, v6 op_sel_hi:[1,0,1]
	v_pk_fma_f16 v5, v93, v111, v5 op_sel:[0,1,0]
	v_pk_fma_f16 v7, v94, v112, v7 op_sel_hi:[1,0,1]
	;; [unrolled: 2-line block ×4, first 2 shown]
	v_pk_fma_f16 v68, v96, v112, v68 op_sel_hi:[1,0,1]
	v_pk_fma_f16 v71, v96, v112, v71 op_sel:[0,1,0]
	v_pk_fma_f16 v72, v96, v113, v72 op_sel_hi:[1,0,1]
	v_pk_fma_f16 v69, v97, v112, v69 op_sel_hi:[1,0,1]
	v_pk_fma_f16 v73, v97, v112, v73 op_sel:[0,1,0]
	v_pk_fma_f16 v74, v97, v113, v74 op_sel_hi:[1,0,1]
	v_pk_fma_f16 v59, v122, v117, v59 op_sel:[0,1,0]
	v_pk_fma_f16 v60, v124, v116, v60 op_sel:[0,1,0]
	;; [unrolled: 1-line block ×4, first 2 shown]
	v_pk_fma_f16 v62, v127, v150, v62 op_sel_hi:[1,0,1]
	v_pk_fma_f16 v56, v127, v151, v56 op_sel:[0,1,0]
	v_pk_fma_f16 v57, v128, v151, v57 op_sel:[0,1,0]
	;; [unrolled: 1-line block ×3, first 2 shown]
	v_pk_fma_f16 v70, v98, v112, v70 op_sel_hi:[1,0,1]
	v_pk_fma_f16 v63, v99, v112, v63 op_sel_hi:[1,0,1]
	v_pk_fma_f16 v8, v99, v112, v8 op_sel:[0,1,0]
	v_pk_fma_f16 v9, v99, v113, v9 op_sel_hi:[1,0,1]
	v_pk_fma_f16 v64, v100, v113, v64 op_sel_hi:[1,0,1]
	;; [unrolled: 1-line block ×3, first 2 shown]
	v_pk_fma_f16 v4, v101, v112, v4 op_sel:[0,1,0]
	v_pk_fma_f16 v6, v101, v113, v6 op_sel_hi:[1,0,1]
	v_pk_fma_f16 v5, v101, v113, v5 op_sel:[0,1,0]
	v_pk_fma_f16 v7, v102, v114, v7 op_sel_hi:[1,0,1]
	;; [unrolled: 2-line block ×4, first 2 shown]
	v_pk_fma_f16 v68, v104, v114, v68 op_sel_hi:[1,0,1]
	v_pk_fma_f16 v71, v104, v114, v71 op_sel:[0,1,0]
	v_pk_fma_f16 v72, v104, v115, v72 op_sel_hi:[1,0,1]
	v_pk_fma_f16 v69, v105, v114, v69 op_sel_hi:[1,0,1]
	v_pk_fma_f16 v73, v105, v114, v73 op_sel:[0,1,0]
	v_pk_fma_f16 v74, v105, v115, v74 op_sel_hi:[1,0,1]
	v_pk_fma_f16 v59, v130, v151, v59 op_sel:[0,1,0]
	v_pk_fma_f16 v60, v132, v150, v60 op_sel:[0,1,0]
	;; [unrolled: 1-line block ×4, first 2 shown]
	v_pk_fma_f16 v62, v135, v152, v62 op_sel_hi:[1,0,1]
	v_pk_fma_f16 v56, v135, v153, v56 op_sel:[0,1,0]
	v_pk_fma_f16 v57, v136, v153, v57 op_sel:[0,1,0]
	;; [unrolled: 1-line block ×3, first 2 shown]
	v_pk_fma_f16 v70, v106, v114, v70 op_sel_hi:[1,0,1]
	v_pk_fma_f16 v63, v107, v114, v63 op_sel_hi:[1,0,1]
	v_pk_fma_f16 v8, v107, v114, v8 op_sel:[0,1,0]
	v_pk_fma_f16 v9, v107, v115, v9 op_sel_hi:[1,0,1]
	v_pk_fma_f16 v64, v108, v115, v64 op_sel_hi:[1,0,1]
	;; [unrolled: 1-line block ×3, first 2 shown]
	v_pk_fma_f16 v4, v109, v114, v4 op_sel:[0,1,0]
	v_pk_fma_f16 v6, v109, v115, v6 op_sel_hi:[1,0,1]
	v_pk_fma_f16 v5, v109, v115, v5 op_sel:[0,1,0]
	v_pk_fma_f16 v75, v90, v110, v75 op_sel:[0,1,0]
	v_pk_fma_f16 v76, v90, v111, v76 op_sel_hi:[1,0,1]
	v_pk_fma_f16 v52, v91, v111, v52 op_sel:[0,1,0]
	v_pk_fma_f16 v53, v92, v110, v53 op_sel_hi:[1,0,1]
	v_pk_fma_f16 v7, v118, v116, v7 op_sel_hi:[1,0,1]
	v_pk_fma_f16 v10, v118, v116, v10 op_sel:[0,1,0]
	v_pk_fma_f16 v11, v118, v117, v11 op_sel_hi:[1,0,1]
	v_pk_fma_f16 v66, v119, v116, v66 op_sel:[0,1,0]
	v_pk_fma_f16 v67, v119, v117, v67 op_sel_hi:[1,0,1]
	v_pk_fma_f16 v68, v120, v116, v68 op_sel_hi:[1,0,1]
	v_pk_fma_f16 v71, v120, v116, v71 op_sel:[0,1,0]
	v_pk_fma_f16 v72, v120, v117, v72 op_sel_hi:[1,0,1]
	;; [unrolled: 3-line block ×3, first 2 shown]
	v_pk_fma_f16 v59, v138, v153, v59 op_sel:[0,1,0]
	v_pk_fma_f16 v60, v140, v152, v60 op_sel:[0,1,0]
	;; [unrolled: 1-line block ×4, first 2 shown]
	v_pk_fma_f16 v62, v143, v154, v62 op_sel_hi:[1,0,1]
	v_pk_fma_f16 v56, v143, v155, v56 op_sel:[0,1,0]
	v_pk_fma_f16 v57, v144, v155, v57 op_sel:[0,1,0]
	;; [unrolled: 1-line block ×3, first 2 shown]
	v_pk_fma_f16 v70, v122, v116, v70 op_sel_hi:[1,0,1]
	v_pk_fma_f16 v63, v123, v116, v63 op_sel_hi:[1,0,1]
	v_pk_fma_f16 v8, v123, v116, v8 op_sel:[0,1,0]
	v_pk_fma_f16 v9, v123, v117, v9 op_sel_hi:[1,0,1]
	v_pk_fma_f16 v64, v124, v117, v64 op_sel_hi:[1,0,1]
	;; [unrolled: 1-line block ×3, first 2 shown]
	v_pk_fma_f16 v4, v125, v116, v4 op_sel:[0,1,0]
	v_pk_fma_f16 v6, v125, v117, v6 op_sel_hi:[1,0,1]
	v_pk_fma_f16 v5, v125, v117, v5 op_sel:[0,1,0]
	v_pk_fma_f16 v75, v98, v112, v75 op_sel:[0,1,0]
	v_pk_fma_f16 v76, v98, v113, v76 op_sel_hi:[1,0,1]
	v_pk_fma_f16 v52, v99, v113, v52 op_sel:[0,1,0]
	v_pk_fma_f16 v53, v100, v112, v53 op_sel_hi:[1,0,1]
	v_pk_fma_f16 v7, v126, v150, v7 op_sel_hi:[1,0,1]
	v_pk_fma_f16 v10, v126, v150, v10 op_sel:[0,1,0]
	v_pk_fma_f16 v11, v126, v151, v11 op_sel_hi:[1,0,1]
	v_pk_fma_f16 v66, v127, v150, v66 op_sel:[0,1,0]
	v_pk_fma_f16 v67, v127, v151, v67 op_sel_hi:[1,0,1]
	v_pk_fma_f16 v68, v128, v150, v68 op_sel_hi:[1,0,1]
	v_pk_fma_f16 v71, v128, v150, v71 op_sel:[0,1,0]
	v_pk_fma_f16 v72, v128, v151, v72 op_sel_hi:[1,0,1]
	;; [unrolled: 3-line block ×3, first 2 shown]
	v_pk_fma_f16 v81, v146, v155, v59 op_sel:[0,1,0]
	v_pk_fma_f16 v82, v148, v154, v60 op_sel:[0,1,0]
	;; [unrolled: 1-line block ×4, first 2 shown]
	v_pk_fma_f16 v91, v159, v156, v62 op_sel_hi:[1,0,1]
	v_pk_fma_f16 v94, v159, v157, v56 op_sel:[0,1,0]
	v_pk_fma_f16 v96, v160, v157, v57 op_sel:[0,1,0]
	;; [unrolled: 1-line block ×3, first 2 shown]
	s_waitcnt vmcnt(3)
	ds_store_b128 v41, v[166:169]
	s_waitcnt vmcnt(2)
	ds_store_b128 v42, v[170:173]
	;; [unrolled: 2-line block ×4, first 2 shown]
	s_waitcnt lgkmcnt(0)
	s_barrier
	buffer_gl0_inv
	ds_load_2addr_b64 v[55:58], v84 offset1:32
	ds_load_b128 v[59:62], v39 offset:256
	v_pk_fma_f16 v70, v130, v150, v70 op_sel_hi:[1,0,1]
	v_pk_fma_f16 v63, v131, v150, v63 op_sel_hi:[1,0,1]
	v_pk_fma_f16 v8, v131, v150, v8 op_sel:[0,1,0]
	v_pk_fma_f16 v9, v131, v151, v9 op_sel_hi:[1,0,1]
	v_pk_fma_f16 v64, v132, v151, v64 op_sel_hi:[1,0,1]
	v_pk_fma_f16 v65, v133, v150, v65 op_sel_hi:[1,0,1]
	v_pk_fma_f16 v4, v133, v150, v4 op_sel:[0,1,0]
	v_pk_fma_f16 v6, v133, v151, v6 op_sel_hi:[1,0,1]
	v_pk_fma_f16 v5, v133, v151, v5 op_sel:[0,1,0]
	v_pk_fma_f16 v75, v106, v114, v75 op_sel:[0,1,0]
	v_pk_fma_f16 v76, v106, v115, v76 op_sel_hi:[1,0,1]
	v_pk_fma_f16 v52, v107, v115, v52 op_sel:[0,1,0]
	v_pk_fma_f16 v53, v108, v114, v53 op_sel_hi:[1,0,1]
	v_pk_fma_f16 v7, v134, v152, v7 op_sel_hi:[1,0,1]
	v_pk_fma_f16 v10, v134, v152, v10 op_sel:[0,1,0]
	v_pk_fma_f16 v11, v134, v153, v11 op_sel_hi:[1,0,1]
	v_pk_fma_f16 v66, v135, v152, v66 op_sel:[0,1,0]
	v_pk_fma_f16 v67, v135, v153, v67 op_sel_hi:[1,0,1]
	v_pk_fma_f16 v68, v136, v152, v68 op_sel_hi:[1,0,1]
	v_pk_fma_f16 v71, v136, v152, v71 op_sel:[0,1,0]
	v_pk_fma_f16 v72, v136, v153, v72 op_sel_hi:[1,0,1]
	v_pk_fma_f16 v69, v137, v152, v69 op_sel_hi:[1,0,1]
	v_pk_fma_f16 v73, v137, v152, v73 op_sel:[0,1,0]
	v_pk_fma_f16 v74, v137, v153, v74 op_sel_hi:[1,0,1]
	v_pk_fma_f16 v70, v138, v152, v70 op_sel_hi:[1,0,1]
	v_pk_fma_f16 v63, v139, v152, v63 op_sel_hi:[1,0,1]
	v_pk_fma_f16 v8, v139, v152, v8 op_sel:[0,1,0]
	v_pk_fma_f16 v9, v139, v153, v9 op_sel_hi:[1,0,1]
	v_pk_fma_f16 v64, v140, v153, v64 op_sel_hi:[1,0,1]
	v_pk_fma_f16 v65, v141, v152, v65 op_sel_hi:[1,0,1]
	v_pk_fma_f16 v4, v141, v152, v4 op_sel:[0,1,0]
	v_pk_fma_f16 v6, v141, v153, v6 op_sel_hi:[1,0,1]
	v_pk_fma_f16 v5, v141, v153, v5 op_sel:[0,1,0]
	v_pk_fma_f16 v75, v122, v116, v75 op_sel:[0,1,0]
	v_pk_fma_f16 v76, v122, v117, v76 op_sel_hi:[1,0,1]
	v_pk_fma_f16 v52, v123, v117, v52 op_sel:[0,1,0]
	v_pk_fma_f16 v53, v124, v116, v53 op_sel_hi:[1,0,1]
	v_pk_fma_f16 v7, v142, v154, v7 op_sel_hi:[1,0,1]
	v_pk_fma_f16 v10, v142, v154, v10 op_sel:[0,1,0]
	v_pk_fma_f16 v11, v142, v155, v11 op_sel_hi:[1,0,1]
	v_pk_fma_f16 v66, v143, v154, v66 op_sel:[0,1,0]
	v_pk_fma_f16 v67, v143, v155, v67 op_sel_hi:[1,0,1]
	v_pk_fma_f16 v68, v144, v154, v68 op_sel_hi:[1,0,1]
	v_pk_fma_f16 v71, v144, v154, v71 op_sel:[0,1,0]
	v_pk_fma_f16 v72, v144, v155, v72 op_sel_hi:[1,0,1]
	v_pk_fma_f16 v69, v145, v154, v69 op_sel_hi:[1,0,1]
	v_pk_fma_f16 v73, v145, v154, v73 op_sel:[0,1,0]
	v_pk_fma_f16 v74, v145, v155, v74 op_sel_hi:[1,0,1]
	;; [unrolled: 24-line block ×3, first 2 shown]
	v_pk_fma_f16 v100, v162, v156, v70 op_sel_hi:[1,0,1]
	v_pk_fma_f16 v101, v163, v156, v63 op_sel_hi:[1,0,1]
	v_pk_fma_f16 v102, v163, v156, v8 op_sel:[0,1,0]
	v_pk_fma_f16 v103, v163, v157, v9 op_sel_hi:[1,0,1]
	v_pk_fma_f16 v104, v164, v157, v64 op_sel_hi:[1,0,1]
	;; [unrolled: 1-line block ×3, first 2 shown]
	v_pk_fma_f16 v106, v165, v156, v4 op_sel:[0,1,0]
	v_pk_fma_f16 v107, v165, v157, v6 op_sel_hi:[1,0,1]
	v_pk_fma_f16 v108, v165, v157, v5 op_sel:[0,1,0]
	ds_load_2addr_b64 v[63:66], v84 offset0:64 offset1:96
	ds_load_b128 v[67:70], v39 offset:272
	ds_load_b128 v[8:11], v39 offset:288
	;; [unrolled: 1-line block ×3, first 2 shown]
	v_pk_fma_f16 v75, v138, v152, v75 op_sel:[0,1,0]
	v_pk_fma_f16 v76, v138, v153, v76 op_sel_hi:[1,0,1]
	v_pk_fma_f16 v52, v139, v153, v52 op_sel:[0,1,0]
	v_pk_fma_f16 v53, v140, v152, v53 op_sel_hi:[1,0,1]
	s_waitcnt lgkmcnt(4)
	v_pk_fma_f16 v86, v55, v59, v86 op_sel_hi:[1,0,1]
	v_pk_fma_f16 v87, v55, v59, v87 op_sel:[0,1,0]
	v_pk_fma_f16 v88, v55, v60, v88 op_sel_hi:[1,0,1]
	v_pk_fma_f16 v90, v55, v60, v90 op_sel:[0,1,0]
	;; [unrolled: 2-line block ×7, first 2 shown]
	ds_load_2addr_b64 v[71:74], v84 offset0:128 offset1:160
	v_pk_fma_f16 v98, v58, v60, v98 op_sel_hi:[1,0,1]
	v_pk_fma_f16 v99, v58, v60, v99 op_sel:[0,1,0]
	ds_load_2addr_b64 v[55:58], v84 offset0:192 offset1:224
	v_pk_fma_f16 v75, v146, v154, v75 op_sel:[0,1,0]
	v_pk_fma_f16 v76, v146, v155, v76 op_sel_hi:[1,0,1]
	v_pk_fma_f16 v52, v147, v155, v52 op_sel:[0,1,0]
	v_pk_fma_f16 v53, v148, v154, v53 op_sel_hi:[1,0,1]
	v_pk_fma_f16 v81, v162, v157, v81 op_sel:[0,1,0]
	v_pk_fma_f16 v75, v162, v156, v75 op_sel:[0,1,0]
	v_pk_fma_f16 v76, v162, v157, v76 op_sel_hi:[1,0,1]
	v_pk_fma_f16 v52, v163, v157, v52 op_sel:[0,1,0]
	v_pk_fma_f16 v53, v164, v156, v53 op_sel_hi:[1,0,1]
	v_pk_fma_f16 v82, v164, v156, v82 op_sel:[0,1,0]
	v_pk_fma_f16 v85, v164, v157, v85 op_sel:[0,1,0]
	s_waitcnt lgkmcnt(5)
	v_pk_fma_f16 v100, v63, v59, v100 op_sel_hi:[1,0,1]
	v_pk_fma_f16 v75, v63, v59, v75 op_sel:[0,1,0]
	v_pk_fma_f16 v76, v63, v60, v76 op_sel_hi:[1,0,1]
	v_pk_fma_f16 v81, v63, v60, v81 op_sel:[0,1,0]
	;; [unrolled: 2-line block ×8, first 2 shown]
	ds_load_2addr_b64 v[63:66], v83 offset1:32
	s_waitcnt lgkmcnt(2)
	v_pk_fma_f16 v86, v71, v61, v86 op_sel_hi:[1,0,1]
	v_pk_fma_f16 v87, v71, v61, v87 op_sel:[0,1,0]
	v_pk_fma_f16 v88, v71, v62, v88 op_sel_hi:[1,0,1]
	v_pk_fma_f16 v90, v71, v62, v90 op_sel:[0,1,0]
	;; [unrolled: 2-line block ×8, first 2 shown]
	s_waitcnt lgkmcnt(1)
	v_pk_fma_f16 v100, v55, v61, v100 op_sel_hi:[1,0,1]
	v_pk_fma_f16 v75, v55, v61, v75 op_sel:[0,1,0]
	v_pk_fma_f16 v76, v55, v62, v76 op_sel_hi:[1,0,1]
	v_pk_fma_f16 v81, v55, v62, v81 op_sel:[0,1,0]
	;; [unrolled: 2-line block ×7, first 2 shown]
	ds_load_2addr_b64 v[71:74], v83 offset0:64 offset1:96
	v_pk_fma_f16 v106, v58, v62, v106 op_sel_hi:[1,0,1]
	v_pk_fma_f16 v110, v58, v62, v60 op_sel:[0,1,0]
	ds_load_2addr_b64 v[55:58], v83 offset0:128 offset1:160
	s_waitcnt lgkmcnt(2)
	v_pk_fma_f16 v86, v63, v67, v86 op_sel_hi:[1,0,1]
	v_pk_fma_f16 v87, v63, v67, v87 op_sel:[0,1,0]
	v_pk_fma_f16 v88, v63, v68, v88 op_sel_hi:[1,0,1]
	v_pk_fma_f16 v63, v63, v68, v90 op_sel:[0,1,0]
	v_pk_fma_f16 v90, v64, v67, v91 op_sel_hi:[1,0,1]
	v_pk_fma_f16 v91, v64, v67, v92 op_sel:[0,1,0]
	v_pk_fma_f16 v92, v64, v68, v93 op_sel_hi:[1,0,1]
	v_pk_fma_f16 v64, v64, v68, v94 op_sel:[0,1,0]
	v_pk_fma_f16 v93, v65, v67, v95 op_sel_hi:[1,0,1]
	v_pk_fma_f16 v94, v65, v67, v107 op_sel:[0,1,0]
	v_pk_fma_f16 v95, v65, v68, v108 op_sel_hi:[1,0,1]
	v_pk_fma_f16 v65, v65, v68, v96 op_sel:[0,1,0]
	v_pk_fma_f16 v96, v66, v67, v97 op_sel_hi:[1,0,1]
	v_pk_fma_f16 v97, v66, v67, v109 op_sel:[0,1,0]
	v_pk_fma_f16 v98, v66, v68, v98 op_sel_hi:[1,0,1]
	v_pk_fma_f16 v99, v66, v68, v99 op_sel:[0,1,0]
	s_waitcnt lgkmcnt(1)
	v_pk_fma_f16 v100, v71, v67, v100 op_sel_hi:[1,0,1]
	v_pk_fma_f16 v75, v71, v67, v75 op_sel:[0,1,0]
	v_pk_fma_f16 v76, v71, v68, v76 op_sel_hi:[1,0,1]
	v_pk_fma_f16 v71, v71, v68, v81 op_sel:[0,1,0]
	;; [unrolled: 2-line block ×7, first 2 shown]
	ds_load_2addr_b64 v[59:62], v83 offset0:192 offset1:224
	v_pk_fma_f16 v103, v74, v68, v106 op_sel_hi:[1,0,1]
	v_pk_fma_f16 v68, v74, v68, v110 op_sel:[0,1,0]
	s_waitcnt lgkmcnt(1)
	v_pk_fma_f16 v74, v55, v69, v86 op_sel_hi:[1,0,1]
	v_pk_fma_f16 v86, v55, v69, v87 op_sel:[0,1,0]
	v_pk_fma_f16 v87, v55, v70, v88 op_sel_hi:[1,0,1]
	v_pk_fma_f16 v88, v55, v70, v63 op_sel:[0,1,0]
	v_pk_fma_f16 v104, v56, v70, v64 op_sel:[0,1,0]
	;; [unrolled: 1-line block ×3, first 2 shown]
	ds_load_2addr_b64 v[63:66], v50 offset1:32
	v_pk_fma_f16 v90, v56, v69, v90 op_sel_hi:[1,0,1]
	v_pk_fma_f16 v91, v56, v69, v91 op_sel:[0,1,0]
	v_pk_fma_f16 v92, v56, v70, v92 op_sel_hi:[1,0,1]
	v_pk_fma_f16 v93, v57, v69, v93 op_sel_hi:[1,0,1]
	v_pk_fma_f16 v94, v57, v69, v94 op_sel:[0,1,0]
	v_pk_fma_f16 v95, v57, v70, v95 op_sel_hi:[1,0,1]
	;; [unrolled: 3-line block ×3, first 2 shown]
	v_pk_fma_f16 v99, v58, v70, v99 op_sel:[0,1,0]
	ds_load_2addr_b64 v[55:58], v50 offset0:64 offset1:96
	s_or_b32 s4, s13, 48
	s_waitcnt lgkmcnt(2)
	v_pk_fma_f16 v100, v59, v69, v100 op_sel_hi:[1,0,1]
	v_pk_fma_f16 v75, v59, v69, v75 op_sel:[0,1,0]
	v_pk_fma_f16 v76, v59, v70, v76 op_sel_hi:[1,0,1]
	v_pk_fma_f16 v71, v59, v70, v71 op_sel:[0,1,0]
	v_pk_fma_f16 v81, v60, v69, v81 op_sel_hi:[1,0,1]
	v_pk_fma_f16 v101, v60, v69, v101 op_sel:[0,1,0]
	v_pk_fma_f16 v102, v60, v70, v102 op_sel_hi:[1,0,1]
	v_pk_fma_f16 v52, v60, v70, v52 op_sel:[0,1,0]
	v_pk_fma_f16 v53, v61, v69, v53 op_sel_hi:[1,0,1]
	v_pk_fma_f16 v72, v61, v69, v72 op_sel:[0,1,0]
	v_pk_fma_f16 v82, v61, v70, v82 op_sel_hi:[1,0,1]
	v_pk_fma_f16 v73, v61, v70, v73 op_sel:[0,1,0]
	v_pk_fma_f16 v85, v62, v69, v85 op_sel_hi:[1,0,1]
	v_pk_fma_f16 v67, v62, v69, v67 op_sel:[0,1,0]
	v_pk_fma_f16 v69, v62, v70, v103 op_sel_hi:[1,0,1]
	v_pk_fma_f16 v68, v62, v70, v68 op_sel:[0,1,0]
	s_waitcnt lgkmcnt(1)
	v_pk_fma_f16 v70, v63, v8, v74 op_sel_hi:[1,0,1]
	v_pk_fma_f16 v74, v63, v8, v86 op_sel:[0,1,0]
	v_pk_fma_f16 v86, v63, v9, v87 op_sel_hi:[1,0,1]
	v_pk_fma_f16 v87, v63, v9, v88 op_sel:[0,1,0]
	;; [unrolled: 2-line block ×7, first 2 shown]
	ds_load_2addr_b64 v[59:62], v50 offset0:128 offset1:160
	v_pk_fma_f16 v98, v66, v9, v98 op_sel_hi:[1,0,1]
	v_pk_fma_f16 v99, v66, v9, v99 op_sel:[0,1,0]
	ds_load_2addr_b64 v[63:66], v50 offset0:192 offset1:224
	s_mul_hi_i32 s19, s4, s10
	s_mul_i32 s18, s4, s10
	s_waitcnt lgkmcnt(2)
	v_pk_fma_f16 v100, v55, v8, v100 op_sel_hi:[1,0,1]
	s_lshl_b64 s[18:19], s[18:19], 2
	v_pk_fma_f16 v75, v55, v8, v75 op_sel:[0,1,0]
	s_add_u32 s4, s11, s18
	v_pk_fma_f16 v76, v55, v9, v76 op_sel_hi:[1,0,1]
	v_pk_fma_f16 v55, v55, v9, v71 op_sel:[0,1,0]
	v_pk_fma_f16 v71, v56, v8, v81 op_sel_hi:[1,0,1]
	v_pk_fma_f16 v81, v56, v8, v101 op_sel:[0,1,0]
	v_pk_fma_f16 v184, v57, v8, v53 op_sel_hi:[1,0,1]
	v_pk_fma_f16 v185, v57, v8, v72 op_sel:[0,1,0]
	v_pk_fma_f16 v187, v58, v8, v85 op_sel_hi:[1,0,1]
	v_pk_fma_f16 v188, v58, v8, v67 op_sel:[0,1,0]
	s_addc_u32 s17, s16, s19
	v_add_co_u32 v8, vcc_lo, s4, v27
	v_pk_fma_f16 v182, v56, v9, v102 op_sel_hi:[1,0,1]
	v_pk_fma_f16 v183, v56, v9, v52 op_sel:[0,1,0]
	v_pk_fma_f16 v82, v57, v9, v82 op_sel_hi:[1,0,1]
	v_pk_fma_f16 v186, v57, v9, v73 op_sel:[0,1,0]
	v_pk_fma_f16 v189, v58, v9, v69 op_sel_hi:[1,0,1]
	v_pk_fma_f16 v190, v58, v9, v68 op_sel:[0,1,0]
	v_add_co_ci_u32_e32 v9, vcc_lo, s17, v28, vcc_lo
	v_add_co_u32 v52, vcc_lo, s4, v29
	v_add_co_ci_u32_e32 v53, vcc_lo, s17, v30, vcc_lo
	v_add_co_u32 v8, vcc_lo, v8, v89
	s_delay_alu instid0(VALU_DEP_4) | instskip(NEXT) | instid1(VALU_DEP_4)
	v_add_co_ci_u32_e32 v9, vcc_lo, 0, v9, vcc_lo
	v_add_co_u32 v52, vcc_lo, v52, v89
	s_delay_alu instid0(VALU_DEP_4)
	v_add_co_ci_u32_e32 v53, vcc_lo, 0, v53, vcc_lo
	s_waitcnt lgkmcnt(1)
	v_pk_fma_f16 v191, v59, v10, v70 op_sel_hi:[1,0,1]
	v_pk_fma_f16 v192, v59, v10, v74 op_sel:[0,1,0]
	v_pk_fma_f16 v193, v59, v11, v86 op_sel_hi:[1,0,1]
	v_pk_fma_f16 v194, v59, v11, v87 op_sel:[0,1,0]
	;; [unrolled: 2-line block ×8, first 2 shown]
	s_waitcnt lgkmcnt(0)
	v_pk_fma_f16 v207, v63, v10, v100 op_sel_hi:[1,0,1]
	v_pk_fma_f16 v75, v63, v10, v75 op_sel:[0,1,0]
	v_pk_fma_f16 v76, v63, v11, v76 op_sel_hi:[1,0,1]
	v_pk_fma_f16 v63, v63, v11, v55 op_sel:[0,1,0]
	v_pk_fma_f16 v208, v64, v10, v71 op_sel_hi:[1,0,1]
	ds_load_2addr_b64 v[55:58], v51 offset1:32
	ds_load_2addr_b64 v[59:62], v51 offset0:64 offset1:96
	ds_load_2addr_b64 v[67:70], v51 offset0:128 offset1:160
	;; [unrolled: 1-line block ×3, first 2 shown]
	ds_load_2addr_b64 v[85:88], v49 offset1:32
	ds_load_2addr_b64 v[90:93], v49 offset0:64 offset1:96
	ds_load_2addr_b64 v[94:97], v49 offset0:128 offset1:160
	;; [unrolled: 1-line block ×3, first 2 shown]
	ds_load_2addr_b64 v[102:105], v48 offset1:32
	ds_load_2addr_b64 v[106:109], v48 offset0:64 offset1:96
	ds_load_b128 v[110:113], v39 offset:320
	ds_load_b128 v[114:117], v39 offset:336
	ds_load_2addr_b64 v[118:121], v48 offset0:128 offset1:160
	ds_load_2addr_b64 v[122:125], v48 offset0:192 offset1:224
	ds_load_2addr_b64 v[126:129], v47 offset1:32
	ds_load_2addr_b64 v[130:133], v47 offset0:64 offset1:96
	ds_load_2addr_b64 v[134:137], v47 offset0:128 offset1:160
	;; [unrolled: 1-line block ×3, first 2 shown]
	ds_load_2addr_b64 v[142:145], v46 offset1:32
	ds_load_2addr_b64 v[146:149], v46 offset0:64 offset1:96
	ds_load_b128 v[150:153], v39 offset:352
	ds_load_b128 v[154:157], v39 offset:368
	ds_load_2addr_b64 v[158:161], v46 offset0:128 offset1:160
	ds_load_2addr_b64 v[162:165], v46 offset0:192 offset1:224
	s_waitcnt lgkmcnt(0)
	s_barrier
	buffer_gl0_inv
	s_clause 0x3
	global_load_b128 v[166:169], v[8:9], off
	global_load_b128 v[170:173], v[8:9], off offset:512
	global_load_b128 v[174:177], v[52:53], off
	global_load_b128 v[178:181], v[52:53], off offset:512
	v_pk_fma_f16 v8, v64, v10, v81 op_sel:[0,1,0]
	v_pk_fma_f16 v9, v64, v11, v182 op_sel_hi:[1,0,1]
	v_pk_fma_f16 v52, v64, v11, v183 op_sel:[0,1,0]
	v_pk_fma_f16 v53, v65, v10, v184 op_sel_hi:[1,0,1]
	v_pk_fma_f16 v64, v65, v10, v185 op_sel:[0,1,0]
	v_pk_fma_f16 v81, v65, v11, v82 op_sel_hi:[1,0,1]
	v_pk_fma_f16 v65, v65, v11, v186 op_sel:[0,1,0]
	v_pk_fma_f16 v82, v66, v10, v187 op_sel_hi:[1,0,1]
	v_pk_fma_f16 v10, v66, v10, v188 op_sel:[0,1,0]
	v_pk_fma_f16 v182, v66, v11, v189 op_sel_hi:[1,0,1]
	v_pk_fma_f16 v11, v66, v11, v190 op_sel:[0,1,0]
	v_pk_fma_f16 v66, v55, v4, v191 op_sel_hi:[1,0,1]
	v_pk_fma_f16 v183, v55, v4, v192 op_sel:[0,1,0]
	v_pk_fma_f16 v184, v55, v5, v193 op_sel_hi:[1,0,1]
	v_pk_fma_f16 v55, v55, v5, v194 op_sel:[0,1,0]
	v_pk_fma_f16 v185, v56, v4, v195 op_sel_hi:[1,0,1]
	v_pk_fma_f16 v186, v56, v4, v196 op_sel:[0,1,0]
	v_pk_fma_f16 v187, v56, v5, v197 op_sel_hi:[1,0,1]
	v_pk_fma_f16 v56, v56, v5, v198 op_sel:[0,1,0]
	v_pk_fma_f16 v188, v57, v4, v199 op_sel_hi:[1,0,1]
	v_pk_fma_f16 v189, v57, v4, v200 op_sel:[0,1,0]
	v_pk_fma_f16 v190, v57, v5, v201 op_sel_hi:[1,0,1]
	v_pk_fma_f16 v57, v57, v5, v202 op_sel:[0,1,0]
	v_pk_fma_f16 v191, v58, v4, v203 op_sel_hi:[1,0,1]
	v_pk_fma_f16 v192, v58, v4, v204 op_sel:[0,1,0]
	v_pk_fma_f16 v193, v58, v5, v205 op_sel_hi:[1,0,1]
	v_pk_fma_f16 v58, v58, v5, v206 op_sel:[0,1,0]
	v_pk_fma_f16 v194, v59, v4, v207 op_sel_hi:[1,0,1]
	v_pk_fma_f16 v75, v59, v4, v75 op_sel:[0,1,0]
	v_pk_fma_f16 v76, v59, v5, v76 op_sel_hi:[1,0,1]
	v_pk_fma_f16 v59, v59, v5, v63 op_sel:[0,1,0]
	v_pk_fma_f16 v63, v60, v4, v208 op_sel_hi:[1,0,1]
	v_pk_fma_f16 v8, v60, v4, v8 op_sel:[0,1,0]
	v_pk_fma_f16 v9, v60, v5, v9 op_sel_hi:[1,0,1]
	v_pk_fma_f16 v52, v60, v5, v52 op_sel:[0,1,0]
	v_pk_fma_f16 v53, v61, v4, v53 op_sel_hi:[1,0,1]
	v_pk_fma_f16 v60, v61, v4, v64 op_sel:[0,1,0]
	v_pk_fma_f16 v64, v61, v5, v81 op_sel_hi:[1,0,1]
	v_pk_fma_f16 v61, v61, v5, v65 op_sel:[0,1,0]
	v_pk_fma_f16 v65, v62, v4, v82 op_sel_hi:[1,0,1]
	v_pk_fma_f16 v4, v62, v4, v10 op_sel:[0,1,0]
	v_pk_fma_f16 v10, v62, v5, v182 op_sel_hi:[1,0,1]
	v_pk_fma_f16 v5, v62, v5, v11 op_sel:[0,1,0]
	v_pk_fma_f16 v11, v67, v6, v66 op_sel_hi:[1,0,1]
	v_pk_fma_f16 v62, v67, v6, v183 op_sel:[0,1,0]
	v_pk_fma_f16 v66, v67, v7, v184 op_sel_hi:[1,0,1]
	v_pk_fma_f16 v55, v67, v7, v55 op_sel:[0,1,0]
	v_pk_fma_f16 v67, v68, v6, v185 op_sel_hi:[1,0,1]
	v_pk_fma_f16 v56, v68, v7, v56 op_sel:[0,1,0]
	v_pk_fma_f16 v57, v69, v7, v57 op_sel:[0,1,0]
	;; [unrolled: 1-line block ×4, first 2 shown]
	v_pk_fma_f16 v82, v68, v7, v187 op_sel_hi:[1,0,1]
	v_pk_fma_f16 v68, v69, v6, v188 op_sel_hi:[1,0,1]
	v_pk_fma_f16 v182, v69, v6, v189 op_sel:[0,1,0]
	v_pk_fma_f16 v183, v69, v7, v190 op_sel_hi:[1,0,1]
	v_pk_fma_f16 v69, v70, v6, v191 op_sel_hi:[1,0,1]
	v_pk_fma_f16 v184, v70, v6, v192 op_sel:[0,1,0]
	;; [unrolled: 3-line block ×3, first 2 shown]
	v_pk_fma_f16 v59, v71, v7, v59 op_sel:[0,1,0]
	v_pk_fma_f16 v63, v72, v6, v63 op_sel_hi:[1,0,1]
	v_pk_fma_f16 v8, v72, v6, v8 op_sel:[0,1,0]
	v_pk_fma_f16 v53, v73, v6, v53 op_sel_hi:[1,0,1]
	v_pk_fma_f16 v60, v73, v6, v60 op_sel:[0,1,0]
	v_pk_fma_f16 v61, v73, v7, v61 op_sel:[0,1,0]
	v_pk_fma_f16 v65, v74, v6, v65 op_sel_hi:[1,0,1]
	v_pk_fma_f16 v4, v74, v6, v4 op_sel:[0,1,0]
	v_pk_fma_f16 v6, v74, v7, v10 op_sel_hi:[1,0,1]
	v_pk_fma_f16 v10, v85, v110, v62 op_sel:[0,1,0]
	v_pk_fma_f16 v55, v85, v111, v55 op_sel:[0,1,0]
	v_pk_fma_f16 v62, v86, v110, v67 op_sel_hi:[1,0,1]
	v_pk_fma_f16 v56, v86, v111, v56 op_sel:[0,1,0]
	v_pk_fma_f16 v57, v87, v111, v57 op_sel:[0,1,0]
	;; [unrolled: 1-line block ×7, first 2 shown]
	v_pk_fma_f16 v62, v95, v112, v62 op_sel_hi:[1,0,1]
	v_pk_fma_f16 v56, v95, v113, v56 op_sel:[0,1,0]
	v_pk_fma_f16 v57, v96, v113, v57 op_sel:[0,1,0]
	v_pk_fma_f16 v58, v97, v113, v58 op_sel:[0,1,0]
	v_pk_fma_f16 v59, v98, v113, v59 op_sel:[0,1,0]
	v_pk_fma_f16 v60, v100, v112, v60 op_sel:[0,1,0]
	v_pk_fma_f16 v61, v100, v113, v61 op_sel:[0,1,0]
	v_pk_fma_f16 v55, v102, v115, v55 op_sel:[0,1,0]
	v_pk_fma_f16 v62, v103, v114, v62 op_sel_hi:[1,0,1]
	v_pk_fma_f16 v56, v103, v115, v56 op_sel:[0,1,0]
	v_pk_fma_f16 v57, v104, v115, v57 op_sel:[0,1,0]
	;; [unrolled: 1-line block ×3, first 2 shown]
	v_pk_fma_f16 v9, v72, v7, v9 op_sel_hi:[1,0,1]
	v_pk_fma_f16 v64, v73, v7, v64 op_sel_hi:[1,0,1]
	v_pk_fma_f16 v5, v74, v7, v5 op_sel:[0,1,0]
	v_pk_fma_f16 v76, v71, v7, v76 op_sel_hi:[1,0,1]
	v_pk_fma_f16 v52, v72, v7, v52 op_sel:[0,1,0]
	v_pk_fma_f16 v7, v85, v110, v11 op_sel_hi:[1,0,1]
	v_pk_fma_f16 v11, v85, v111, v66 op_sel_hi:[1,0,1]
	v_pk_fma_f16 v66, v86, v110, v81 op_sel:[0,1,0]
	v_pk_fma_f16 v67, v86, v111, v82 op_sel_hi:[1,0,1]
	;; [unrolled: 3-line block ×4, first 2 shown]
	v_pk_fma_f16 v59, v106, v115, v59 op_sel:[0,1,0]
	v_pk_fma_f16 v60, v108, v114, v60 op_sel:[0,1,0]
	;; [unrolled: 1-line block ×4, first 2 shown]
	v_pk_fma_f16 v62, v119, v116, v62 op_sel_hi:[1,0,1]
	v_pk_fma_f16 v56, v119, v117, v56 op_sel:[0,1,0]
	v_pk_fma_f16 v57, v120, v117, v57 op_sel:[0,1,0]
	;; [unrolled: 1-line block ×3, first 2 shown]
	v_pk_fma_f16 v70, v90, v110, v70 op_sel_hi:[1,0,1]
	v_pk_fma_f16 v63, v91, v110, v63 op_sel_hi:[1,0,1]
	v_pk_fma_f16 v8, v91, v110, v8 op_sel:[0,1,0]
	v_pk_fma_f16 v9, v91, v111, v9 op_sel_hi:[1,0,1]
	v_pk_fma_f16 v64, v92, v111, v64 op_sel_hi:[1,0,1]
	;; [unrolled: 1-line block ×3, first 2 shown]
	v_pk_fma_f16 v4, v93, v110, v4 op_sel:[0,1,0]
	v_pk_fma_f16 v6, v93, v111, v6 op_sel_hi:[1,0,1]
	v_pk_fma_f16 v5, v93, v111, v5 op_sel:[0,1,0]
	v_pk_fma_f16 v7, v94, v112, v7 op_sel_hi:[1,0,1]
	;; [unrolled: 2-line block ×4, first 2 shown]
	v_pk_fma_f16 v68, v96, v112, v68 op_sel_hi:[1,0,1]
	v_pk_fma_f16 v71, v96, v112, v71 op_sel:[0,1,0]
	v_pk_fma_f16 v72, v96, v113, v72 op_sel_hi:[1,0,1]
	v_pk_fma_f16 v69, v97, v112, v69 op_sel_hi:[1,0,1]
	v_pk_fma_f16 v73, v97, v112, v73 op_sel:[0,1,0]
	v_pk_fma_f16 v74, v97, v113, v74 op_sel_hi:[1,0,1]
	v_pk_fma_f16 v59, v122, v117, v59 op_sel:[0,1,0]
	v_pk_fma_f16 v60, v124, v116, v60 op_sel:[0,1,0]
	;; [unrolled: 1-line block ×4, first 2 shown]
	v_pk_fma_f16 v62, v127, v150, v62 op_sel_hi:[1,0,1]
	v_pk_fma_f16 v56, v127, v151, v56 op_sel:[0,1,0]
	v_pk_fma_f16 v57, v128, v151, v57 op_sel:[0,1,0]
	;; [unrolled: 1-line block ×3, first 2 shown]
	v_pk_fma_f16 v70, v98, v112, v70 op_sel_hi:[1,0,1]
	v_pk_fma_f16 v63, v99, v112, v63 op_sel_hi:[1,0,1]
	v_pk_fma_f16 v8, v99, v112, v8 op_sel:[0,1,0]
	v_pk_fma_f16 v9, v99, v113, v9 op_sel_hi:[1,0,1]
	v_pk_fma_f16 v64, v100, v113, v64 op_sel_hi:[1,0,1]
	;; [unrolled: 1-line block ×3, first 2 shown]
	v_pk_fma_f16 v4, v101, v112, v4 op_sel:[0,1,0]
	v_pk_fma_f16 v6, v101, v113, v6 op_sel_hi:[1,0,1]
	v_pk_fma_f16 v5, v101, v113, v5 op_sel:[0,1,0]
	v_pk_fma_f16 v7, v102, v114, v7 op_sel_hi:[1,0,1]
	;; [unrolled: 2-line block ×4, first 2 shown]
	v_pk_fma_f16 v68, v104, v114, v68 op_sel_hi:[1,0,1]
	v_pk_fma_f16 v71, v104, v114, v71 op_sel:[0,1,0]
	v_pk_fma_f16 v72, v104, v115, v72 op_sel_hi:[1,0,1]
	v_pk_fma_f16 v69, v105, v114, v69 op_sel_hi:[1,0,1]
	v_pk_fma_f16 v73, v105, v114, v73 op_sel:[0,1,0]
	v_pk_fma_f16 v74, v105, v115, v74 op_sel_hi:[1,0,1]
	v_pk_fma_f16 v59, v130, v151, v59 op_sel:[0,1,0]
	v_pk_fma_f16 v60, v132, v150, v60 op_sel:[0,1,0]
	v_pk_fma_f16 v61, v132, v151, v61 op_sel:[0,1,0]
	v_pk_fma_f16 v55, v134, v153, v55 op_sel:[0,1,0]
	v_pk_fma_f16 v62, v135, v152, v62 op_sel_hi:[1,0,1]
	v_pk_fma_f16 v56, v135, v153, v56 op_sel:[0,1,0]
	v_pk_fma_f16 v57, v136, v153, v57 op_sel:[0,1,0]
	v_pk_fma_f16 v58, v137, v153, v58 op_sel:[0,1,0]
	v_pk_fma_f16 v70, v106, v114, v70 op_sel_hi:[1,0,1]
	v_pk_fma_f16 v63, v107, v114, v63 op_sel_hi:[1,0,1]
	v_pk_fma_f16 v8, v107, v114, v8 op_sel:[0,1,0]
	v_pk_fma_f16 v9, v107, v115, v9 op_sel_hi:[1,0,1]
	v_pk_fma_f16 v64, v108, v115, v64 op_sel_hi:[1,0,1]
	;; [unrolled: 1-line block ×3, first 2 shown]
	v_pk_fma_f16 v4, v109, v114, v4 op_sel:[0,1,0]
	v_pk_fma_f16 v6, v109, v115, v6 op_sel_hi:[1,0,1]
	v_pk_fma_f16 v5, v109, v115, v5 op_sel:[0,1,0]
	v_pk_fma_f16 v75, v90, v110, v75 op_sel:[0,1,0]
	v_pk_fma_f16 v76, v90, v111, v76 op_sel_hi:[1,0,1]
	v_pk_fma_f16 v52, v91, v111, v52 op_sel:[0,1,0]
	v_pk_fma_f16 v53, v92, v110, v53 op_sel_hi:[1,0,1]
	v_pk_fma_f16 v7, v118, v116, v7 op_sel_hi:[1,0,1]
	v_pk_fma_f16 v10, v118, v116, v10 op_sel:[0,1,0]
	v_pk_fma_f16 v11, v118, v117, v11 op_sel_hi:[1,0,1]
	v_pk_fma_f16 v66, v119, v116, v66 op_sel:[0,1,0]
	v_pk_fma_f16 v67, v119, v117, v67 op_sel_hi:[1,0,1]
	v_pk_fma_f16 v68, v120, v116, v68 op_sel_hi:[1,0,1]
	v_pk_fma_f16 v71, v120, v116, v71 op_sel:[0,1,0]
	v_pk_fma_f16 v72, v120, v117, v72 op_sel_hi:[1,0,1]
	;; [unrolled: 3-line block ×3, first 2 shown]
	v_pk_fma_f16 v59, v138, v153, v59 op_sel:[0,1,0]
	v_pk_fma_f16 v60, v140, v152, v60 op_sel:[0,1,0]
	v_pk_fma_f16 v61, v140, v153, v61 op_sel:[0,1,0]
	v_pk_fma_f16 v55, v142, v155, v55 op_sel:[0,1,0]
	v_pk_fma_f16 v62, v143, v154, v62 op_sel_hi:[1,0,1]
	v_pk_fma_f16 v56, v143, v155, v56 op_sel:[0,1,0]
	v_pk_fma_f16 v57, v144, v155, v57 op_sel:[0,1,0]
	;; [unrolled: 1-line block ×3, first 2 shown]
	v_pk_fma_f16 v70, v122, v116, v70 op_sel_hi:[1,0,1]
	v_pk_fma_f16 v63, v123, v116, v63 op_sel_hi:[1,0,1]
	v_pk_fma_f16 v8, v123, v116, v8 op_sel:[0,1,0]
	v_pk_fma_f16 v9, v123, v117, v9 op_sel_hi:[1,0,1]
	v_pk_fma_f16 v64, v124, v117, v64 op_sel_hi:[1,0,1]
	;; [unrolled: 1-line block ×3, first 2 shown]
	v_pk_fma_f16 v4, v125, v116, v4 op_sel:[0,1,0]
	v_pk_fma_f16 v6, v125, v117, v6 op_sel_hi:[1,0,1]
	v_pk_fma_f16 v5, v125, v117, v5 op_sel:[0,1,0]
	v_pk_fma_f16 v75, v98, v112, v75 op_sel:[0,1,0]
	v_pk_fma_f16 v76, v98, v113, v76 op_sel_hi:[1,0,1]
	v_pk_fma_f16 v52, v99, v113, v52 op_sel:[0,1,0]
	v_pk_fma_f16 v53, v100, v112, v53 op_sel_hi:[1,0,1]
	v_pk_fma_f16 v7, v126, v150, v7 op_sel_hi:[1,0,1]
	v_pk_fma_f16 v10, v126, v150, v10 op_sel:[0,1,0]
	v_pk_fma_f16 v11, v126, v151, v11 op_sel_hi:[1,0,1]
	v_pk_fma_f16 v66, v127, v150, v66 op_sel:[0,1,0]
	v_pk_fma_f16 v67, v127, v151, v67 op_sel_hi:[1,0,1]
	v_pk_fma_f16 v68, v128, v150, v68 op_sel_hi:[1,0,1]
	v_pk_fma_f16 v71, v128, v150, v71 op_sel:[0,1,0]
	v_pk_fma_f16 v72, v128, v151, v72 op_sel_hi:[1,0,1]
	;; [unrolled: 3-line block ×3, first 2 shown]
	v_pk_fma_f16 v81, v146, v155, v59 op_sel:[0,1,0]
	v_pk_fma_f16 v82, v148, v154, v60 op_sel:[0,1,0]
	v_pk_fma_f16 v85, v148, v155, v61 op_sel:[0,1,0]
	v_pk_fma_f16 v90, v158, v157, v55 op_sel:[0,1,0]
	v_pk_fma_f16 v91, v159, v156, v62 op_sel_hi:[1,0,1]
	v_pk_fma_f16 v94, v159, v157, v56 op_sel:[0,1,0]
	v_pk_fma_f16 v96, v160, v157, v57 op_sel:[0,1,0]
	;; [unrolled: 1-line block ×3, first 2 shown]
	s_waitcnt vmcnt(3)
	ds_store_b128 v41, v[166:169]
	s_waitcnt vmcnt(2)
	ds_store_b128 v42, v[170:173]
	;; [unrolled: 2-line block ×4, first 2 shown]
	s_waitcnt lgkmcnt(0)
	s_barrier
	buffer_gl0_inv
	ds_load_2addr_b64 v[55:58], v84 offset1:32
	ds_load_b128 v[59:62], v39 offset:384
	v_pk_fma_f16 v70, v130, v150, v70 op_sel_hi:[1,0,1]
	v_pk_fma_f16 v63, v131, v150, v63 op_sel_hi:[1,0,1]
	v_pk_fma_f16 v8, v131, v150, v8 op_sel:[0,1,0]
	v_pk_fma_f16 v9, v131, v151, v9 op_sel_hi:[1,0,1]
	v_pk_fma_f16 v64, v132, v151, v64 op_sel_hi:[1,0,1]
	v_pk_fma_f16 v65, v133, v150, v65 op_sel_hi:[1,0,1]
	v_pk_fma_f16 v4, v133, v150, v4 op_sel:[0,1,0]
	v_pk_fma_f16 v6, v133, v151, v6 op_sel_hi:[1,0,1]
	v_pk_fma_f16 v5, v133, v151, v5 op_sel:[0,1,0]
	v_pk_fma_f16 v75, v106, v114, v75 op_sel:[0,1,0]
	v_pk_fma_f16 v76, v106, v115, v76 op_sel_hi:[1,0,1]
	v_pk_fma_f16 v52, v107, v115, v52 op_sel:[0,1,0]
	v_pk_fma_f16 v53, v108, v114, v53 op_sel_hi:[1,0,1]
	v_pk_fma_f16 v7, v134, v152, v7 op_sel_hi:[1,0,1]
	v_pk_fma_f16 v10, v134, v152, v10 op_sel:[0,1,0]
	v_pk_fma_f16 v11, v134, v153, v11 op_sel_hi:[1,0,1]
	v_pk_fma_f16 v66, v135, v152, v66 op_sel:[0,1,0]
	v_pk_fma_f16 v67, v135, v153, v67 op_sel_hi:[1,0,1]
	v_pk_fma_f16 v68, v136, v152, v68 op_sel_hi:[1,0,1]
	v_pk_fma_f16 v71, v136, v152, v71 op_sel:[0,1,0]
	v_pk_fma_f16 v72, v136, v153, v72 op_sel_hi:[1,0,1]
	v_pk_fma_f16 v69, v137, v152, v69 op_sel_hi:[1,0,1]
	v_pk_fma_f16 v73, v137, v152, v73 op_sel:[0,1,0]
	v_pk_fma_f16 v74, v137, v153, v74 op_sel_hi:[1,0,1]
	v_pk_fma_f16 v70, v138, v152, v70 op_sel_hi:[1,0,1]
	v_pk_fma_f16 v63, v139, v152, v63 op_sel_hi:[1,0,1]
	v_pk_fma_f16 v8, v139, v152, v8 op_sel:[0,1,0]
	v_pk_fma_f16 v9, v139, v153, v9 op_sel_hi:[1,0,1]
	v_pk_fma_f16 v64, v140, v153, v64 op_sel_hi:[1,0,1]
	v_pk_fma_f16 v65, v141, v152, v65 op_sel_hi:[1,0,1]
	v_pk_fma_f16 v4, v141, v152, v4 op_sel:[0,1,0]
	v_pk_fma_f16 v6, v141, v153, v6 op_sel_hi:[1,0,1]
	v_pk_fma_f16 v5, v141, v153, v5 op_sel:[0,1,0]
	v_pk_fma_f16 v75, v122, v116, v75 op_sel:[0,1,0]
	v_pk_fma_f16 v76, v122, v117, v76 op_sel_hi:[1,0,1]
	v_pk_fma_f16 v52, v123, v117, v52 op_sel:[0,1,0]
	v_pk_fma_f16 v53, v124, v116, v53 op_sel_hi:[1,0,1]
	v_pk_fma_f16 v7, v142, v154, v7 op_sel_hi:[1,0,1]
	v_pk_fma_f16 v10, v142, v154, v10 op_sel:[0,1,0]
	v_pk_fma_f16 v11, v142, v155, v11 op_sel_hi:[1,0,1]
	v_pk_fma_f16 v66, v143, v154, v66 op_sel:[0,1,0]
	v_pk_fma_f16 v67, v143, v155, v67 op_sel_hi:[1,0,1]
	v_pk_fma_f16 v68, v144, v154, v68 op_sel_hi:[1,0,1]
	v_pk_fma_f16 v71, v144, v154, v71 op_sel:[0,1,0]
	v_pk_fma_f16 v72, v144, v155, v72 op_sel_hi:[1,0,1]
	v_pk_fma_f16 v69, v145, v154, v69 op_sel_hi:[1,0,1]
	v_pk_fma_f16 v73, v145, v154, v73 op_sel:[0,1,0]
	v_pk_fma_f16 v74, v145, v155, v74 op_sel_hi:[1,0,1]
	;; [unrolled: 24-line block ×3, first 2 shown]
	v_pk_fma_f16 v100, v162, v156, v70 op_sel_hi:[1,0,1]
	v_pk_fma_f16 v101, v163, v156, v63 op_sel_hi:[1,0,1]
	v_pk_fma_f16 v102, v163, v156, v8 op_sel:[0,1,0]
	v_pk_fma_f16 v103, v163, v157, v9 op_sel_hi:[1,0,1]
	v_pk_fma_f16 v104, v164, v157, v64 op_sel_hi:[1,0,1]
	;; [unrolled: 1-line block ×3, first 2 shown]
	v_pk_fma_f16 v106, v165, v156, v4 op_sel:[0,1,0]
	v_pk_fma_f16 v107, v165, v157, v6 op_sel_hi:[1,0,1]
	v_pk_fma_f16 v108, v165, v157, v5 op_sel:[0,1,0]
	ds_load_2addr_b64 v[63:66], v84 offset0:64 offset1:96
	ds_load_b128 v[67:70], v39 offset:400
	ds_load_b128 v[8:11], v39 offset:416
	;; [unrolled: 1-line block ×3, first 2 shown]
	v_pk_fma_f16 v75, v138, v152, v75 op_sel:[0,1,0]
	v_pk_fma_f16 v76, v138, v153, v76 op_sel_hi:[1,0,1]
	v_pk_fma_f16 v52, v139, v153, v52 op_sel:[0,1,0]
	v_pk_fma_f16 v53, v140, v152, v53 op_sel_hi:[1,0,1]
	s_waitcnt lgkmcnt(4)
	v_pk_fma_f16 v86, v55, v59, v86 op_sel_hi:[1,0,1]
	v_pk_fma_f16 v87, v55, v59, v87 op_sel:[0,1,0]
	v_pk_fma_f16 v88, v55, v60, v88 op_sel_hi:[1,0,1]
	v_pk_fma_f16 v90, v55, v60, v90 op_sel:[0,1,0]
	;; [unrolled: 2-line block ×7, first 2 shown]
	ds_load_2addr_b64 v[71:74], v84 offset0:128 offset1:160
	v_pk_fma_f16 v98, v58, v60, v98 op_sel_hi:[1,0,1]
	v_pk_fma_f16 v99, v58, v60, v99 op_sel:[0,1,0]
	ds_load_2addr_b64 v[55:58], v84 offset0:192 offset1:224
	v_pk_fma_f16 v75, v146, v154, v75 op_sel:[0,1,0]
	v_pk_fma_f16 v76, v146, v155, v76 op_sel_hi:[1,0,1]
	v_pk_fma_f16 v52, v147, v155, v52 op_sel:[0,1,0]
	v_pk_fma_f16 v53, v148, v154, v53 op_sel_hi:[1,0,1]
	v_pk_fma_f16 v81, v162, v157, v81 op_sel:[0,1,0]
	v_pk_fma_f16 v75, v162, v156, v75 op_sel:[0,1,0]
	v_pk_fma_f16 v76, v162, v157, v76 op_sel_hi:[1,0,1]
	v_pk_fma_f16 v52, v163, v157, v52 op_sel:[0,1,0]
	v_pk_fma_f16 v53, v164, v156, v53 op_sel_hi:[1,0,1]
	v_pk_fma_f16 v82, v164, v156, v82 op_sel:[0,1,0]
	v_pk_fma_f16 v85, v164, v157, v85 op_sel:[0,1,0]
	s_waitcnt lgkmcnt(5)
	v_pk_fma_f16 v100, v63, v59, v100 op_sel_hi:[1,0,1]
	v_pk_fma_f16 v75, v63, v59, v75 op_sel:[0,1,0]
	v_pk_fma_f16 v76, v63, v60, v76 op_sel_hi:[1,0,1]
	v_pk_fma_f16 v81, v63, v60, v81 op_sel:[0,1,0]
	;; [unrolled: 2-line block ×8, first 2 shown]
	ds_load_2addr_b64 v[63:66], v83 offset1:32
	s_waitcnt lgkmcnt(2)
	v_pk_fma_f16 v86, v71, v61, v86 op_sel_hi:[1,0,1]
	v_pk_fma_f16 v87, v71, v61, v87 op_sel:[0,1,0]
	v_pk_fma_f16 v88, v71, v62, v88 op_sel_hi:[1,0,1]
	v_pk_fma_f16 v90, v71, v62, v90 op_sel:[0,1,0]
	;; [unrolled: 2-line block ×8, first 2 shown]
	s_waitcnt lgkmcnt(1)
	v_pk_fma_f16 v100, v55, v61, v100 op_sel_hi:[1,0,1]
	v_pk_fma_f16 v75, v55, v61, v75 op_sel:[0,1,0]
	v_pk_fma_f16 v76, v55, v62, v76 op_sel_hi:[1,0,1]
	v_pk_fma_f16 v81, v55, v62, v81 op_sel:[0,1,0]
	;; [unrolled: 2-line block ×7, first 2 shown]
	ds_load_2addr_b64 v[71:74], v83 offset0:64 offset1:96
	v_pk_fma_f16 v106, v58, v62, v106 op_sel_hi:[1,0,1]
	v_pk_fma_f16 v110, v58, v62, v60 op_sel:[0,1,0]
	ds_load_2addr_b64 v[55:58], v83 offset0:128 offset1:160
	s_waitcnt lgkmcnt(2)
	v_pk_fma_f16 v86, v63, v67, v86 op_sel_hi:[1,0,1]
	v_pk_fma_f16 v87, v63, v67, v87 op_sel:[0,1,0]
	v_pk_fma_f16 v88, v63, v68, v88 op_sel_hi:[1,0,1]
	v_pk_fma_f16 v63, v63, v68, v90 op_sel:[0,1,0]
	;; [unrolled: 2-line block ×8, first 2 shown]
	s_waitcnt lgkmcnt(1)
	v_pk_fma_f16 v100, v71, v67, v100 op_sel_hi:[1,0,1]
	v_pk_fma_f16 v75, v71, v67, v75 op_sel:[0,1,0]
	v_pk_fma_f16 v76, v71, v68, v76 op_sel_hi:[1,0,1]
	v_pk_fma_f16 v71, v71, v68, v81 op_sel:[0,1,0]
	;; [unrolled: 2-line block ×7, first 2 shown]
	ds_load_2addr_b64 v[59:62], v83 offset0:192 offset1:224
	v_pk_fma_f16 v103, v74, v68, v106 op_sel_hi:[1,0,1]
	v_pk_fma_f16 v68, v74, v68, v110 op_sel:[0,1,0]
	s_waitcnt lgkmcnt(1)
	v_pk_fma_f16 v74, v55, v69, v86 op_sel_hi:[1,0,1]
	v_pk_fma_f16 v86, v55, v69, v87 op_sel:[0,1,0]
	v_pk_fma_f16 v87, v55, v70, v88 op_sel_hi:[1,0,1]
	v_pk_fma_f16 v88, v55, v70, v63 op_sel:[0,1,0]
	v_pk_fma_f16 v104, v56, v70, v64 op_sel:[0,1,0]
	;; [unrolled: 1-line block ×3, first 2 shown]
	ds_load_2addr_b64 v[63:66], v50 offset1:32
	v_pk_fma_f16 v90, v56, v69, v90 op_sel_hi:[1,0,1]
	v_pk_fma_f16 v91, v56, v69, v91 op_sel:[0,1,0]
	v_pk_fma_f16 v92, v56, v70, v92 op_sel_hi:[1,0,1]
	v_pk_fma_f16 v93, v57, v69, v93 op_sel_hi:[1,0,1]
	v_pk_fma_f16 v94, v57, v69, v94 op_sel:[0,1,0]
	v_pk_fma_f16 v95, v57, v70, v95 op_sel_hi:[1,0,1]
	;; [unrolled: 3-line block ×3, first 2 shown]
	v_pk_fma_f16 v99, v58, v70, v99 op_sel:[0,1,0]
	ds_load_2addr_b64 v[55:58], v50 offset0:64 offset1:96
	s_or_b32 s4, s13, 64
	s_waitcnt lgkmcnt(2)
	v_pk_fma_f16 v100, v59, v69, v100 op_sel_hi:[1,0,1]
	v_pk_fma_f16 v75, v59, v69, v75 op_sel:[0,1,0]
	v_pk_fma_f16 v76, v59, v70, v76 op_sel_hi:[1,0,1]
	v_pk_fma_f16 v71, v59, v70, v71 op_sel:[0,1,0]
	;; [unrolled: 2-line block ×8, first 2 shown]
	s_waitcnt lgkmcnt(1)
	v_pk_fma_f16 v70, v63, v8, v74 op_sel_hi:[1,0,1]
	v_pk_fma_f16 v74, v63, v8, v86 op_sel:[0,1,0]
	v_pk_fma_f16 v86, v63, v9, v87 op_sel_hi:[1,0,1]
	v_pk_fma_f16 v87, v63, v9, v88 op_sel:[0,1,0]
	;; [unrolled: 2-line block ×7, first 2 shown]
	ds_load_2addr_b64 v[59:62], v50 offset0:128 offset1:160
	v_pk_fma_f16 v98, v66, v9, v98 op_sel_hi:[1,0,1]
	v_pk_fma_f16 v99, v66, v9, v99 op_sel:[0,1,0]
	ds_load_2addr_b64 v[63:66], v50 offset0:192 offset1:224
	s_mul_hi_i32 s19, s4, s10
	s_mul_i32 s18, s4, s10
	s_waitcnt lgkmcnt(2)
	v_pk_fma_f16 v100, v55, v8, v100 op_sel_hi:[1,0,1]
	s_lshl_b64 s[18:19], s[18:19], 2
	v_pk_fma_f16 v75, v55, v8, v75 op_sel:[0,1,0]
	s_add_u32 s4, s11, s18
	v_pk_fma_f16 v76, v55, v9, v76 op_sel_hi:[1,0,1]
	v_pk_fma_f16 v55, v55, v9, v71 op_sel:[0,1,0]
	v_pk_fma_f16 v71, v56, v8, v81 op_sel_hi:[1,0,1]
	v_pk_fma_f16 v81, v56, v8, v101 op_sel:[0,1,0]
	;; [unrolled: 2-line block ×4, first 2 shown]
	s_addc_u32 s17, s16, s19
	v_add_co_u32 v8, vcc_lo, s4, v27
	v_pk_fma_f16 v182, v56, v9, v102 op_sel_hi:[1,0,1]
	v_pk_fma_f16 v183, v56, v9, v52 op_sel:[0,1,0]
	v_pk_fma_f16 v82, v57, v9, v82 op_sel_hi:[1,0,1]
	v_pk_fma_f16 v186, v57, v9, v73 op_sel:[0,1,0]
	;; [unrolled: 2-line block ×3, first 2 shown]
	v_add_co_ci_u32_e32 v9, vcc_lo, s17, v28, vcc_lo
	v_add_co_u32 v52, vcc_lo, s4, v29
	v_add_co_ci_u32_e32 v53, vcc_lo, s17, v30, vcc_lo
	v_add_co_u32 v8, vcc_lo, v8, v89
	s_delay_alu instid0(VALU_DEP_4) | instskip(NEXT) | instid1(VALU_DEP_4)
	v_add_co_ci_u32_e32 v9, vcc_lo, 0, v9, vcc_lo
	v_add_co_u32 v52, vcc_lo, v52, v89
	s_delay_alu instid0(VALU_DEP_4)
	v_add_co_ci_u32_e32 v53, vcc_lo, 0, v53, vcc_lo
	s_waitcnt lgkmcnt(1)
	v_pk_fma_f16 v191, v59, v10, v70 op_sel_hi:[1,0,1]
	v_pk_fma_f16 v192, v59, v10, v74 op_sel:[0,1,0]
	v_pk_fma_f16 v193, v59, v11, v86 op_sel_hi:[1,0,1]
	v_pk_fma_f16 v194, v59, v11, v87 op_sel:[0,1,0]
	;; [unrolled: 2-line block ×8, first 2 shown]
	s_waitcnt lgkmcnt(0)
	v_pk_fma_f16 v207, v63, v10, v100 op_sel_hi:[1,0,1]
	v_pk_fma_f16 v75, v63, v10, v75 op_sel:[0,1,0]
	v_pk_fma_f16 v76, v63, v11, v76 op_sel_hi:[1,0,1]
	v_pk_fma_f16 v63, v63, v11, v55 op_sel:[0,1,0]
	v_pk_fma_f16 v208, v64, v10, v71 op_sel_hi:[1,0,1]
	ds_load_2addr_b64 v[55:58], v51 offset1:32
	ds_load_2addr_b64 v[59:62], v51 offset0:64 offset1:96
	ds_load_2addr_b64 v[67:70], v51 offset0:128 offset1:160
	;; [unrolled: 1-line block ×3, first 2 shown]
	ds_load_2addr_b64 v[85:88], v49 offset1:32
	ds_load_2addr_b64 v[90:93], v49 offset0:64 offset1:96
	ds_load_2addr_b64 v[94:97], v49 offset0:128 offset1:160
	;; [unrolled: 1-line block ×3, first 2 shown]
	ds_load_2addr_b64 v[102:105], v48 offset1:32
	ds_load_2addr_b64 v[106:109], v48 offset0:64 offset1:96
	ds_load_b128 v[110:113], v39 offset:448
	ds_load_b128 v[114:117], v39 offset:464
	ds_load_2addr_b64 v[118:121], v48 offset0:128 offset1:160
	ds_load_2addr_b64 v[122:125], v48 offset0:192 offset1:224
	ds_load_2addr_b64 v[126:129], v47 offset1:32
	ds_load_2addr_b64 v[130:133], v47 offset0:64 offset1:96
	ds_load_2addr_b64 v[134:137], v47 offset0:128 offset1:160
	;; [unrolled: 1-line block ×3, first 2 shown]
	ds_load_2addr_b64 v[142:145], v46 offset1:32
	ds_load_2addr_b64 v[146:149], v46 offset0:64 offset1:96
	ds_load_b128 v[150:153], v39 offset:480
	ds_load_b128 v[154:157], v39 offset:496
	ds_load_2addr_b64 v[158:161], v46 offset0:128 offset1:160
	ds_load_2addr_b64 v[162:165], v46 offset0:192 offset1:224
	s_waitcnt lgkmcnt(0)
	s_barrier
	buffer_gl0_inv
	s_clause 0x3
	global_load_b128 v[166:169], v[8:9], off
	global_load_b128 v[170:173], v[8:9], off offset:512
	global_load_b128 v[174:177], v[52:53], off
	global_load_b128 v[178:181], v[52:53], off offset:512
	v_pk_fma_f16 v8, v64, v10, v81 op_sel:[0,1,0]
	v_pk_fma_f16 v9, v64, v11, v182 op_sel_hi:[1,0,1]
	v_pk_fma_f16 v52, v64, v11, v183 op_sel:[0,1,0]
	v_pk_fma_f16 v53, v65, v10, v184 op_sel_hi:[1,0,1]
	;; [unrolled: 2-line block ×24, first 2 shown]
	v_pk_fma_f16 v56, v68, v7, v56 op_sel:[0,1,0]
	v_pk_fma_f16 v57, v69, v7, v57 op_sel:[0,1,0]
	;; [unrolled: 1-line block ×4, first 2 shown]
	v_pk_fma_f16 v82, v68, v7, v187 op_sel_hi:[1,0,1]
	v_pk_fma_f16 v68, v69, v6, v188 op_sel_hi:[1,0,1]
	v_pk_fma_f16 v182, v69, v6, v189 op_sel:[0,1,0]
	v_pk_fma_f16 v183, v69, v7, v190 op_sel_hi:[1,0,1]
	v_pk_fma_f16 v69, v70, v6, v191 op_sel_hi:[1,0,1]
	v_pk_fma_f16 v184, v70, v6, v192 op_sel:[0,1,0]
	;; [unrolled: 3-line block ×3, first 2 shown]
	v_pk_fma_f16 v59, v71, v7, v59 op_sel:[0,1,0]
	v_pk_fma_f16 v63, v72, v6, v63 op_sel_hi:[1,0,1]
	v_pk_fma_f16 v8, v72, v6, v8 op_sel:[0,1,0]
	v_pk_fma_f16 v53, v73, v6, v53 op_sel_hi:[1,0,1]
	v_pk_fma_f16 v60, v73, v6, v60 op_sel:[0,1,0]
	v_pk_fma_f16 v61, v73, v7, v61 op_sel:[0,1,0]
	v_pk_fma_f16 v65, v74, v6, v65 op_sel_hi:[1,0,1]
	v_pk_fma_f16 v4, v74, v6, v4 op_sel:[0,1,0]
	v_pk_fma_f16 v6, v74, v7, v10 op_sel_hi:[1,0,1]
	v_pk_fma_f16 v10, v85, v110, v62 op_sel:[0,1,0]
	v_pk_fma_f16 v55, v85, v111, v55 op_sel:[0,1,0]
	v_pk_fma_f16 v62, v86, v110, v67 op_sel_hi:[1,0,1]
	v_pk_fma_f16 v56, v86, v111, v56 op_sel:[0,1,0]
	v_pk_fma_f16 v57, v87, v111, v57 op_sel:[0,1,0]
	;; [unrolled: 1-line block ×7, first 2 shown]
	v_pk_fma_f16 v62, v95, v112, v62 op_sel_hi:[1,0,1]
	v_pk_fma_f16 v56, v95, v113, v56 op_sel:[0,1,0]
	v_pk_fma_f16 v57, v96, v113, v57 op_sel:[0,1,0]
	;; [unrolled: 1-line block ×7, first 2 shown]
	v_pk_fma_f16 v62, v103, v114, v62 op_sel_hi:[1,0,1]
	v_pk_fma_f16 v56, v103, v115, v56 op_sel:[0,1,0]
	v_pk_fma_f16 v57, v104, v115, v57 op_sel:[0,1,0]
	;; [unrolled: 1-line block ×3, first 2 shown]
	v_pk_fma_f16 v9, v72, v7, v9 op_sel_hi:[1,0,1]
	v_pk_fma_f16 v64, v73, v7, v64 op_sel_hi:[1,0,1]
	v_pk_fma_f16 v5, v74, v7, v5 op_sel:[0,1,0]
	v_pk_fma_f16 v76, v71, v7, v76 op_sel_hi:[1,0,1]
	v_pk_fma_f16 v52, v72, v7, v52 op_sel:[0,1,0]
	v_pk_fma_f16 v7, v85, v110, v11 op_sel_hi:[1,0,1]
	v_pk_fma_f16 v11, v85, v111, v66 op_sel_hi:[1,0,1]
	v_pk_fma_f16 v66, v86, v110, v81 op_sel:[0,1,0]
	v_pk_fma_f16 v67, v86, v111, v82 op_sel_hi:[1,0,1]
	;; [unrolled: 3-line block ×4, first 2 shown]
	v_pk_fma_f16 v59, v106, v115, v59 op_sel:[0,1,0]
	v_pk_fma_f16 v60, v108, v114, v60 op_sel:[0,1,0]
	;; [unrolled: 1-line block ×4, first 2 shown]
	v_pk_fma_f16 v62, v119, v116, v62 op_sel_hi:[1,0,1]
	v_pk_fma_f16 v56, v119, v117, v56 op_sel:[0,1,0]
	v_pk_fma_f16 v57, v120, v117, v57 op_sel:[0,1,0]
	v_pk_fma_f16 v58, v121, v117, v58 op_sel:[0,1,0]
	v_pk_fma_f16 v70, v90, v110, v70 op_sel_hi:[1,0,1]
	v_pk_fma_f16 v63, v91, v110, v63 op_sel_hi:[1,0,1]
	v_pk_fma_f16 v8, v91, v110, v8 op_sel:[0,1,0]
	v_pk_fma_f16 v9, v91, v111, v9 op_sel_hi:[1,0,1]
	v_pk_fma_f16 v64, v92, v111, v64 op_sel_hi:[1,0,1]
	;; [unrolled: 1-line block ×3, first 2 shown]
	v_pk_fma_f16 v4, v93, v110, v4 op_sel:[0,1,0]
	v_pk_fma_f16 v6, v93, v111, v6 op_sel_hi:[1,0,1]
	v_pk_fma_f16 v5, v93, v111, v5 op_sel:[0,1,0]
	v_pk_fma_f16 v7, v94, v112, v7 op_sel_hi:[1,0,1]
	;; [unrolled: 2-line block ×4, first 2 shown]
	v_pk_fma_f16 v68, v96, v112, v68 op_sel_hi:[1,0,1]
	v_pk_fma_f16 v71, v96, v112, v71 op_sel:[0,1,0]
	v_pk_fma_f16 v72, v96, v113, v72 op_sel_hi:[1,0,1]
	v_pk_fma_f16 v69, v97, v112, v69 op_sel_hi:[1,0,1]
	v_pk_fma_f16 v73, v97, v112, v73 op_sel:[0,1,0]
	v_pk_fma_f16 v74, v97, v113, v74 op_sel_hi:[1,0,1]
	v_pk_fma_f16 v59, v122, v117, v59 op_sel:[0,1,0]
	v_pk_fma_f16 v60, v124, v116, v60 op_sel:[0,1,0]
	;; [unrolled: 1-line block ×4, first 2 shown]
	v_pk_fma_f16 v62, v127, v150, v62 op_sel_hi:[1,0,1]
	v_pk_fma_f16 v56, v127, v151, v56 op_sel:[0,1,0]
	v_pk_fma_f16 v57, v128, v151, v57 op_sel:[0,1,0]
	;; [unrolled: 1-line block ×3, first 2 shown]
	v_pk_fma_f16 v70, v98, v112, v70 op_sel_hi:[1,0,1]
	v_pk_fma_f16 v63, v99, v112, v63 op_sel_hi:[1,0,1]
	v_pk_fma_f16 v8, v99, v112, v8 op_sel:[0,1,0]
	v_pk_fma_f16 v9, v99, v113, v9 op_sel_hi:[1,0,1]
	v_pk_fma_f16 v64, v100, v113, v64 op_sel_hi:[1,0,1]
	;; [unrolled: 1-line block ×3, first 2 shown]
	v_pk_fma_f16 v4, v101, v112, v4 op_sel:[0,1,0]
	v_pk_fma_f16 v6, v101, v113, v6 op_sel_hi:[1,0,1]
	v_pk_fma_f16 v5, v101, v113, v5 op_sel:[0,1,0]
	v_pk_fma_f16 v7, v102, v114, v7 op_sel_hi:[1,0,1]
	;; [unrolled: 2-line block ×4, first 2 shown]
	v_pk_fma_f16 v68, v104, v114, v68 op_sel_hi:[1,0,1]
	v_pk_fma_f16 v71, v104, v114, v71 op_sel:[0,1,0]
	v_pk_fma_f16 v72, v104, v115, v72 op_sel_hi:[1,0,1]
	v_pk_fma_f16 v69, v105, v114, v69 op_sel_hi:[1,0,1]
	v_pk_fma_f16 v73, v105, v114, v73 op_sel:[0,1,0]
	v_pk_fma_f16 v74, v105, v115, v74 op_sel_hi:[1,0,1]
	v_pk_fma_f16 v59, v130, v151, v59 op_sel:[0,1,0]
	v_pk_fma_f16 v60, v132, v150, v60 op_sel:[0,1,0]
	;; [unrolled: 1-line block ×4, first 2 shown]
	v_pk_fma_f16 v62, v135, v152, v62 op_sel_hi:[1,0,1]
	v_pk_fma_f16 v56, v135, v153, v56 op_sel:[0,1,0]
	v_pk_fma_f16 v57, v136, v153, v57 op_sel:[0,1,0]
	;; [unrolled: 1-line block ×3, first 2 shown]
	v_pk_fma_f16 v70, v106, v114, v70 op_sel_hi:[1,0,1]
	v_pk_fma_f16 v63, v107, v114, v63 op_sel_hi:[1,0,1]
	v_pk_fma_f16 v8, v107, v114, v8 op_sel:[0,1,0]
	v_pk_fma_f16 v9, v107, v115, v9 op_sel_hi:[1,0,1]
	v_pk_fma_f16 v64, v108, v115, v64 op_sel_hi:[1,0,1]
	;; [unrolled: 1-line block ×3, first 2 shown]
	v_pk_fma_f16 v4, v109, v114, v4 op_sel:[0,1,0]
	v_pk_fma_f16 v6, v109, v115, v6 op_sel_hi:[1,0,1]
	v_pk_fma_f16 v5, v109, v115, v5 op_sel:[0,1,0]
	v_pk_fma_f16 v75, v90, v110, v75 op_sel:[0,1,0]
	v_pk_fma_f16 v76, v90, v111, v76 op_sel_hi:[1,0,1]
	v_pk_fma_f16 v52, v91, v111, v52 op_sel:[0,1,0]
	v_pk_fma_f16 v53, v92, v110, v53 op_sel_hi:[1,0,1]
	v_pk_fma_f16 v7, v118, v116, v7 op_sel_hi:[1,0,1]
	v_pk_fma_f16 v10, v118, v116, v10 op_sel:[0,1,0]
	v_pk_fma_f16 v11, v118, v117, v11 op_sel_hi:[1,0,1]
	v_pk_fma_f16 v66, v119, v116, v66 op_sel:[0,1,0]
	v_pk_fma_f16 v67, v119, v117, v67 op_sel_hi:[1,0,1]
	v_pk_fma_f16 v68, v120, v116, v68 op_sel_hi:[1,0,1]
	v_pk_fma_f16 v71, v120, v116, v71 op_sel:[0,1,0]
	v_pk_fma_f16 v72, v120, v117, v72 op_sel_hi:[1,0,1]
	;; [unrolled: 3-line block ×3, first 2 shown]
	v_pk_fma_f16 v59, v138, v153, v59 op_sel:[0,1,0]
	v_pk_fma_f16 v60, v140, v152, v60 op_sel:[0,1,0]
	;; [unrolled: 1-line block ×4, first 2 shown]
	v_pk_fma_f16 v62, v143, v154, v62 op_sel_hi:[1,0,1]
	v_pk_fma_f16 v56, v143, v155, v56 op_sel:[0,1,0]
	v_pk_fma_f16 v57, v144, v155, v57 op_sel:[0,1,0]
	;; [unrolled: 1-line block ×3, first 2 shown]
	v_pk_fma_f16 v70, v122, v116, v70 op_sel_hi:[1,0,1]
	v_pk_fma_f16 v63, v123, v116, v63 op_sel_hi:[1,0,1]
	v_pk_fma_f16 v8, v123, v116, v8 op_sel:[0,1,0]
	v_pk_fma_f16 v9, v123, v117, v9 op_sel_hi:[1,0,1]
	v_pk_fma_f16 v64, v124, v117, v64 op_sel_hi:[1,0,1]
	v_pk_fma_f16 v65, v125, v116, v65 op_sel_hi:[1,0,1]
	v_pk_fma_f16 v4, v125, v116, v4 op_sel:[0,1,0]
	v_pk_fma_f16 v6, v125, v117, v6 op_sel_hi:[1,0,1]
	v_pk_fma_f16 v5, v125, v117, v5 op_sel:[0,1,0]
	v_pk_fma_f16 v75, v98, v112, v75 op_sel:[0,1,0]
	v_pk_fma_f16 v76, v98, v113, v76 op_sel_hi:[1,0,1]
	v_pk_fma_f16 v52, v99, v113, v52 op_sel:[0,1,0]
	v_pk_fma_f16 v53, v100, v112, v53 op_sel_hi:[1,0,1]
	v_pk_fma_f16 v7, v126, v150, v7 op_sel_hi:[1,0,1]
	v_pk_fma_f16 v10, v126, v150, v10 op_sel:[0,1,0]
	v_pk_fma_f16 v11, v126, v151, v11 op_sel_hi:[1,0,1]
	v_pk_fma_f16 v66, v127, v150, v66 op_sel:[0,1,0]
	v_pk_fma_f16 v67, v127, v151, v67 op_sel_hi:[1,0,1]
	v_pk_fma_f16 v68, v128, v150, v68 op_sel_hi:[1,0,1]
	v_pk_fma_f16 v71, v128, v150, v71 op_sel:[0,1,0]
	v_pk_fma_f16 v72, v128, v151, v72 op_sel_hi:[1,0,1]
	;; [unrolled: 3-line block ×3, first 2 shown]
	v_pk_fma_f16 v81, v146, v155, v59 op_sel:[0,1,0]
	v_pk_fma_f16 v82, v148, v154, v60 op_sel:[0,1,0]
	;; [unrolled: 1-line block ×4, first 2 shown]
	v_pk_fma_f16 v91, v159, v156, v62 op_sel_hi:[1,0,1]
	v_pk_fma_f16 v94, v159, v157, v56 op_sel:[0,1,0]
	v_pk_fma_f16 v96, v160, v157, v57 op_sel:[0,1,0]
	;; [unrolled: 1-line block ×3, first 2 shown]
	s_waitcnt vmcnt(3)
	ds_store_b128 v41, v[166:169]
	s_waitcnt vmcnt(2)
	ds_store_b128 v42, v[170:173]
	;; [unrolled: 2-line block ×4, first 2 shown]
	s_waitcnt lgkmcnt(0)
	s_barrier
	buffer_gl0_inv
	ds_load_2addr_b64 v[55:58], v84 offset1:32
	ds_load_b128 v[59:62], v39 offset:512
	v_pk_fma_f16 v70, v130, v150, v70 op_sel_hi:[1,0,1]
	v_pk_fma_f16 v63, v131, v150, v63 op_sel_hi:[1,0,1]
	v_pk_fma_f16 v8, v131, v150, v8 op_sel:[0,1,0]
	v_pk_fma_f16 v9, v131, v151, v9 op_sel_hi:[1,0,1]
	v_pk_fma_f16 v64, v132, v151, v64 op_sel_hi:[1,0,1]
	v_pk_fma_f16 v65, v133, v150, v65 op_sel_hi:[1,0,1]
	v_pk_fma_f16 v4, v133, v150, v4 op_sel:[0,1,0]
	v_pk_fma_f16 v6, v133, v151, v6 op_sel_hi:[1,0,1]
	v_pk_fma_f16 v5, v133, v151, v5 op_sel:[0,1,0]
	v_pk_fma_f16 v75, v106, v114, v75 op_sel:[0,1,0]
	v_pk_fma_f16 v76, v106, v115, v76 op_sel_hi:[1,0,1]
	v_pk_fma_f16 v52, v107, v115, v52 op_sel:[0,1,0]
	v_pk_fma_f16 v53, v108, v114, v53 op_sel_hi:[1,0,1]
	v_pk_fma_f16 v7, v134, v152, v7 op_sel_hi:[1,0,1]
	v_pk_fma_f16 v10, v134, v152, v10 op_sel:[0,1,0]
	v_pk_fma_f16 v11, v134, v153, v11 op_sel_hi:[1,0,1]
	v_pk_fma_f16 v66, v135, v152, v66 op_sel:[0,1,0]
	v_pk_fma_f16 v67, v135, v153, v67 op_sel_hi:[1,0,1]
	v_pk_fma_f16 v68, v136, v152, v68 op_sel_hi:[1,0,1]
	v_pk_fma_f16 v71, v136, v152, v71 op_sel:[0,1,0]
	v_pk_fma_f16 v72, v136, v153, v72 op_sel_hi:[1,0,1]
	v_pk_fma_f16 v69, v137, v152, v69 op_sel_hi:[1,0,1]
	v_pk_fma_f16 v73, v137, v152, v73 op_sel:[0,1,0]
	v_pk_fma_f16 v74, v137, v153, v74 op_sel_hi:[1,0,1]
	v_pk_fma_f16 v70, v138, v152, v70 op_sel_hi:[1,0,1]
	v_pk_fma_f16 v63, v139, v152, v63 op_sel_hi:[1,0,1]
	v_pk_fma_f16 v8, v139, v152, v8 op_sel:[0,1,0]
	v_pk_fma_f16 v9, v139, v153, v9 op_sel_hi:[1,0,1]
	v_pk_fma_f16 v64, v140, v153, v64 op_sel_hi:[1,0,1]
	v_pk_fma_f16 v65, v141, v152, v65 op_sel_hi:[1,0,1]
	v_pk_fma_f16 v4, v141, v152, v4 op_sel:[0,1,0]
	v_pk_fma_f16 v6, v141, v153, v6 op_sel_hi:[1,0,1]
	v_pk_fma_f16 v5, v141, v153, v5 op_sel:[0,1,0]
	v_pk_fma_f16 v75, v122, v116, v75 op_sel:[0,1,0]
	v_pk_fma_f16 v76, v122, v117, v76 op_sel_hi:[1,0,1]
	v_pk_fma_f16 v52, v123, v117, v52 op_sel:[0,1,0]
	v_pk_fma_f16 v53, v124, v116, v53 op_sel_hi:[1,0,1]
	v_pk_fma_f16 v7, v142, v154, v7 op_sel_hi:[1,0,1]
	v_pk_fma_f16 v10, v142, v154, v10 op_sel:[0,1,0]
	v_pk_fma_f16 v11, v142, v155, v11 op_sel_hi:[1,0,1]
	v_pk_fma_f16 v66, v143, v154, v66 op_sel:[0,1,0]
	v_pk_fma_f16 v67, v143, v155, v67 op_sel_hi:[1,0,1]
	v_pk_fma_f16 v68, v144, v154, v68 op_sel_hi:[1,0,1]
	v_pk_fma_f16 v71, v144, v154, v71 op_sel:[0,1,0]
	v_pk_fma_f16 v72, v144, v155, v72 op_sel_hi:[1,0,1]
	v_pk_fma_f16 v69, v145, v154, v69 op_sel_hi:[1,0,1]
	v_pk_fma_f16 v73, v145, v154, v73 op_sel:[0,1,0]
	v_pk_fma_f16 v74, v145, v155, v74 op_sel_hi:[1,0,1]
	;; [unrolled: 24-line block ×3, first 2 shown]
	v_pk_fma_f16 v100, v162, v156, v70 op_sel_hi:[1,0,1]
	v_pk_fma_f16 v101, v163, v156, v63 op_sel_hi:[1,0,1]
	v_pk_fma_f16 v102, v163, v156, v8 op_sel:[0,1,0]
	v_pk_fma_f16 v103, v163, v157, v9 op_sel_hi:[1,0,1]
	v_pk_fma_f16 v104, v164, v157, v64 op_sel_hi:[1,0,1]
	;; [unrolled: 1-line block ×3, first 2 shown]
	v_pk_fma_f16 v106, v165, v156, v4 op_sel:[0,1,0]
	v_pk_fma_f16 v107, v165, v157, v6 op_sel_hi:[1,0,1]
	v_pk_fma_f16 v108, v165, v157, v5 op_sel:[0,1,0]
	ds_load_2addr_b64 v[63:66], v84 offset0:64 offset1:96
	ds_load_b128 v[67:70], v39 offset:528
	ds_load_b128 v[8:11], v39 offset:544
	ds_load_b128 v[4:7], v39 offset:560
	v_pk_fma_f16 v75, v138, v152, v75 op_sel:[0,1,0]
	v_pk_fma_f16 v76, v138, v153, v76 op_sel_hi:[1,0,1]
	v_pk_fma_f16 v52, v139, v153, v52 op_sel:[0,1,0]
	v_pk_fma_f16 v53, v140, v152, v53 op_sel_hi:[1,0,1]
	s_waitcnt lgkmcnt(4)
	v_pk_fma_f16 v86, v55, v59, v86 op_sel_hi:[1,0,1]
	v_pk_fma_f16 v87, v55, v59, v87 op_sel:[0,1,0]
	v_pk_fma_f16 v88, v55, v60, v88 op_sel_hi:[1,0,1]
	v_pk_fma_f16 v90, v55, v60, v90 op_sel:[0,1,0]
	;; [unrolled: 2-line block ×7, first 2 shown]
	ds_load_2addr_b64 v[71:74], v84 offset0:128 offset1:160
	v_pk_fma_f16 v98, v58, v60, v98 op_sel_hi:[1,0,1]
	v_pk_fma_f16 v99, v58, v60, v99 op_sel:[0,1,0]
	ds_load_2addr_b64 v[55:58], v84 offset0:192 offset1:224
	v_pk_fma_f16 v75, v146, v154, v75 op_sel:[0,1,0]
	v_pk_fma_f16 v76, v146, v155, v76 op_sel_hi:[1,0,1]
	v_pk_fma_f16 v52, v147, v155, v52 op_sel:[0,1,0]
	v_pk_fma_f16 v53, v148, v154, v53 op_sel_hi:[1,0,1]
	v_pk_fma_f16 v81, v162, v157, v81 op_sel:[0,1,0]
	v_pk_fma_f16 v75, v162, v156, v75 op_sel:[0,1,0]
	v_pk_fma_f16 v76, v162, v157, v76 op_sel_hi:[1,0,1]
	v_pk_fma_f16 v52, v163, v157, v52 op_sel:[0,1,0]
	v_pk_fma_f16 v53, v164, v156, v53 op_sel_hi:[1,0,1]
	v_pk_fma_f16 v82, v164, v156, v82 op_sel:[0,1,0]
	v_pk_fma_f16 v85, v164, v157, v85 op_sel:[0,1,0]
	s_waitcnt lgkmcnt(5)
	v_pk_fma_f16 v100, v63, v59, v100 op_sel_hi:[1,0,1]
	v_pk_fma_f16 v75, v63, v59, v75 op_sel:[0,1,0]
	v_pk_fma_f16 v76, v63, v60, v76 op_sel_hi:[1,0,1]
	v_pk_fma_f16 v81, v63, v60, v81 op_sel:[0,1,0]
	;; [unrolled: 2-line block ×8, first 2 shown]
	ds_load_2addr_b64 v[63:66], v83 offset1:32
	s_waitcnt lgkmcnt(2)
	v_pk_fma_f16 v86, v71, v61, v86 op_sel_hi:[1,0,1]
	v_pk_fma_f16 v87, v71, v61, v87 op_sel:[0,1,0]
	v_pk_fma_f16 v88, v71, v62, v88 op_sel_hi:[1,0,1]
	v_pk_fma_f16 v90, v71, v62, v90 op_sel:[0,1,0]
	;; [unrolled: 2-line block ×8, first 2 shown]
	s_waitcnt lgkmcnt(1)
	v_pk_fma_f16 v100, v55, v61, v100 op_sel_hi:[1,0,1]
	v_pk_fma_f16 v75, v55, v61, v75 op_sel:[0,1,0]
	v_pk_fma_f16 v76, v55, v62, v76 op_sel_hi:[1,0,1]
	v_pk_fma_f16 v81, v55, v62, v81 op_sel:[0,1,0]
	;; [unrolled: 2-line block ×7, first 2 shown]
	ds_load_2addr_b64 v[71:74], v83 offset0:64 offset1:96
	v_pk_fma_f16 v106, v58, v62, v106 op_sel_hi:[1,0,1]
	v_pk_fma_f16 v110, v58, v62, v60 op_sel:[0,1,0]
	ds_load_2addr_b64 v[55:58], v83 offset0:128 offset1:160
	s_waitcnt lgkmcnt(2)
	v_pk_fma_f16 v86, v63, v67, v86 op_sel_hi:[1,0,1]
	v_pk_fma_f16 v87, v63, v67, v87 op_sel:[0,1,0]
	v_pk_fma_f16 v88, v63, v68, v88 op_sel_hi:[1,0,1]
	v_pk_fma_f16 v63, v63, v68, v90 op_sel:[0,1,0]
	;; [unrolled: 2-line block ×8, first 2 shown]
	s_waitcnt lgkmcnt(1)
	v_pk_fma_f16 v100, v71, v67, v100 op_sel_hi:[1,0,1]
	v_pk_fma_f16 v75, v71, v67, v75 op_sel:[0,1,0]
	v_pk_fma_f16 v76, v71, v68, v76 op_sel_hi:[1,0,1]
	v_pk_fma_f16 v71, v71, v68, v81 op_sel:[0,1,0]
	v_pk_fma_f16 v81, v72, v67, v101 op_sel_hi:[1,0,1]
	v_pk_fma_f16 v101, v72, v67, v102 op_sel:[0,1,0]
	v_pk_fma_f16 v102, v72, v68, v103 op_sel_hi:[1,0,1]
	v_pk_fma_f16 v52, v72, v68, v52 op_sel:[0,1,0]
	v_pk_fma_f16 v53, v73, v67, v53 op_sel_hi:[1,0,1]
	v_pk_fma_f16 v72, v73, v67, v82 op_sel:[0,1,0]
	v_pk_fma_f16 v82, v73, v68, v104 op_sel_hi:[1,0,1]
	v_pk_fma_f16 v73, v73, v68, v85 op_sel:[0,1,0]
	v_pk_fma_f16 v85, v74, v67, v105 op_sel_hi:[1,0,1]
	v_pk_fma_f16 v67, v74, v67, v59 op_sel:[0,1,0]
	ds_load_2addr_b64 v[59:62], v83 offset0:192 offset1:224
	v_pk_fma_f16 v103, v74, v68, v106 op_sel_hi:[1,0,1]
	v_pk_fma_f16 v68, v74, v68, v110 op_sel:[0,1,0]
	s_waitcnt lgkmcnt(1)
	v_pk_fma_f16 v74, v55, v69, v86 op_sel_hi:[1,0,1]
	v_pk_fma_f16 v86, v55, v69, v87 op_sel:[0,1,0]
	v_pk_fma_f16 v87, v55, v70, v88 op_sel_hi:[1,0,1]
	v_pk_fma_f16 v88, v55, v70, v63 op_sel:[0,1,0]
	v_pk_fma_f16 v104, v56, v70, v64 op_sel:[0,1,0]
	;; [unrolled: 1-line block ×3, first 2 shown]
	ds_load_2addr_b64 v[63:66], v50 offset1:32
	v_pk_fma_f16 v90, v56, v69, v90 op_sel_hi:[1,0,1]
	v_pk_fma_f16 v91, v56, v69, v91 op_sel:[0,1,0]
	v_pk_fma_f16 v92, v56, v70, v92 op_sel_hi:[1,0,1]
	v_pk_fma_f16 v93, v57, v69, v93 op_sel_hi:[1,0,1]
	v_pk_fma_f16 v94, v57, v69, v94 op_sel:[0,1,0]
	v_pk_fma_f16 v95, v57, v70, v95 op_sel_hi:[1,0,1]
	;; [unrolled: 3-line block ×3, first 2 shown]
	v_pk_fma_f16 v99, v58, v70, v99 op_sel:[0,1,0]
	ds_load_2addr_b64 v[55:58], v50 offset0:64 offset1:96
	s_or_b32 s4, s13, 0x50
	s_waitcnt lgkmcnt(2)
	v_pk_fma_f16 v100, v59, v69, v100 op_sel_hi:[1,0,1]
	v_pk_fma_f16 v75, v59, v69, v75 op_sel:[0,1,0]
	v_pk_fma_f16 v76, v59, v70, v76 op_sel_hi:[1,0,1]
	v_pk_fma_f16 v71, v59, v70, v71 op_sel:[0,1,0]
	;; [unrolled: 2-line block ×8, first 2 shown]
	s_waitcnt lgkmcnt(1)
	v_pk_fma_f16 v70, v63, v8, v74 op_sel_hi:[1,0,1]
	v_pk_fma_f16 v74, v63, v8, v86 op_sel:[0,1,0]
	v_pk_fma_f16 v86, v63, v9, v87 op_sel_hi:[1,0,1]
	v_pk_fma_f16 v87, v63, v9, v88 op_sel:[0,1,0]
	;; [unrolled: 2-line block ×7, first 2 shown]
	ds_load_2addr_b64 v[59:62], v50 offset0:128 offset1:160
	v_pk_fma_f16 v98, v66, v9, v98 op_sel_hi:[1,0,1]
	v_pk_fma_f16 v99, v66, v9, v99 op_sel:[0,1,0]
	ds_load_2addr_b64 v[63:66], v50 offset0:192 offset1:224
	s_mul_hi_i32 s19, s4, s10
	s_mul_i32 s18, s4, s10
	s_waitcnt lgkmcnt(2)
	v_pk_fma_f16 v100, v55, v8, v100 op_sel_hi:[1,0,1]
	s_lshl_b64 s[18:19], s[18:19], 2
	v_pk_fma_f16 v75, v55, v8, v75 op_sel:[0,1,0]
	s_add_u32 s4, s11, s18
	v_pk_fma_f16 v76, v55, v9, v76 op_sel_hi:[1,0,1]
	v_pk_fma_f16 v55, v55, v9, v71 op_sel:[0,1,0]
	v_pk_fma_f16 v71, v56, v8, v81 op_sel_hi:[1,0,1]
	v_pk_fma_f16 v81, v56, v8, v101 op_sel:[0,1,0]
	v_pk_fma_f16 v184, v57, v8, v53 op_sel_hi:[1,0,1]
	v_pk_fma_f16 v185, v57, v8, v72 op_sel:[0,1,0]
	v_pk_fma_f16 v187, v58, v8, v85 op_sel_hi:[1,0,1]
	v_pk_fma_f16 v188, v58, v8, v67 op_sel:[0,1,0]
	s_addc_u32 s17, s16, s19
	v_add_co_u32 v8, vcc_lo, s4, v27
	v_pk_fma_f16 v182, v56, v9, v102 op_sel_hi:[1,0,1]
	v_pk_fma_f16 v183, v56, v9, v52 op_sel:[0,1,0]
	v_pk_fma_f16 v82, v57, v9, v82 op_sel_hi:[1,0,1]
	v_pk_fma_f16 v186, v57, v9, v73 op_sel:[0,1,0]
	;; [unrolled: 2-line block ×3, first 2 shown]
	v_add_co_ci_u32_e32 v9, vcc_lo, s17, v28, vcc_lo
	v_add_co_u32 v52, vcc_lo, s4, v29
	v_add_co_ci_u32_e32 v53, vcc_lo, s17, v30, vcc_lo
	v_add_co_u32 v8, vcc_lo, v8, v89
	s_delay_alu instid0(VALU_DEP_4) | instskip(NEXT) | instid1(VALU_DEP_4)
	v_add_co_ci_u32_e32 v9, vcc_lo, 0, v9, vcc_lo
	v_add_co_u32 v52, vcc_lo, v52, v89
	s_delay_alu instid0(VALU_DEP_4)
	v_add_co_ci_u32_e32 v53, vcc_lo, 0, v53, vcc_lo
	s_waitcnt lgkmcnt(1)
	v_pk_fma_f16 v191, v59, v10, v70 op_sel_hi:[1,0,1]
	v_pk_fma_f16 v192, v59, v10, v74 op_sel:[0,1,0]
	v_pk_fma_f16 v193, v59, v11, v86 op_sel_hi:[1,0,1]
	v_pk_fma_f16 v194, v59, v11, v87 op_sel:[0,1,0]
	;; [unrolled: 2-line block ×8, first 2 shown]
	s_waitcnt lgkmcnt(0)
	v_pk_fma_f16 v207, v63, v10, v100 op_sel_hi:[1,0,1]
	v_pk_fma_f16 v75, v63, v10, v75 op_sel:[0,1,0]
	v_pk_fma_f16 v76, v63, v11, v76 op_sel_hi:[1,0,1]
	v_pk_fma_f16 v63, v63, v11, v55 op_sel:[0,1,0]
	v_pk_fma_f16 v208, v64, v10, v71 op_sel_hi:[1,0,1]
	ds_load_2addr_b64 v[55:58], v51 offset1:32
	ds_load_2addr_b64 v[59:62], v51 offset0:64 offset1:96
	ds_load_2addr_b64 v[67:70], v51 offset0:128 offset1:160
	ds_load_2addr_b64 v[71:74], v51 offset0:192 offset1:224
	ds_load_2addr_b64 v[85:88], v49 offset1:32
	ds_load_2addr_b64 v[90:93], v49 offset0:64 offset1:96
	ds_load_2addr_b64 v[94:97], v49 offset0:128 offset1:160
	;; [unrolled: 1-line block ×3, first 2 shown]
	ds_load_2addr_b64 v[102:105], v48 offset1:32
	ds_load_2addr_b64 v[106:109], v48 offset0:64 offset1:96
	ds_load_b128 v[110:113], v39 offset:576
	ds_load_b128 v[114:117], v39 offset:592
	ds_load_2addr_b64 v[118:121], v48 offset0:128 offset1:160
	ds_load_2addr_b64 v[122:125], v48 offset0:192 offset1:224
	ds_load_2addr_b64 v[126:129], v47 offset1:32
	ds_load_2addr_b64 v[130:133], v47 offset0:64 offset1:96
	ds_load_2addr_b64 v[134:137], v47 offset0:128 offset1:160
	;; [unrolled: 1-line block ×3, first 2 shown]
	ds_load_2addr_b64 v[142:145], v46 offset1:32
	ds_load_2addr_b64 v[146:149], v46 offset0:64 offset1:96
	ds_load_b128 v[150:153], v39 offset:608
	ds_load_b128 v[154:157], v39 offset:624
	ds_load_2addr_b64 v[158:161], v46 offset0:128 offset1:160
	ds_load_2addr_b64 v[162:165], v46 offset0:192 offset1:224
	s_waitcnt lgkmcnt(0)
	s_barrier
	buffer_gl0_inv
	s_clause 0x3
	global_load_b128 v[166:169], v[8:9], off
	global_load_b128 v[170:173], v[8:9], off offset:512
	global_load_b128 v[174:177], v[52:53], off
	global_load_b128 v[178:181], v[52:53], off offset:512
	v_pk_fma_f16 v8, v64, v10, v81 op_sel:[0,1,0]
	v_pk_fma_f16 v9, v64, v11, v182 op_sel_hi:[1,0,1]
	v_pk_fma_f16 v52, v64, v11, v183 op_sel:[0,1,0]
	v_pk_fma_f16 v53, v65, v10, v184 op_sel_hi:[1,0,1]
	v_pk_fma_f16 v64, v65, v10, v185 op_sel:[0,1,0]
	v_pk_fma_f16 v81, v65, v11, v82 op_sel_hi:[1,0,1]
	v_pk_fma_f16 v65, v65, v11, v186 op_sel:[0,1,0]
	v_pk_fma_f16 v82, v66, v10, v187 op_sel_hi:[1,0,1]
	v_pk_fma_f16 v10, v66, v10, v188 op_sel:[0,1,0]
	v_pk_fma_f16 v182, v66, v11, v189 op_sel_hi:[1,0,1]
	v_pk_fma_f16 v11, v66, v11, v190 op_sel:[0,1,0]
	v_pk_fma_f16 v66, v55, v4, v191 op_sel_hi:[1,0,1]
	v_pk_fma_f16 v183, v55, v4, v192 op_sel:[0,1,0]
	v_pk_fma_f16 v184, v55, v5, v193 op_sel_hi:[1,0,1]
	v_pk_fma_f16 v55, v55, v5, v194 op_sel:[0,1,0]
	v_pk_fma_f16 v185, v56, v4, v195 op_sel_hi:[1,0,1]
	v_pk_fma_f16 v186, v56, v4, v196 op_sel:[0,1,0]
	v_pk_fma_f16 v187, v56, v5, v197 op_sel_hi:[1,0,1]
	v_pk_fma_f16 v56, v56, v5, v198 op_sel:[0,1,0]
	v_pk_fma_f16 v188, v57, v4, v199 op_sel_hi:[1,0,1]
	v_pk_fma_f16 v189, v57, v4, v200 op_sel:[0,1,0]
	v_pk_fma_f16 v190, v57, v5, v201 op_sel_hi:[1,0,1]
	v_pk_fma_f16 v57, v57, v5, v202 op_sel:[0,1,0]
	v_pk_fma_f16 v191, v58, v4, v203 op_sel_hi:[1,0,1]
	v_pk_fma_f16 v192, v58, v4, v204 op_sel:[0,1,0]
	v_pk_fma_f16 v193, v58, v5, v205 op_sel_hi:[1,0,1]
	v_pk_fma_f16 v58, v58, v5, v206 op_sel:[0,1,0]
	v_pk_fma_f16 v194, v59, v4, v207 op_sel_hi:[1,0,1]
	v_pk_fma_f16 v75, v59, v4, v75 op_sel:[0,1,0]
	v_pk_fma_f16 v76, v59, v5, v76 op_sel_hi:[1,0,1]
	v_pk_fma_f16 v59, v59, v5, v63 op_sel:[0,1,0]
	v_pk_fma_f16 v63, v60, v4, v208 op_sel_hi:[1,0,1]
	v_pk_fma_f16 v8, v60, v4, v8 op_sel:[0,1,0]
	v_pk_fma_f16 v9, v60, v5, v9 op_sel_hi:[1,0,1]
	v_pk_fma_f16 v52, v60, v5, v52 op_sel:[0,1,0]
	v_pk_fma_f16 v53, v61, v4, v53 op_sel_hi:[1,0,1]
	v_pk_fma_f16 v60, v61, v4, v64 op_sel:[0,1,0]
	v_pk_fma_f16 v64, v61, v5, v81 op_sel_hi:[1,0,1]
	v_pk_fma_f16 v61, v61, v5, v65 op_sel:[0,1,0]
	v_pk_fma_f16 v65, v62, v4, v82 op_sel_hi:[1,0,1]
	v_pk_fma_f16 v4, v62, v4, v10 op_sel:[0,1,0]
	v_pk_fma_f16 v10, v62, v5, v182 op_sel_hi:[1,0,1]
	v_pk_fma_f16 v5, v62, v5, v11 op_sel:[0,1,0]
	v_pk_fma_f16 v11, v67, v6, v66 op_sel_hi:[1,0,1]
	v_pk_fma_f16 v62, v67, v6, v183 op_sel:[0,1,0]
	v_pk_fma_f16 v66, v67, v7, v184 op_sel_hi:[1,0,1]
	v_pk_fma_f16 v55, v67, v7, v55 op_sel:[0,1,0]
	v_pk_fma_f16 v67, v68, v6, v185 op_sel_hi:[1,0,1]
	v_pk_fma_f16 v56, v68, v7, v56 op_sel:[0,1,0]
	v_pk_fma_f16 v57, v69, v7, v57 op_sel:[0,1,0]
	;; [unrolled: 1-line block ×4, first 2 shown]
	v_pk_fma_f16 v82, v68, v7, v187 op_sel_hi:[1,0,1]
	v_pk_fma_f16 v68, v69, v6, v188 op_sel_hi:[1,0,1]
	v_pk_fma_f16 v182, v69, v6, v189 op_sel:[0,1,0]
	v_pk_fma_f16 v183, v69, v7, v190 op_sel_hi:[1,0,1]
	v_pk_fma_f16 v69, v70, v6, v191 op_sel_hi:[1,0,1]
	v_pk_fma_f16 v184, v70, v6, v192 op_sel:[0,1,0]
	;; [unrolled: 3-line block ×3, first 2 shown]
	v_pk_fma_f16 v59, v71, v7, v59 op_sel:[0,1,0]
	v_pk_fma_f16 v63, v72, v6, v63 op_sel_hi:[1,0,1]
	v_pk_fma_f16 v8, v72, v6, v8 op_sel:[0,1,0]
	v_pk_fma_f16 v53, v73, v6, v53 op_sel_hi:[1,0,1]
	v_pk_fma_f16 v60, v73, v6, v60 op_sel:[0,1,0]
	v_pk_fma_f16 v61, v73, v7, v61 op_sel:[0,1,0]
	v_pk_fma_f16 v65, v74, v6, v65 op_sel_hi:[1,0,1]
	v_pk_fma_f16 v4, v74, v6, v4 op_sel:[0,1,0]
	v_pk_fma_f16 v6, v74, v7, v10 op_sel_hi:[1,0,1]
	v_pk_fma_f16 v10, v85, v110, v62 op_sel:[0,1,0]
	v_pk_fma_f16 v55, v85, v111, v55 op_sel:[0,1,0]
	v_pk_fma_f16 v62, v86, v110, v67 op_sel_hi:[1,0,1]
	v_pk_fma_f16 v56, v86, v111, v56 op_sel:[0,1,0]
	v_pk_fma_f16 v57, v87, v111, v57 op_sel:[0,1,0]
	;; [unrolled: 1-line block ×7, first 2 shown]
	v_pk_fma_f16 v62, v95, v112, v62 op_sel_hi:[1,0,1]
	v_pk_fma_f16 v56, v95, v113, v56 op_sel:[0,1,0]
	v_pk_fma_f16 v57, v96, v113, v57 op_sel:[0,1,0]
	;; [unrolled: 1-line block ×7, first 2 shown]
	v_pk_fma_f16 v62, v103, v114, v62 op_sel_hi:[1,0,1]
	v_pk_fma_f16 v56, v103, v115, v56 op_sel:[0,1,0]
	v_pk_fma_f16 v57, v104, v115, v57 op_sel:[0,1,0]
	;; [unrolled: 1-line block ×3, first 2 shown]
	v_pk_fma_f16 v9, v72, v7, v9 op_sel_hi:[1,0,1]
	v_pk_fma_f16 v64, v73, v7, v64 op_sel_hi:[1,0,1]
	v_pk_fma_f16 v5, v74, v7, v5 op_sel:[0,1,0]
	v_pk_fma_f16 v76, v71, v7, v76 op_sel_hi:[1,0,1]
	v_pk_fma_f16 v52, v72, v7, v52 op_sel:[0,1,0]
	v_pk_fma_f16 v7, v85, v110, v11 op_sel_hi:[1,0,1]
	v_pk_fma_f16 v11, v85, v111, v66 op_sel_hi:[1,0,1]
	v_pk_fma_f16 v66, v86, v110, v81 op_sel:[0,1,0]
	v_pk_fma_f16 v67, v86, v111, v82 op_sel_hi:[1,0,1]
	;; [unrolled: 3-line block ×4, first 2 shown]
	v_pk_fma_f16 v59, v106, v115, v59 op_sel:[0,1,0]
	v_pk_fma_f16 v60, v108, v114, v60 op_sel:[0,1,0]
	;; [unrolled: 1-line block ×4, first 2 shown]
	v_pk_fma_f16 v62, v119, v116, v62 op_sel_hi:[1,0,1]
	v_pk_fma_f16 v56, v119, v117, v56 op_sel:[0,1,0]
	v_pk_fma_f16 v57, v120, v117, v57 op_sel:[0,1,0]
	;; [unrolled: 1-line block ×3, first 2 shown]
	v_pk_fma_f16 v70, v90, v110, v70 op_sel_hi:[1,0,1]
	v_pk_fma_f16 v63, v91, v110, v63 op_sel_hi:[1,0,1]
	v_pk_fma_f16 v8, v91, v110, v8 op_sel:[0,1,0]
	v_pk_fma_f16 v9, v91, v111, v9 op_sel_hi:[1,0,1]
	v_pk_fma_f16 v64, v92, v111, v64 op_sel_hi:[1,0,1]
	;; [unrolled: 1-line block ×3, first 2 shown]
	v_pk_fma_f16 v4, v93, v110, v4 op_sel:[0,1,0]
	v_pk_fma_f16 v6, v93, v111, v6 op_sel_hi:[1,0,1]
	v_pk_fma_f16 v5, v93, v111, v5 op_sel:[0,1,0]
	v_pk_fma_f16 v7, v94, v112, v7 op_sel_hi:[1,0,1]
	;; [unrolled: 2-line block ×4, first 2 shown]
	v_pk_fma_f16 v68, v96, v112, v68 op_sel_hi:[1,0,1]
	v_pk_fma_f16 v71, v96, v112, v71 op_sel:[0,1,0]
	v_pk_fma_f16 v72, v96, v113, v72 op_sel_hi:[1,0,1]
	v_pk_fma_f16 v69, v97, v112, v69 op_sel_hi:[1,0,1]
	v_pk_fma_f16 v73, v97, v112, v73 op_sel:[0,1,0]
	v_pk_fma_f16 v74, v97, v113, v74 op_sel_hi:[1,0,1]
	v_pk_fma_f16 v59, v122, v117, v59 op_sel:[0,1,0]
	v_pk_fma_f16 v60, v124, v116, v60 op_sel:[0,1,0]
	;; [unrolled: 1-line block ×4, first 2 shown]
	v_pk_fma_f16 v62, v127, v150, v62 op_sel_hi:[1,0,1]
	v_pk_fma_f16 v56, v127, v151, v56 op_sel:[0,1,0]
	v_pk_fma_f16 v57, v128, v151, v57 op_sel:[0,1,0]
	v_pk_fma_f16 v58, v129, v151, v58 op_sel:[0,1,0]
	v_pk_fma_f16 v70, v98, v112, v70 op_sel_hi:[1,0,1]
	v_pk_fma_f16 v63, v99, v112, v63 op_sel_hi:[1,0,1]
	v_pk_fma_f16 v8, v99, v112, v8 op_sel:[0,1,0]
	v_pk_fma_f16 v9, v99, v113, v9 op_sel_hi:[1,0,1]
	v_pk_fma_f16 v64, v100, v113, v64 op_sel_hi:[1,0,1]
	;; [unrolled: 1-line block ×3, first 2 shown]
	v_pk_fma_f16 v4, v101, v112, v4 op_sel:[0,1,0]
	v_pk_fma_f16 v6, v101, v113, v6 op_sel_hi:[1,0,1]
	v_pk_fma_f16 v5, v101, v113, v5 op_sel:[0,1,0]
	v_pk_fma_f16 v7, v102, v114, v7 op_sel_hi:[1,0,1]
	;; [unrolled: 2-line block ×4, first 2 shown]
	v_pk_fma_f16 v68, v104, v114, v68 op_sel_hi:[1,0,1]
	v_pk_fma_f16 v71, v104, v114, v71 op_sel:[0,1,0]
	v_pk_fma_f16 v72, v104, v115, v72 op_sel_hi:[1,0,1]
	v_pk_fma_f16 v69, v105, v114, v69 op_sel_hi:[1,0,1]
	v_pk_fma_f16 v73, v105, v114, v73 op_sel:[0,1,0]
	v_pk_fma_f16 v74, v105, v115, v74 op_sel_hi:[1,0,1]
	v_pk_fma_f16 v59, v130, v151, v59 op_sel:[0,1,0]
	v_pk_fma_f16 v60, v132, v150, v60 op_sel:[0,1,0]
	;; [unrolled: 1-line block ×4, first 2 shown]
	v_pk_fma_f16 v62, v135, v152, v62 op_sel_hi:[1,0,1]
	v_pk_fma_f16 v56, v135, v153, v56 op_sel:[0,1,0]
	v_pk_fma_f16 v57, v136, v153, v57 op_sel:[0,1,0]
	;; [unrolled: 1-line block ×3, first 2 shown]
	v_pk_fma_f16 v70, v106, v114, v70 op_sel_hi:[1,0,1]
	v_pk_fma_f16 v63, v107, v114, v63 op_sel_hi:[1,0,1]
	v_pk_fma_f16 v8, v107, v114, v8 op_sel:[0,1,0]
	v_pk_fma_f16 v9, v107, v115, v9 op_sel_hi:[1,0,1]
	v_pk_fma_f16 v64, v108, v115, v64 op_sel_hi:[1,0,1]
	;; [unrolled: 1-line block ×3, first 2 shown]
	v_pk_fma_f16 v4, v109, v114, v4 op_sel:[0,1,0]
	v_pk_fma_f16 v6, v109, v115, v6 op_sel_hi:[1,0,1]
	v_pk_fma_f16 v5, v109, v115, v5 op_sel:[0,1,0]
	v_pk_fma_f16 v75, v90, v110, v75 op_sel:[0,1,0]
	v_pk_fma_f16 v76, v90, v111, v76 op_sel_hi:[1,0,1]
	v_pk_fma_f16 v52, v91, v111, v52 op_sel:[0,1,0]
	v_pk_fma_f16 v53, v92, v110, v53 op_sel_hi:[1,0,1]
	v_pk_fma_f16 v7, v118, v116, v7 op_sel_hi:[1,0,1]
	v_pk_fma_f16 v10, v118, v116, v10 op_sel:[0,1,0]
	v_pk_fma_f16 v11, v118, v117, v11 op_sel_hi:[1,0,1]
	v_pk_fma_f16 v66, v119, v116, v66 op_sel:[0,1,0]
	v_pk_fma_f16 v67, v119, v117, v67 op_sel_hi:[1,0,1]
	v_pk_fma_f16 v68, v120, v116, v68 op_sel_hi:[1,0,1]
	v_pk_fma_f16 v71, v120, v116, v71 op_sel:[0,1,0]
	v_pk_fma_f16 v72, v120, v117, v72 op_sel_hi:[1,0,1]
	v_pk_fma_f16 v69, v121, v116, v69 op_sel_hi:[1,0,1]
	v_pk_fma_f16 v73, v121, v116, v73 op_sel:[0,1,0]
	v_pk_fma_f16 v74, v121, v117, v74 op_sel_hi:[1,0,1]
	v_pk_fma_f16 v59, v138, v153, v59 op_sel:[0,1,0]
	v_pk_fma_f16 v60, v140, v152, v60 op_sel:[0,1,0]
	;; [unrolled: 1-line block ×4, first 2 shown]
	v_pk_fma_f16 v62, v143, v154, v62 op_sel_hi:[1,0,1]
	v_pk_fma_f16 v56, v143, v155, v56 op_sel:[0,1,0]
	v_pk_fma_f16 v57, v144, v155, v57 op_sel:[0,1,0]
	;; [unrolled: 1-line block ×3, first 2 shown]
	v_pk_fma_f16 v70, v122, v116, v70 op_sel_hi:[1,0,1]
	v_pk_fma_f16 v63, v123, v116, v63 op_sel_hi:[1,0,1]
	v_pk_fma_f16 v8, v123, v116, v8 op_sel:[0,1,0]
	v_pk_fma_f16 v9, v123, v117, v9 op_sel_hi:[1,0,1]
	v_pk_fma_f16 v64, v124, v117, v64 op_sel_hi:[1,0,1]
	;; [unrolled: 1-line block ×3, first 2 shown]
	v_pk_fma_f16 v4, v125, v116, v4 op_sel:[0,1,0]
	v_pk_fma_f16 v6, v125, v117, v6 op_sel_hi:[1,0,1]
	v_pk_fma_f16 v5, v125, v117, v5 op_sel:[0,1,0]
	v_pk_fma_f16 v75, v98, v112, v75 op_sel:[0,1,0]
	v_pk_fma_f16 v76, v98, v113, v76 op_sel_hi:[1,0,1]
	v_pk_fma_f16 v52, v99, v113, v52 op_sel:[0,1,0]
	v_pk_fma_f16 v53, v100, v112, v53 op_sel_hi:[1,0,1]
	v_pk_fma_f16 v7, v126, v150, v7 op_sel_hi:[1,0,1]
	v_pk_fma_f16 v10, v126, v150, v10 op_sel:[0,1,0]
	v_pk_fma_f16 v11, v126, v151, v11 op_sel_hi:[1,0,1]
	v_pk_fma_f16 v66, v127, v150, v66 op_sel:[0,1,0]
	v_pk_fma_f16 v67, v127, v151, v67 op_sel_hi:[1,0,1]
	v_pk_fma_f16 v68, v128, v150, v68 op_sel_hi:[1,0,1]
	v_pk_fma_f16 v71, v128, v150, v71 op_sel:[0,1,0]
	v_pk_fma_f16 v72, v128, v151, v72 op_sel_hi:[1,0,1]
	;; [unrolled: 3-line block ×3, first 2 shown]
	v_pk_fma_f16 v81, v146, v155, v59 op_sel:[0,1,0]
	v_pk_fma_f16 v82, v148, v154, v60 op_sel:[0,1,0]
	;; [unrolled: 1-line block ×4, first 2 shown]
	v_pk_fma_f16 v91, v159, v156, v62 op_sel_hi:[1,0,1]
	v_pk_fma_f16 v94, v159, v157, v56 op_sel:[0,1,0]
	v_pk_fma_f16 v96, v160, v157, v57 op_sel:[0,1,0]
	;; [unrolled: 1-line block ×3, first 2 shown]
	s_waitcnt vmcnt(3)
	ds_store_b128 v41, v[166:169]
	s_waitcnt vmcnt(2)
	ds_store_b128 v42, v[170:173]
	;; [unrolled: 2-line block ×4, first 2 shown]
	s_waitcnt lgkmcnt(0)
	s_barrier
	buffer_gl0_inv
	ds_load_2addr_b64 v[55:58], v84 offset1:32
	ds_load_b128 v[59:62], v39 offset:640
	v_pk_fma_f16 v70, v130, v150, v70 op_sel_hi:[1,0,1]
	v_pk_fma_f16 v63, v131, v150, v63 op_sel_hi:[1,0,1]
	v_pk_fma_f16 v8, v131, v150, v8 op_sel:[0,1,0]
	v_pk_fma_f16 v9, v131, v151, v9 op_sel_hi:[1,0,1]
	v_pk_fma_f16 v64, v132, v151, v64 op_sel_hi:[1,0,1]
	v_pk_fma_f16 v65, v133, v150, v65 op_sel_hi:[1,0,1]
	v_pk_fma_f16 v4, v133, v150, v4 op_sel:[0,1,0]
	v_pk_fma_f16 v6, v133, v151, v6 op_sel_hi:[1,0,1]
	v_pk_fma_f16 v5, v133, v151, v5 op_sel:[0,1,0]
	v_pk_fma_f16 v75, v106, v114, v75 op_sel:[0,1,0]
	v_pk_fma_f16 v76, v106, v115, v76 op_sel_hi:[1,0,1]
	v_pk_fma_f16 v52, v107, v115, v52 op_sel:[0,1,0]
	v_pk_fma_f16 v53, v108, v114, v53 op_sel_hi:[1,0,1]
	v_pk_fma_f16 v7, v134, v152, v7 op_sel_hi:[1,0,1]
	v_pk_fma_f16 v10, v134, v152, v10 op_sel:[0,1,0]
	v_pk_fma_f16 v11, v134, v153, v11 op_sel_hi:[1,0,1]
	v_pk_fma_f16 v66, v135, v152, v66 op_sel:[0,1,0]
	v_pk_fma_f16 v67, v135, v153, v67 op_sel_hi:[1,0,1]
	v_pk_fma_f16 v68, v136, v152, v68 op_sel_hi:[1,0,1]
	v_pk_fma_f16 v71, v136, v152, v71 op_sel:[0,1,0]
	v_pk_fma_f16 v72, v136, v153, v72 op_sel_hi:[1,0,1]
	v_pk_fma_f16 v69, v137, v152, v69 op_sel_hi:[1,0,1]
	v_pk_fma_f16 v73, v137, v152, v73 op_sel:[0,1,0]
	v_pk_fma_f16 v74, v137, v153, v74 op_sel_hi:[1,0,1]
	v_pk_fma_f16 v70, v138, v152, v70 op_sel_hi:[1,0,1]
	v_pk_fma_f16 v63, v139, v152, v63 op_sel_hi:[1,0,1]
	v_pk_fma_f16 v8, v139, v152, v8 op_sel:[0,1,0]
	v_pk_fma_f16 v9, v139, v153, v9 op_sel_hi:[1,0,1]
	v_pk_fma_f16 v64, v140, v153, v64 op_sel_hi:[1,0,1]
	v_pk_fma_f16 v65, v141, v152, v65 op_sel_hi:[1,0,1]
	v_pk_fma_f16 v4, v141, v152, v4 op_sel:[0,1,0]
	v_pk_fma_f16 v6, v141, v153, v6 op_sel_hi:[1,0,1]
	v_pk_fma_f16 v5, v141, v153, v5 op_sel:[0,1,0]
	v_pk_fma_f16 v75, v122, v116, v75 op_sel:[0,1,0]
	v_pk_fma_f16 v76, v122, v117, v76 op_sel_hi:[1,0,1]
	v_pk_fma_f16 v52, v123, v117, v52 op_sel:[0,1,0]
	v_pk_fma_f16 v53, v124, v116, v53 op_sel_hi:[1,0,1]
	v_pk_fma_f16 v7, v142, v154, v7 op_sel_hi:[1,0,1]
	v_pk_fma_f16 v10, v142, v154, v10 op_sel:[0,1,0]
	v_pk_fma_f16 v11, v142, v155, v11 op_sel_hi:[1,0,1]
	v_pk_fma_f16 v66, v143, v154, v66 op_sel:[0,1,0]
	v_pk_fma_f16 v67, v143, v155, v67 op_sel_hi:[1,0,1]
	v_pk_fma_f16 v68, v144, v154, v68 op_sel_hi:[1,0,1]
	v_pk_fma_f16 v71, v144, v154, v71 op_sel:[0,1,0]
	v_pk_fma_f16 v72, v144, v155, v72 op_sel_hi:[1,0,1]
	v_pk_fma_f16 v69, v145, v154, v69 op_sel_hi:[1,0,1]
	v_pk_fma_f16 v73, v145, v154, v73 op_sel:[0,1,0]
	v_pk_fma_f16 v74, v145, v155, v74 op_sel_hi:[1,0,1]
	;; [unrolled: 24-line block ×3, first 2 shown]
	v_pk_fma_f16 v100, v162, v156, v70 op_sel_hi:[1,0,1]
	v_pk_fma_f16 v101, v163, v156, v63 op_sel_hi:[1,0,1]
	v_pk_fma_f16 v102, v163, v156, v8 op_sel:[0,1,0]
	v_pk_fma_f16 v103, v163, v157, v9 op_sel_hi:[1,0,1]
	v_pk_fma_f16 v104, v164, v157, v64 op_sel_hi:[1,0,1]
	v_pk_fma_f16 v105, v165, v156, v65 op_sel_hi:[1,0,1]
	v_pk_fma_f16 v106, v165, v156, v4 op_sel:[0,1,0]
	v_pk_fma_f16 v107, v165, v157, v6 op_sel_hi:[1,0,1]
	v_pk_fma_f16 v108, v165, v157, v5 op_sel:[0,1,0]
	ds_load_2addr_b64 v[63:66], v84 offset0:64 offset1:96
	ds_load_b128 v[67:70], v39 offset:656
	ds_load_b128 v[8:11], v39 offset:672
	;; [unrolled: 1-line block ×3, first 2 shown]
	v_pk_fma_f16 v75, v138, v152, v75 op_sel:[0,1,0]
	v_pk_fma_f16 v76, v138, v153, v76 op_sel_hi:[1,0,1]
	v_pk_fma_f16 v52, v139, v153, v52 op_sel:[0,1,0]
	v_pk_fma_f16 v53, v140, v152, v53 op_sel_hi:[1,0,1]
	s_waitcnt lgkmcnt(4)
	v_pk_fma_f16 v86, v55, v59, v86 op_sel_hi:[1,0,1]
	v_pk_fma_f16 v87, v55, v59, v87 op_sel:[0,1,0]
	v_pk_fma_f16 v88, v55, v60, v88 op_sel_hi:[1,0,1]
	v_pk_fma_f16 v90, v55, v60, v90 op_sel:[0,1,0]
	;; [unrolled: 2-line block ×7, first 2 shown]
	ds_load_2addr_b64 v[71:74], v84 offset0:128 offset1:160
	v_pk_fma_f16 v98, v58, v60, v98 op_sel_hi:[1,0,1]
	v_pk_fma_f16 v99, v58, v60, v99 op_sel:[0,1,0]
	ds_load_2addr_b64 v[55:58], v84 offset0:192 offset1:224
	v_pk_fma_f16 v75, v146, v154, v75 op_sel:[0,1,0]
	v_pk_fma_f16 v76, v146, v155, v76 op_sel_hi:[1,0,1]
	v_pk_fma_f16 v52, v147, v155, v52 op_sel:[0,1,0]
	v_pk_fma_f16 v53, v148, v154, v53 op_sel_hi:[1,0,1]
	v_pk_fma_f16 v81, v162, v157, v81 op_sel:[0,1,0]
	v_pk_fma_f16 v75, v162, v156, v75 op_sel:[0,1,0]
	v_pk_fma_f16 v76, v162, v157, v76 op_sel_hi:[1,0,1]
	v_pk_fma_f16 v52, v163, v157, v52 op_sel:[0,1,0]
	v_pk_fma_f16 v53, v164, v156, v53 op_sel_hi:[1,0,1]
	v_pk_fma_f16 v82, v164, v156, v82 op_sel:[0,1,0]
	v_pk_fma_f16 v85, v164, v157, v85 op_sel:[0,1,0]
	s_waitcnt lgkmcnt(5)
	v_pk_fma_f16 v100, v63, v59, v100 op_sel_hi:[1,0,1]
	v_pk_fma_f16 v75, v63, v59, v75 op_sel:[0,1,0]
	v_pk_fma_f16 v76, v63, v60, v76 op_sel_hi:[1,0,1]
	v_pk_fma_f16 v81, v63, v60, v81 op_sel:[0,1,0]
	;; [unrolled: 2-line block ×8, first 2 shown]
	ds_load_2addr_b64 v[63:66], v83 offset1:32
	s_waitcnt lgkmcnt(2)
	v_pk_fma_f16 v86, v71, v61, v86 op_sel_hi:[1,0,1]
	v_pk_fma_f16 v87, v71, v61, v87 op_sel:[0,1,0]
	v_pk_fma_f16 v88, v71, v62, v88 op_sel_hi:[1,0,1]
	v_pk_fma_f16 v90, v71, v62, v90 op_sel:[0,1,0]
	;; [unrolled: 2-line block ×8, first 2 shown]
	s_waitcnt lgkmcnt(1)
	v_pk_fma_f16 v100, v55, v61, v100 op_sel_hi:[1,0,1]
	v_pk_fma_f16 v75, v55, v61, v75 op_sel:[0,1,0]
	v_pk_fma_f16 v76, v55, v62, v76 op_sel_hi:[1,0,1]
	v_pk_fma_f16 v81, v55, v62, v81 op_sel:[0,1,0]
	;; [unrolled: 2-line block ×7, first 2 shown]
	ds_load_2addr_b64 v[71:74], v83 offset0:64 offset1:96
	v_pk_fma_f16 v106, v58, v62, v106 op_sel_hi:[1,0,1]
	v_pk_fma_f16 v110, v58, v62, v60 op_sel:[0,1,0]
	ds_load_2addr_b64 v[55:58], v83 offset0:128 offset1:160
	s_waitcnt lgkmcnt(2)
	v_pk_fma_f16 v86, v63, v67, v86 op_sel_hi:[1,0,1]
	v_pk_fma_f16 v87, v63, v67, v87 op_sel:[0,1,0]
	v_pk_fma_f16 v88, v63, v68, v88 op_sel_hi:[1,0,1]
	v_pk_fma_f16 v63, v63, v68, v90 op_sel:[0,1,0]
	;; [unrolled: 2-line block ×8, first 2 shown]
	s_waitcnt lgkmcnt(1)
	v_pk_fma_f16 v100, v71, v67, v100 op_sel_hi:[1,0,1]
	v_pk_fma_f16 v75, v71, v67, v75 op_sel:[0,1,0]
	v_pk_fma_f16 v76, v71, v68, v76 op_sel_hi:[1,0,1]
	v_pk_fma_f16 v71, v71, v68, v81 op_sel:[0,1,0]
	;; [unrolled: 2-line block ×7, first 2 shown]
	ds_load_2addr_b64 v[59:62], v83 offset0:192 offset1:224
	v_pk_fma_f16 v103, v74, v68, v106 op_sel_hi:[1,0,1]
	v_pk_fma_f16 v68, v74, v68, v110 op_sel:[0,1,0]
	s_waitcnt lgkmcnt(1)
	v_pk_fma_f16 v74, v55, v69, v86 op_sel_hi:[1,0,1]
	v_pk_fma_f16 v86, v55, v69, v87 op_sel:[0,1,0]
	v_pk_fma_f16 v87, v55, v70, v88 op_sel_hi:[1,0,1]
	v_pk_fma_f16 v88, v55, v70, v63 op_sel:[0,1,0]
	v_pk_fma_f16 v104, v56, v70, v64 op_sel:[0,1,0]
	v_pk_fma_f16 v105, v57, v70, v65 op_sel:[0,1,0]
	ds_load_2addr_b64 v[63:66], v50 offset1:32
	v_pk_fma_f16 v90, v56, v69, v90 op_sel_hi:[1,0,1]
	v_pk_fma_f16 v91, v56, v69, v91 op_sel:[0,1,0]
	v_pk_fma_f16 v92, v56, v70, v92 op_sel_hi:[1,0,1]
	v_pk_fma_f16 v93, v57, v69, v93 op_sel_hi:[1,0,1]
	v_pk_fma_f16 v94, v57, v69, v94 op_sel:[0,1,0]
	v_pk_fma_f16 v95, v57, v70, v95 op_sel_hi:[1,0,1]
	;; [unrolled: 3-line block ×3, first 2 shown]
	v_pk_fma_f16 v99, v58, v70, v99 op_sel:[0,1,0]
	ds_load_2addr_b64 v[55:58], v50 offset0:64 offset1:96
	s_or_b32 s4, s13, 0x60
	s_waitcnt lgkmcnt(2)
	v_pk_fma_f16 v100, v59, v69, v100 op_sel_hi:[1,0,1]
	v_pk_fma_f16 v75, v59, v69, v75 op_sel:[0,1,0]
	v_pk_fma_f16 v76, v59, v70, v76 op_sel_hi:[1,0,1]
	v_pk_fma_f16 v71, v59, v70, v71 op_sel:[0,1,0]
	;; [unrolled: 2-line block ×8, first 2 shown]
	s_waitcnt lgkmcnt(1)
	v_pk_fma_f16 v70, v63, v8, v74 op_sel_hi:[1,0,1]
	v_pk_fma_f16 v74, v63, v8, v86 op_sel:[0,1,0]
	v_pk_fma_f16 v86, v63, v9, v87 op_sel_hi:[1,0,1]
	v_pk_fma_f16 v87, v63, v9, v88 op_sel:[0,1,0]
	;; [unrolled: 2-line block ×7, first 2 shown]
	ds_load_2addr_b64 v[59:62], v50 offset0:128 offset1:160
	v_pk_fma_f16 v98, v66, v9, v98 op_sel_hi:[1,0,1]
	v_pk_fma_f16 v99, v66, v9, v99 op_sel:[0,1,0]
	ds_load_2addr_b64 v[63:66], v50 offset0:192 offset1:224
	s_mul_hi_i32 s19, s4, s10
	s_mul_i32 s18, s4, s10
	s_waitcnt lgkmcnt(2)
	v_pk_fma_f16 v100, v55, v8, v100 op_sel_hi:[1,0,1]
	s_lshl_b64 s[18:19], s[18:19], 2
	v_pk_fma_f16 v75, v55, v8, v75 op_sel:[0,1,0]
	s_add_u32 s4, s11, s18
	v_pk_fma_f16 v76, v55, v9, v76 op_sel_hi:[1,0,1]
	v_pk_fma_f16 v55, v55, v9, v71 op_sel:[0,1,0]
	v_pk_fma_f16 v71, v56, v8, v81 op_sel_hi:[1,0,1]
	v_pk_fma_f16 v81, v56, v8, v101 op_sel:[0,1,0]
	;; [unrolled: 2-line block ×4, first 2 shown]
	s_addc_u32 s17, s16, s19
	v_add_co_u32 v8, vcc_lo, s4, v27
	v_pk_fma_f16 v182, v56, v9, v102 op_sel_hi:[1,0,1]
	v_pk_fma_f16 v183, v56, v9, v52 op_sel:[0,1,0]
	v_pk_fma_f16 v82, v57, v9, v82 op_sel_hi:[1,0,1]
	v_pk_fma_f16 v186, v57, v9, v73 op_sel:[0,1,0]
	;; [unrolled: 2-line block ×3, first 2 shown]
	v_add_co_ci_u32_e32 v9, vcc_lo, s17, v28, vcc_lo
	v_add_co_u32 v52, vcc_lo, s4, v29
	v_add_co_ci_u32_e32 v53, vcc_lo, s17, v30, vcc_lo
	v_add_co_u32 v8, vcc_lo, v8, v89
	s_delay_alu instid0(VALU_DEP_4) | instskip(NEXT) | instid1(VALU_DEP_4)
	v_add_co_ci_u32_e32 v9, vcc_lo, 0, v9, vcc_lo
	v_add_co_u32 v52, vcc_lo, v52, v89
	s_delay_alu instid0(VALU_DEP_4)
	v_add_co_ci_u32_e32 v53, vcc_lo, 0, v53, vcc_lo
	s_waitcnt lgkmcnt(1)
	v_pk_fma_f16 v191, v59, v10, v70 op_sel_hi:[1,0,1]
	v_pk_fma_f16 v192, v59, v10, v74 op_sel:[0,1,0]
	v_pk_fma_f16 v193, v59, v11, v86 op_sel_hi:[1,0,1]
	v_pk_fma_f16 v194, v59, v11, v87 op_sel:[0,1,0]
	;; [unrolled: 2-line block ×8, first 2 shown]
	s_waitcnt lgkmcnt(0)
	v_pk_fma_f16 v207, v63, v10, v100 op_sel_hi:[1,0,1]
	v_pk_fma_f16 v75, v63, v10, v75 op_sel:[0,1,0]
	v_pk_fma_f16 v76, v63, v11, v76 op_sel_hi:[1,0,1]
	v_pk_fma_f16 v63, v63, v11, v55 op_sel:[0,1,0]
	v_pk_fma_f16 v208, v64, v10, v71 op_sel_hi:[1,0,1]
	ds_load_2addr_b64 v[55:58], v51 offset1:32
	ds_load_2addr_b64 v[59:62], v51 offset0:64 offset1:96
	ds_load_2addr_b64 v[67:70], v51 offset0:128 offset1:160
	;; [unrolled: 1-line block ×3, first 2 shown]
	ds_load_2addr_b64 v[85:88], v49 offset1:32
	ds_load_2addr_b64 v[90:93], v49 offset0:64 offset1:96
	ds_load_2addr_b64 v[94:97], v49 offset0:128 offset1:160
	;; [unrolled: 1-line block ×3, first 2 shown]
	ds_load_2addr_b64 v[102:105], v48 offset1:32
	ds_load_2addr_b64 v[106:109], v48 offset0:64 offset1:96
	ds_load_b128 v[110:113], v39 offset:704
	ds_load_b128 v[114:117], v39 offset:720
	ds_load_2addr_b64 v[118:121], v48 offset0:128 offset1:160
	ds_load_2addr_b64 v[122:125], v48 offset0:192 offset1:224
	ds_load_2addr_b64 v[126:129], v47 offset1:32
	ds_load_2addr_b64 v[130:133], v47 offset0:64 offset1:96
	ds_load_2addr_b64 v[134:137], v47 offset0:128 offset1:160
	;; [unrolled: 1-line block ×3, first 2 shown]
	ds_load_2addr_b64 v[142:145], v46 offset1:32
	ds_load_2addr_b64 v[146:149], v46 offset0:64 offset1:96
	ds_load_b128 v[150:153], v39 offset:736
	ds_load_b128 v[154:157], v39 offset:752
	ds_load_2addr_b64 v[158:161], v46 offset0:128 offset1:160
	ds_load_2addr_b64 v[162:165], v46 offset0:192 offset1:224
	s_waitcnt lgkmcnt(0)
	s_barrier
	buffer_gl0_inv
	s_clause 0x3
	global_load_b128 v[166:169], v[8:9], off
	global_load_b128 v[170:173], v[8:9], off offset:512
	global_load_b128 v[174:177], v[52:53], off
	global_load_b128 v[178:181], v[52:53], off offset:512
	v_pk_fma_f16 v8, v64, v10, v81 op_sel:[0,1,0]
	v_pk_fma_f16 v9, v64, v11, v182 op_sel_hi:[1,0,1]
	v_pk_fma_f16 v52, v64, v11, v183 op_sel:[0,1,0]
	v_pk_fma_f16 v53, v65, v10, v184 op_sel_hi:[1,0,1]
	;; [unrolled: 2-line block ×24, first 2 shown]
	v_pk_fma_f16 v56, v68, v7, v56 op_sel:[0,1,0]
	v_pk_fma_f16 v57, v69, v7, v57 op_sel:[0,1,0]
	;; [unrolled: 1-line block ×4, first 2 shown]
	v_pk_fma_f16 v82, v68, v7, v187 op_sel_hi:[1,0,1]
	v_pk_fma_f16 v68, v69, v6, v188 op_sel_hi:[1,0,1]
	v_pk_fma_f16 v182, v69, v6, v189 op_sel:[0,1,0]
	v_pk_fma_f16 v183, v69, v7, v190 op_sel_hi:[1,0,1]
	v_pk_fma_f16 v69, v70, v6, v191 op_sel_hi:[1,0,1]
	v_pk_fma_f16 v184, v70, v6, v192 op_sel:[0,1,0]
	v_pk_fma_f16 v185, v70, v7, v193 op_sel_hi:[1,0,1]
	v_pk_fma_f16 v70, v71, v6, v194 op_sel_hi:[1,0,1]
	v_pk_fma_f16 v75, v71, v6, v75 op_sel:[0,1,0]
	v_pk_fma_f16 v59, v71, v7, v59 op_sel:[0,1,0]
	v_pk_fma_f16 v63, v72, v6, v63 op_sel_hi:[1,0,1]
	v_pk_fma_f16 v8, v72, v6, v8 op_sel:[0,1,0]
	v_pk_fma_f16 v53, v73, v6, v53 op_sel_hi:[1,0,1]
	v_pk_fma_f16 v60, v73, v6, v60 op_sel:[0,1,0]
	v_pk_fma_f16 v61, v73, v7, v61 op_sel:[0,1,0]
	v_pk_fma_f16 v65, v74, v6, v65 op_sel_hi:[1,0,1]
	v_pk_fma_f16 v4, v74, v6, v4 op_sel:[0,1,0]
	v_pk_fma_f16 v6, v74, v7, v10 op_sel_hi:[1,0,1]
	v_pk_fma_f16 v10, v85, v110, v62 op_sel:[0,1,0]
	v_pk_fma_f16 v55, v85, v111, v55 op_sel:[0,1,0]
	v_pk_fma_f16 v62, v86, v110, v67 op_sel_hi:[1,0,1]
	v_pk_fma_f16 v56, v86, v111, v56 op_sel:[0,1,0]
	v_pk_fma_f16 v57, v87, v111, v57 op_sel:[0,1,0]
	;; [unrolled: 1-line block ×7, first 2 shown]
	v_pk_fma_f16 v62, v95, v112, v62 op_sel_hi:[1,0,1]
	v_pk_fma_f16 v56, v95, v113, v56 op_sel:[0,1,0]
	v_pk_fma_f16 v57, v96, v113, v57 op_sel:[0,1,0]
	;; [unrolled: 1-line block ×7, first 2 shown]
	v_pk_fma_f16 v62, v103, v114, v62 op_sel_hi:[1,0,1]
	v_pk_fma_f16 v56, v103, v115, v56 op_sel:[0,1,0]
	v_pk_fma_f16 v57, v104, v115, v57 op_sel:[0,1,0]
	;; [unrolled: 1-line block ×3, first 2 shown]
	v_pk_fma_f16 v9, v72, v7, v9 op_sel_hi:[1,0,1]
	v_pk_fma_f16 v64, v73, v7, v64 op_sel_hi:[1,0,1]
	v_pk_fma_f16 v5, v74, v7, v5 op_sel:[0,1,0]
	v_pk_fma_f16 v76, v71, v7, v76 op_sel_hi:[1,0,1]
	v_pk_fma_f16 v52, v72, v7, v52 op_sel:[0,1,0]
	v_pk_fma_f16 v7, v85, v110, v11 op_sel_hi:[1,0,1]
	v_pk_fma_f16 v11, v85, v111, v66 op_sel_hi:[1,0,1]
	v_pk_fma_f16 v66, v86, v110, v81 op_sel:[0,1,0]
	v_pk_fma_f16 v67, v86, v111, v82 op_sel_hi:[1,0,1]
	;; [unrolled: 3-line block ×4, first 2 shown]
	v_pk_fma_f16 v59, v106, v115, v59 op_sel:[0,1,0]
	v_pk_fma_f16 v60, v108, v114, v60 op_sel:[0,1,0]
	;; [unrolled: 1-line block ×4, first 2 shown]
	v_pk_fma_f16 v62, v119, v116, v62 op_sel_hi:[1,0,1]
	v_pk_fma_f16 v56, v119, v117, v56 op_sel:[0,1,0]
	v_pk_fma_f16 v57, v120, v117, v57 op_sel:[0,1,0]
	;; [unrolled: 1-line block ×3, first 2 shown]
	v_pk_fma_f16 v70, v90, v110, v70 op_sel_hi:[1,0,1]
	v_pk_fma_f16 v63, v91, v110, v63 op_sel_hi:[1,0,1]
	v_pk_fma_f16 v8, v91, v110, v8 op_sel:[0,1,0]
	v_pk_fma_f16 v9, v91, v111, v9 op_sel_hi:[1,0,1]
	v_pk_fma_f16 v64, v92, v111, v64 op_sel_hi:[1,0,1]
	;; [unrolled: 1-line block ×3, first 2 shown]
	v_pk_fma_f16 v4, v93, v110, v4 op_sel:[0,1,0]
	v_pk_fma_f16 v6, v93, v111, v6 op_sel_hi:[1,0,1]
	v_pk_fma_f16 v5, v93, v111, v5 op_sel:[0,1,0]
	v_pk_fma_f16 v7, v94, v112, v7 op_sel_hi:[1,0,1]
	;; [unrolled: 2-line block ×4, first 2 shown]
	v_pk_fma_f16 v68, v96, v112, v68 op_sel_hi:[1,0,1]
	v_pk_fma_f16 v71, v96, v112, v71 op_sel:[0,1,0]
	v_pk_fma_f16 v72, v96, v113, v72 op_sel_hi:[1,0,1]
	v_pk_fma_f16 v69, v97, v112, v69 op_sel_hi:[1,0,1]
	v_pk_fma_f16 v73, v97, v112, v73 op_sel:[0,1,0]
	v_pk_fma_f16 v74, v97, v113, v74 op_sel_hi:[1,0,1]
	v_pk_fma_f16 v59, v122, v117, v59 op_sel:[0,1,0]
	v_pk_fma_f16 v60, v124, v116, v60 op_sel:[0,1,0]
	;; [unrolled: 1-line block ×4, first 2 shown]
	v_pk_fma_f16 v62, v127, v150, v62 op_sel_hi:[1,0,1]
	v_pk_fma_f16 v56, v127, v151, v56 op_sel:[0,1,0]
	v_pk_fma_f16 v57, v128, v151, v57 op_sel:[0,1,0]
	;; [unrolled: 1-line block ×3, first 2 shown]
	v_pk_fma_f16 v70, v98, v112, v70 op_sel_hi:[1,0,1]
	v_pk_fma_f16 v63, v99, v112, v63 op_sel_hi:[1,0,1]
	v_pk_fma_f16 v8, v99, v112, v8 op_sel:[0,1,0]
	v_pk_fma_f16 v9, v99, v113, v9 op_sel_hi:[1,0,1]
	v_pk_fma_f16 v64, v100, v113, v64 op_sel_hi:[1,0,1]
	;; [unrolled: 1-line block ×3, first 2 shown]
	v_pk_fma_f16 v4, v101, v112, v4 op_sel:[0,1,0]
	v_pk_fma_f16 v6, v101, v113, v6 op_sel_hi:[1,0,1]
	v_pk_fma_f16 v5, v101, v113, v5 op_sel:[0,1,0]
	v_pk_fma_f16 v7, v102, v114, v7 op_sel_hi:[1,0,1]
	;; [unrolled: 2-line block ×4, first 2 shown]
	v_pk_fma_f16 v68, v104, v114, v68 op_sel_hi:[1,0,1]
	v_pk_fma_f16 v71, v104, v114, v71 op_sel:[0,1,0]
	v_pk_fma_f16 v72, v104, v115, v72 op_sel_hi:[1,0,1]
	v_pk_fma_f16 v69, v105, v114, v69 op_sel_hi:[1,0,1]
	v_pk_fma_f16 v73, v105, v114, v73 op_sel:[0,1,0]
	v_pk_fma_f16 v74, v105, v115, v74 op_sel_hi:[1,0,1]
	v_pk_fma_f16 v59, v130, v151, v59 op_sel:[0,1,0]
	v_pk_fma_f16 v60, v132, v150, v60 op_sel:[0,1,0]
	;; [unrolled: 1-line block ×4, first 2 shown]
	v_pk_fma_f16 v62, v135, v152, v62 op_sel_hi:[1,0,1]
	v_pk_fma_f16 v56, v135, v153, v56 op_sel:[0,1,0]
	v_pk_fma_f16 v57, v136, v153, v57 op_sel:[0,1,0]
	;; [unrolled: 1-line block ×3, first 2 shown]
	v_pk_fma_f16 v70, v106, v114, v70 op_sel_hi:[1,0,1]
	v_pk_fma_f16 v63, v107, v114, v63 op_sel_hi:[1,0,1]
	v_pk_fma_f16 v8, v107, v114, v8 op_sel:[0,1,0]
	v_pk_fma_f16 v9, v107, v115, v9 op_sel_hi:[1,0,1]
	v_pk_fma_f16 v64, v108, v115, v64 op_sel_hi:[1,0,1]
	;; [unrolled: 1-line block ×3, first 2 shown]
	v_pk_fma_f16 v4, v109, v114, v4 op_sel:[0,1,0]
	v_pk_fma_f16 v6, v109, v115, v6 op_sel_hi:[1,0,1]
	v_pk_fma_f16 v5, v109, v115, v5 op_sel:[0,1,0]
	v_pk_fma_f16 v75, v90, v110, v75 op_sel:[0,1,0]
	v_pk_fma_f16 v76, v90, v111, v76 op_sel_hi:[1,0,1]
	v_pk_fma_f16 v52, v91, v111, v52 op_sel:[0,1,0]
	v_pk_fma_f16 v53, v92, v110, v53 op_sel_hi:[1,0,1]
	v_pk_fma_f16 v7, v118, v116, v7 op_sel_hi:[1,0,1]
	v_pk_fma_f16 v10, v118, v116, v10 op_sel:[0,1,0]
	v_pk_fma_f16 v11, v118, v117, v11 op_sel_hi:[1,0,1]
	v_pk_fma_f16 v66, v119, v116, v66 op_sel:[0,1,0]
	v_pk_fma_f16 v67, v119, v117, v67 op_sel_hi:[1,0,1]
	v_pk_fma_f16 v68, v120, v116, v68 op_sel_hi:[1,0,1]
	v_pk_fma_f16 v71, v120, v116, v71 op_sel:[0,1,0]
	v_pk_fma_f16 v72, v120, v117, v72 op_sel_hi:[1,0,1]
	v_pk_fma_f16 v69, v121, v116, v69 op_sel_hi:[1,0,1]
	v_pk_fma_f16 v73, v121, v116, v73 op_sel:[0,1,0]
	v_pk_fma_f16 v74, v121, v117, v74 op_sel_hi:[1,0,1]
	v_pk_fma_f16 v59, v138, v153, v59 op_sel:[0,1,0]
	v_pk_fma_f16 v60, v140, v152, v60 op_sel:[0,1,0]
	;; [unrolled: 1-line block ×4, first 2 shown]
	v_pk_fma_f16 v62, v143, v154, v62 op_sel_hi:[1,0,1]
	v_pk_fma_f16 v56, v143, v155, v56 op_sel:[0,1,0]
	v_pk_fma_f16 v57, v144, v155, v57 op_sel:[0,1,0]
	;; [unrolled: 1-line block ×3, first 2 shown]
	v_pk_fma_f16 v70, v122, v116, v70 op_sel_hi:[1,0,1]
	v_pk_fma_f16 v63, v123, v116, v63 op_sel_hi:[1,0,1]
	v_pk_fma_f16 v8, v123, v116, v8 op_sel:[0,1,0]
	v_pk_fma_f16 v9, v123, v117, v9 op_sel_hi:[1,0,1]
	v_pk_fma_f16 v64, v124, v117, v64 op_sel_hi:[1,0,1]
	;; [unrolled: 1-line block ×3, first 2 shown]
	v_pk_fma_f16 v4, v125, v116, v4 op_sel:[0,1,0]
	v_pk_fma_f16 v6, v125, v117, v6 op_sel_hi:[1,0,1]
	v_pk_fma_f16 v5, v125, v117, v5 op_sel:[0,1,0]
	v_pk_fma_f16 v75, v98, v112, v75 op_sel:[0,1,0]
	v_pk_fma_f16 v76, v98, v113, v76 op_sel_hi:[1,0,1]
	v_pk_fma_f16 v52, v99, v113, v52 op_sel:[0,1,0]
	v_pk_fma_f16 v53, v100, v112, v53 op_sel_hi:[1,0,1]
	v_pk_fma_f16 v7, v126, v150, v7 op_sel_hi:[1,0,1]
	v_pk_fma_f16 v10, v126, v150, v10 op_sel:[0,1,0]
	v_pk_fma_f16 v11, v126, v151, v11 op_sel_hi:[1,0,1]
	v_pk_fma_f16 v66, v127, v150, v66 op_sel:[0,1,0]
	v_pk_fma_f16 v67, v127, v151, v67 op_sel_hi:[1,0,1]
	v_pk_fma_f16 v68, v128, v150, v68 op_sel_hi:[1,0,1]
	v_pk_fma_f16 v71, v128, v150, v71 op_sel:[0,1,0]
	v_pk_fma_f16 v72, v128, v151, v72 op_sel_hi:[1,0,1]
	;; [unrolled: 3-line block ×3, first 2 shown]
	v_pk_fma_f16 v81, v146, v155, v59 op_sel:[0,1,0]
	v_pk_fma_f16 v82, v148, v154, v60 op_sel:[0,1,0]
	;; [unrolled: 1-line block ×4, first 2 shown]
	v_pk_fma_f16 v91, v159, v156, v62 op_sel_hi:[1,0,1]
	v_pk_fma_f16 v94, v159, v157, v56 op_sel:[0,1,0]
	v_pk_fma_f16 v96, v160, v157, v57 op_sel:[0,1,0]
	;; [unrolled: 1-line block ×3, first 2 shown]
	s_waitcnt vmcnt(3)
	ds_store_b128 v41, v[166:169]
	s_waitcnt vmcnt(2)
	ds_store_b128 v42, v[170:173]
	;; [unrolled: 2-line block ×4, first 2 shown]
	s_waitcnt lgkmcnt(0)
	s_barrier
	buffer_gl0_inv
	ds_load_2addr_b64 v[55:58], v84 offset1:32
	ds_load_b128 v[59:62], v39 offset:768
	v_pk_fma_f16 v70, v130, v150, v70 op_sel_hi:[1,0,1]
	v_pk_fma_f16 v63, v131, v150, v63 op_sel_hi:[1,0,1]
	v_pk_fma_f16 v8, v131, v150, v8 op_sel:[0,1,0]
	v_pk_fma_f16 v9, v131, v151, v9 op_sel_hi:[1,0,1]
	v_pk_fma_f16 v64, v132, v151, v64 op_sel_hi:[1,0,1]
	v_pk_fma_f16 v65, v133, v150, v65 op_sel_hi:[1,0,1]
	v_pk_fma_f16 v4, v133, v150, v4 op_sel:[0,1,0]
	v_pk_fma_f16 v6, v133, v151, v6 op_sel_hi:[1,0,1]
	v_pk_fma_f16 v5, v133, v151, v5 op_sel:[0,1,0]
	v_pk_fma_f16 v75, v106, v114, v75 op_sel:[0,1,0]
	v_pk_fma_f16 v76, v106, v115, v76 op_sel_hi:[1,0,1]
	v_pk_fma_f16 v52, v107, v115, v52 op_sel:[0,1,0]
	v_pk_fma_f16 v53, v108, v114, v53 op_sel_hi:[1,0,1]
	v_pk_fma_f16 v7, v134, v152, v7 op_sel_hi:[1,0,1]
	v_pk_fma_f16 v10, v134, v152, v10 op_sel:[0,1,0]
	v_pk_fma_f16 v11, v134, v153, v11 op_sel_hi:[1,0,1]
	v_pk_fma_f16 v66, v135, v152, v66 op_sel:[0,1,0]
	v_pk_fma_f16 v67, v135, v153, v67 op_sel_hi:[1,0,1]
	v_pk_fma_f16 v68, v136, v152, v68 op_sel_hi:[1,0,1]
	v_pk_fma_f16 v71, v136, v152, v71 op_sel:[0,1,0]
	v_pk_fma_f16 v72, v136, v153, v72 op_sel_hi:[1,0,1]
	v_pk_fma_f16 v69, v137, v152, v69 op_sel_hi:[1,0,1]
	v_pk_fma_f16 v73, v137, v152, v73 op_sel:[0,1,0]
	v_pk_fma_f16 v74, v137, v153, v74 op_sel_hi:[1,0,1]
	v_pk_fma_f16 v70, v138, v152, v70 op_sel_hi:[1,0,1]
	v_pk_fma_f16 v63, v139, v152, v63 op_sel_hi:[1,0,1]
	v_pk_fma_f16 v8, v139, v152, v8 op_sel:[0,1,0]
	v_pk_fma_f16 v9, v139, v153, v9 op_sel_hi:[1,0,1]
	v_pk_fma_f16 v64, v140, v153, v64 op_sel_hi:[1,0,1]
	v_pk_fma_f16 v65, v141, v152, v65 op_sel_hi:[1,0,1]
	v_pk_fma_f16 v4, v141, v152, v4 op_sel:[0,1,0]
	v_pk_fma_f16 v6, v141, v153, v6 op_sel_hi:[1,0,1]
	v_pk_fma_f16 v5, v141, v153, v5 op_sel:[0,1,0]
	v_pk_fma_f16 v75, v122, v116, v75 op_sel:[0,1,0]
	v_pk_fma_f16 v76, v122, v117, v76 op_sel_hi:[1,0,1]
	v_pk_fma_f16 v52, v123, v117, v52 op_sel:[0,1,0]
	v_pk_fma_f16 v53, v124, v116, v53 op_sel_hi:[1,0,1]
	v_pk_fma_f16 v7, v142, v154, v7 op_sel_hi:[1,0,1]
	v_pk_fma_f16 v10, v142, v154, v10 op_sel:[0,1,0]
	v_pk_fma_f16 v11, v142, v155, v11 op_sel_hi:[1,0,1]
	v_pk_fma_f16 v66, v143, v154, v66 op_sel:[0,1,0]
	v_pk_fma_f16 v67, v143, v155, v67 op_sel_hi:[1,0,1]
	v_pk_fma_f16 v68, v144, v154, v68 op_sel_hi:[1,0,1]
	v_pk_fma_f16 v71, v144, v154, v71 op_sel:[0,1,0]
	v_pk_fma_f16 v72, v144, v155, v72 op_sel_hi:[1,0,1]
	v_pk_fma_f16 v69, v145, v154, v69 op_sel_hi:[1,0,1]
	v_pk_fma_f16 v73, v145, v154, v73 op_sel:[0,1,0]
	v_pk_fma_f16 v74, v145, v155, v74 op_sel_hi:[1,0,1]
	;; [unrolled: 24-line block ×3, first 2 shown]
	v_pk_fma_f16 v100, v162, v156, v70 op_sel_hi:[1,0,1]
	v_pk_fma_f16 v101, v163, v156, v63 op_sel_hi:[1,0,1]
	v_pk_fma_f16 v102, v163, v156, v8 op_sel:[0,1,0]
	v_pk_fma_f16 v103, v163, v157, v9 op_sel_hi:[1,0,1]
	v_pk_fma_f16 v104, v164, v157, v64 op_sel_hi:[1,0,1]
	;; [unrolled: 1-line block ×3, first 2 shown]
	v_pk_fma_f16 v106, v165, v156, v4 op_sel:[0,1,0]
	v_pk_fma_f16 v107, v165, v157, v6 op_sel_hi:[1,0,1]
	v_pk_fma_f16 v108, v165, v157, v5 op_sel:[0,1,0]
	ds_load_2addr_b64 v[63:66], v84 offset0:64 offset1:96
	ds_load_b128 v[67:70], v39 offset:784
	ds_load_b128 v[8:11], v39 offset:800
	;; [unrolled: 1-line block ×3, first 2 shown]
	v_pk_fma_f16 v75, v138, v152, v75 op_sel:[0,1,0]
	v_pk_fma_f16 v76, v138, v153, v76 op_sel_hi:[1,0,1]
	v_pk_fma_f16 v52, v139, v153, v52 op_sel:[0,1,0]
	v_pk_fma_f16 v53, v140, v152, v53 op_sel_hi:[1,0,1]
	s_waitcnt lgkmcnt(4)
	v_pk_fma_f16 v86, v55, v59, v86 op_sel_hi:[1,0,1]
	v_pk_fma_f16 v87, v55, v59, v87 op_sel:[0,1,0]
	v_pk_fma_f16 v88, v55, v60, v88 op_sel_hi:[1,0,1]
	v_pk_fma_f16 v90, v55, v60, v90 op_sel:[0,1,0]
	;; [unrolled: 2-line block ×7, first 2 shown]
	ds_load_2addr_b64 v[71:74], v84 offset0:128 offset1:160
	v_pk_fma_f16 v98, v58, v60, v98 op_sel_hi:[1,0,1]
	v_pk_fma_f16 v99, v58, v60, v99 op_sel:[0,1,0]
	ds_load_2addr_b64 v[55:58], v84 offset0:192 offset1:224
	v_pk_fma_f16 v75, v146, v154, v75 op_sel:[0,1,0]
	v_pk_fma_f16 v76, v146, v155, v76 op_sel_hi:[1,0,1]
	v_pk_fma_f16 v52, v147, v155, v52 op_sel:[0,1,0]
	v_pk_fma_f16 v53, v148, v154, v53 op_sel_hi:[1,0,1]
	v_pk_fma_f16 v81, v162, v157, v81 op_sel:[0,1,0]
	v_pk_fma_f16 v75, v162, v156, v75 op_sel:[0,1,0]
	v_pk_fma_f16 v76, v162, v157, v76 op_sel_hi:[1,0,1]
	v_pk_fma_f16 v52, v163, v157, v52 op_sel:[0,1,0]
	v_pk_fma_f16 v53, v164, v156, v53 op_sel_hi:[1,0,1]
	v_pk_fma_f16 v82, v164, v156, v82 op_sel:[0,1,0]
	v_pk_fma_f16 v85, v164, v157, v85 op_sel:[0,1,0]
	s_waitcnt lgkmcnt(5)
	v_pk_fma_f16 v100, v63, v59, v100 op_sel_hi:[1,0,1]
	v_pk_fma_f16 v75, v63, v59, v75 op_sel:[0,1,0]
	v_pk_fma_f16 v76, v63, v60, v76 op_sel_hi:[1,0,1]
	v_pk_fma_f16 v81, v63, v60, v81 op_sel:[0,1,0]
	;; [unrolled: 2-line block ×8, first 2 shown]
	ds_load_2addr_b64 v[63:66], v83 offset1:32
	s_waitcnt lgkmcnt(2)
	v_pk_fma_f16 v86, v71, v61, v86 op_sel_hi:[1,0,1]
	v_pk_fma_f16 v87, v71, v61, v87 op_sel:[0,1,0]
	v_pk_fma_f16 v88, v71, v62, v88 op_sel_hi:[1,0,1]
	v_pk_fma_f16 v90, v71, v62, v90 op_sel:[0,1,0]
	;; [unrolled: 2-line block ×8, first 2 shown]
	s_waitcnt lgkmcnt(1)
	v_pk_fma_f16 v100, v55, v61, v100 op_sel_hi:[1,0,1]
	v_pk_fma_f16 v75, v55, v61, v75 op_sel:[0,1,0]
	v_pk_fma_f16 v76, v55, v62, v76 op_sel_hi:[1,0,1]
	v_pk_fma_f16 v81, v55, v62, v81 op_sel:[0,1,0]
	v_pk_fma_f16 v101, v56, v61, v101 op_sel_hi:[1,0,1]
	v_pk_fma_f16 v102, v56, v61, v102 op_sel:[0,1,0]
	v_pk_fma_f16 v103, v56, v62, v103 op_sel_hi:[1,0,1]
	v_pk_fma_f16 v52, v56, v62, v52 op_sel:[0,1,0]
	v_pk_fma_f16 v53, v57, v61, v53 op_sel_hi:[1,0,1]
	v_pk_fma_f16 v82, v57, v61, v82 op_sel:[0,1,0]
	v_pk_fma_f16 v104, v57, v62, v104 op_sel_hi:[1,0,1]
	v_pk_fma_f16 v85, v57, v62, v85 op_sel:[0,1,0]
	v_pk_fma_f16 v105, v58, v61, v105 op_sel_hi:[1,0,1]
	v_pk_fma_f16 v59, v58, v61, v59 op_sel:[0,1,0]
	ds_load_2addr_b64 v[71:74], v83 offset0:64 offset1:96
	v_pk_fma_f16 v106, v58, v62, v106 op_sel_hi:[1,0,1]
	v_pk_fma_f16 v110, v58, v62, v60 op_sel:[0,1,0]
	ds_load_2addr_b64 v[55:58], v83 offset0:128 offset1:160
	s_waitcnt lgkmcnt(2)
	v_pk_fma_f16 v86, v63, v67, v86 op_sel_hi:[1,0,1]
	v_pk_fma_f16 v87, v63, v67, v87 op_sel:[0,1,0]
	v_pk_fma_f16 v88, v63, v68, v88 op_sel_hi:[1,0,1]
	v_pk_fma_f16 v63, v63, v68, v90 op_sel:[0,1,0]
	;; [unrolled: 2-line block ×8, first 2 shown]
	s_waitcnt lgkmcnt(1)
	v_pk_fma_f16 v100, v71, v67, v100 op_sel_hi:[1,0,1]
	v_pk_fma_f16 v75, v71, v67, v75 op_sel:[0,1,0]
	v_pk_fma_f16 v76, v71, v68, v76 op_sel_hi:[1,0,1]
	v_pk_fma_f16 v71, v71, v68, v81 op_sel:[0,1,0]
	;; [unrolled: 2-line block ×7, first 2 shown]
	ds_load_2addr_b64 v[59:62], v83 offset0:192 offset1:224
	v_pk_fma_f16 v103, v74, v68, v106 op_sel_hi:[1,0,1]
	v_pk_fma_f16 v68, v74, v68, v110 op_sel:[0,1,0]
	s_waitcnt lgkmcnt(1)
	v_pk_fma_f16 v74, v55, v69, v86 op_sel_hi:[1,0,1]
	v_pk_fma_f16 v86, v55, v69, v87 op_sel:[0,1,0]
	v_pk_fma_f16 v87, v55, v70, v88 op_sel_hi:[1,0,1]
	v_pk_fma_f16 v88, v55, v70, v63 op_sel:[0,1,0]
	v_pk_fma_f16 v104, v56, v70, v64 op_sel:[0,1,0]
	v_pk_fma_f16 v105, v57, v70, v65 op_sel:[0,1,0]
	ds_load_2addr_b64 v[63:66], v50 offset1:32
	v_pk_fma_f16 v90, v56, v69, v90 op_sel_hi:[1,0,1]
	v_pk_fma_f16 v91, v56, v69, v91 op_sel:[0,1,0]
	v_pk_fma_f16 v92, v56, v70, v92 op_sel_hi:[1,0,1]
	v_pk_fma_f16 v93, v57, v69, v93 op_sel_hi:[1,0,1]
	v_pk_fma_f16 v94, v57, v69, v94 op_sel:[0,1,0]
	v_pk_fma_f16 v95, v57, v70, v95 op_sel_hi:[1,0,1]
	;; [unrolled: 3-line block ×3, first 2 shown]
	v_pk_fma_f16 v99, v58, v70, v99 op_sel:[0,1,0]
	ds_load_2addr_b64 v[55:58], v50 offset0:64 offset1:96
	s_or_b32 s4, s13, 0x70
	s_waitcnt lgkmcnt(2)
	v_pk_fma_f16 v100, v59, v69, v100 op_sel_hi:[1,0,1]
	v_pk_fma_f16 v75, v59, v69, v75 op_sel:[0,1,0]
	v_pk_fma_f16 v76, v59, v70, v76 op_sel_hi:[1,0,1]
	v_pk_fma_f16 v71, v59, v70, v71 op_sel:[0,1,0]
	;; [unrolled: 2-line block ×8, first 2 shown]
	s_waitcnt lgkmcnt(1)
	v_pk_fma_f16 v70, v63, v8, v74 op_sel_hi:[1,0,1]
	v_pk_fma_f16 v74, v63, v8, v86 op_sel:[0,1,0]
	v_pk_fma_f16 v86, v63, v9, v87 op_sel_hi:[1,0,1]
	v_pk_fma_f16 v87, v63, v9, v88 op_sel:[0,1,0]
	;; [unrolled: 2-line block ×7, first 2 shown]
	ds_load_2addr_b64 v[59:62], v50 offset0:128 offset1:160
	v_pk_fma_f16 v98, v66, v9, v98 op_sel_hi:[1,0,1]
	v_pk_fma_f16 v99, v66, v9, v99 op_sel:[0,1,0]
	ds_load_2addr_b64 v[63:66], v50 offset0:192 offset1:224
	s_mul_hi_i32 s19, s4, s10
	s_mul_i32 s18, s4, s10
	s_waitcnt lgkmcnt(2)
	v_pk_fma_f16 v100, v55, v8, v100 op_sel_hi:[1,0,1]
	s_lshl_b64 s[18:19], s[18:19], 2
	v_pk_fma_f16 v75, v55, v8, v75 op_sel:[0,1,0]
	s_add_u32 s4, s11, s18
	v_pk_fma_f16 v76, v55, v9, v76 op_sel_hi:[1,0,1]
	v_pk_fma_f16 v55, v55, v9, v71 op_sel:[0,1,0]
	v_pk_fma_f16 v71, v56, v8, v81 op_sel_hi:[1,0,1]
	v_pk_fma_f16 v81, v56, v8, v101 op_sel:[0,1,0]
	;; [unrolled: 2-line block ×4, first 2 shown]
	s_addc_u32 s17, s16, s19
	v_add_co_u32 v8, vcc_lo, s4, v27
	v_pk_fma_f16 v182, v56, v9, v102 op_sel_hi:[1,0,1]
	v_pk_fma_f16 v183, v56, v9, v52 op_sel:[0,1,0]
	v_pk_fma_f16 v82, v57, v9, v82 op_sel_hi:[1,0,1]
	v_pk_fma_f16 v186, v57, v9, v73 op_sel:[0,1,0]
	;; [unrolled: 2-line block ×3, first 2 shown]
	v_add_co_ci_u32_e32 v9, vcc_lo, s17, v28, vcc_lo
	v_add_co_u32 v52, vcc_lo, s4, v29
	v_add_co_ci_u32_e32 v53, vcc_lo, s17, v30, vcc_lo
	v_add_co_u32 v8, vcc_lo, v8, v89
	s_delay_alu instid0(VALU_DEP_4) | instskip(NEXT) | instid1(VALU_DEP_4)
	v_add_co_ci_u32_e32 v9, vcc_lo, 0, v9, vcc_lo
	v_add_co_u32 v52, vcc_lo, v52, v89
	s_delay_alu instid0(VALU_DEP_4)
	v_add_co_ci_u32_e32 v53, vcc_lo, 0, v53, vcc_lo
	s_waitcnt lgkmcnt(1)
	v_pk_fma_f16 v191, v59, v10, v70 op_sel_hi:[1,0,1]
	v_pk_fma_f16 v192, v59, v10, v74 op_sel:[0,1,0]
	v_pk_fma_f16 v193, v59, v11, v86 op_sel_hi:[1,0,1]
	v_pk_fma_f16 v194, v59, v11, v87 op_sel:[0,1,0]
	;; [unrolled: 2-line block ×8, first 2 shown]
	s_waitcnt lgkmcnt(0)
	v_pk_fma_f16 v207, v63, v10, v100 op_sel_hi:[1,0,1]
	v_pk_fma_f16 v75, v63, v10, v75 op_sel:[0,1,0]
	v_pk_fma_f16 v76, v63, v11, v76 op_sel_hi:[1,0,1]
	v_pk_fma_f16 v63, v63, v11, v55 op_sel:[0,1,0]
	v_pk_fma_f16 v208, v64, v10, v71 op_sel_hi:[1,0,1]
	ds_load_2addr_b64 v[55:58], v51 offset1:32
	ds_load_2addr_b64 v[59:62], v51 offset0:64 offset1:96
	ds_load_2addr_b64 v[67:70], v51 offset0:128 offset1:160
	;; [unrolled: 1-line block ×3, first 2 shown]
	ds_load_2addr_b64 v[85:88], v49 offset1:32
	ds_load_2addr_b64 v[90:93], v49 offset0:64 offset1:96
	ds_load_2addr_b64 v[94:97], v49 offset0:128 offset1:160
	;; [unrolled: 1-line block ×3, first 2 shown]
	ds_load_2addr_b64 v[102:105], v48 offset1:32
	ds_load_2addr_b64 v[106:109], v48 offset0:64 offset1:96
	ds_load_b128 v[110:113], v39 offset:832
	ds_load_b128 v[114:117], v39 offset:848
	ds_load_2addr_b64 v[118:121], v48 offset0:128 offset1:160
	ds_load_2addr_b64 v[122:125], v48 offset0:192 offset1:224
	ds_load_2addr_b64 v[126:129], v47 offset1:32
	ds_load_2addr_b64 v[130:133], v47 offset0:64 offset1:96
	ds_load_2addr_b64 v[134:137], v47 offset0:128 offset1:160
	;; [unrolled: 1-line block ×3, first 2 shown]
	ds_load_2addr_b64 v[142:145], v46 offset1:32
	ds_load_2addr_b64 v[146:149], v46 offset0:64 offset1:96
	ds_load_b128 v[150:153], v39 offset:864
	ds_load_b128 v[154:157], v39 offset:880
	ds_load_2addr_b64 v[158:161], v46 offset0:128 offset1:160
	ds_load_2addr_b64 v[162:165], v46 offset0:192 offset1:224
	s_waitcnt lgkmcnt(0)
	s_barrier
	buffer_gl0_inv
	s_clause 0x3
	global_load_b128 v[166:169], v[8:9], off
	global_load_b128 v[170:173], v[8:9], off offset:512
	global_load_b128 v[174:177], v[52:53], off
	global_load_b128 v[178:181], v[52:53], off offset:512
	v_pk_fma_f16 v8, v64, v10, v81 op_sel:[0,1,0]
	v_pk_fma_f16 v9, v64, v11, v182 op_sel_hi:[1,0,1]
	v_pk_fma_f16 v52, v64, v11, v183 op_sel:[0,1,0]
	v_pk_fma_f16 v53, v65, v10, v184 op_sel_hi:[1,0,1]
	;; [unrolled: 2-line block ×48, first 2 shown]
	v_pk_fma_f16 v73, v88, v110, v183 op_sel:[0,1,0]
	v_pk_fma_f16 v8, v107, v114, v8 op_sel:[0,1,0]
	v_pk_fma_f16 v9, v107, v115, v9 op_sel_hi:[1,0,1]
	v_pk_fma_f16 v4, v109, v114, v4 op_sel:[0,1,0]
	v_pk_fma_f16 v6, v109, v115, v6 op_sel_hi:[1,0,1]
	v_pk_fma_f16 v5, v109, v115, v5 op_sel:[0,1,0]
	v_pk_fma_f16 v7, v118, v116, v7 op_sel_hi:[1,0,1]
	v_pk_fma_f16 v10, v118, v116, v10 op_sel:[0,1,0]
	v_pk_fma_f16 v11, v118, v117, v11 op_sel_hi:[1,0,1]
	v_pk_fma_f16 v55, v85, v111, v55 op_sel:[0,1,0]
	v_pk_fma_f16 v62, v86, v110, v67 op_sel_hi:[1,0,1]
	v_pk_fma_f16 v66, v86, v110, v81 op_sel:[0,1,0]
	v_pk_fma_f16 v67, v86, v111, v82 op_sel_hi:[1,0,1]
	v_pk_fma_f16 v56, v86, v111, v56 op_sel:[0,1,0]
	v_pk_fma_f16 v68, v87, v110, v68 op_sel_hi:[1,0,1]
	v_pk_fma_f16 v57, v87, v111, v57 op_sel:[0,1,0]
	v_pk_fma_f16 v69, v88, v110, v69 op_sel_hi:[1,0,1]
	v_pk_fma_f16 v74, v88, v111, v184 op_sel_hi:[1,0,1]
	v_pk_fma_f16 v58, v88, v111, v58 op_sel:[0,1,0]
	v_pk_fma_f16 v70, v90, v110, v70 op_sel_hi:[1,0,1]
	v_pk_fma_f16 v59, v90, v111, v59 op_sel:[0,1,0]
	v_pk_fma_f16 v63, v91, v110, v63 op_sel_hi:[1,0,1]
	v_pk_fma_f16 v60, v92, v110, v60 op_sel:[0,1,0]
	v_pk_fma_f16 v64, v92, v111, v64 op_sel_hi:[1,0,1]
	v_pk_fma_f16 v61, v92, v111, v61 op_sel:[0,1,0]
	v_pk_fma_f16 v65, v93, v110, v65 op_sel_hi:[1,0,1]
	v_pk_fma_f16 v71, v96, v112, v71 op_sel:[0,1,0]
	v_pk_fma_f16 v72, v96, v113, v72 op_sel_hi:[1,0,1]
	v_pk_fma_f16 v73, v97, v112, v73 op_sel:[0,1,0]
	v_pk_fma_f16 v8, v123, v116, v8 op_sel:[0,1,0]
	v_pk_fma_f16 v9, v123, v117, v9 op_sel_hi:[1,0,1]
	v_pk_fma_f16 v4, v125, v116, v4 op_sel:[0,1,0]
	v_pk_fma_f16 v6, v125, v117, v6 op_sel_hi:[1,0,1]
	v_pk_fma_f16 v5, v125, v117, v5 op_sel:[0,1,0]
	v_pk_fma_f16 v7, v126, v150, v7 op_sel_hi:[1,0,1]
	v_pk_fma_f16 v10, v126, v150, v10 op_sel:[0,1,0]
	v_pk_fma_f16 v11, v126, v151, v11 op_sel_hi:[1,0,1]
	v_pk_fma_f16 v55, v94, v113, v55 op_sel:[0,1,0]
	v_pk_fma_f16 v62, v95, v112, v62 op_sel_hi:[1,0,1]
	v_pk_fma_f16 v66, v95, v112, v66 op_sel:[0,1,0]
	v_pk_fma_f16 v67, v95, v113, v67 op_sel_hi:[1,0,1]
	v_pk_fma_f16 v56, v95, v113, v56 op_sel:[0,1,0]
	v_pk_fma_f16 v68, v96, v112, v68 op_sel_hi:[1,0,1]
	v_pk_fma_f16 v57, v96, v113, v57 op_sel:[0,1,0]
	v_pk_fma_f16 v69, v97, v112, v69 op_sel_hi:[1,0,1]
	v_pk_fma_f16 v74, v97, v113, v74 op_sel_hi:[1,0,1]
	v_pk_fma_f16 v58, v97, v113, v58 op_sel:[0,1,0]
	v_pk_fma_f16 v70, v98, v112, v70 op_sel_hi:[1,0,1]
	v_pk_fma_f16 v59, v98, v113, v59 op_sel:[0,1,0]
	v_pk_fma_f16 v63, v99, v112, v63 op_sel_hi:[1,0,1]
	v_pk_fma_f16 v60, v100, v112, v60 op_sel:[0,1,0]
	v_pk_fma_f16 v64, v100, v113, v64 op_sel_hi:[1,0,1]
	v_pk_fma_f16 v61, v100, v113, v61 op_sel:[0,1,0]
	v_pk_fma_f16 v65, v101, v112, v65 op_sel_hi:[1,0,1]
	v_pk_fma_f16 v71, v104, v114, v71 op_sel:[0,1,0]
	v_pk_fma_f16 v72, v104, v115, v72 op_sel_hi:[1,0,1]
	;; [unrolled: 28-line block ×3, first 2 shown]
	v_pk_fma_f16 v73, v121, v116, v73 op_sel:[0,1,0]
	v_pk_fma_f16 v8, v139, v152, v8 op_sel:[0,1,0]
	v_pk_fma_f16 v9, v139, v153, v9 op_sel_hi:[1,0,1]
	v_pk_fma_f16 v4, v141, v152, v4 op_sel:[0,1,0]
	v_pk_fma_f16 v6, v141, v153, v6 op_sel_hi:[1,0,1]
	;; [unrolled: 2-line block ×10, first 2 shown]
	v_pk_fma_f16 v74, v121, v117, v74 op_sel_hi:[1,0,1]
	v_pk_fma_f16 v58, v121, v117, v58 op_sel:[0,1,0]
	v_pk_fma_f16 v70, v122, v116, v70 op_sel_hi:[1,0,1]
	v_pk_fma_f16 v59, v122, v117, v59 op_sel:[0,1,0]
	v_pk_fma_f16 v63, v123, v116, v63 op_sel_hi:[1,0,1]
	v_pk_fma_f16 v60, v124, v116, v60 op_sel:[0,1,0]
	v_pk_fma_f16 v64, v124, v117, v64 op_sel_hi:[1,0,1]
	v_pk_fma_f16 v61, v124, v117, v61 op_sel:[0,1,0]
	v_pk_fma_f16 v65, v125, v116, v65 op_sel_hi:[1,0,1]
	v_pk_fma_f16 v71, v128, v150, v71 op_sel:[0,1,0]
	v_pk_fma_f16 v72, v128, v151, v72 op_sel_hi:[1,0,1]
	v_pk_fma_f16 v73, v129, v150, v73 op_sel:[0,1,0]
	v_pk_fma_f16 v81, v147, v154, v8 op_sel:[0,1,0]
	v_pk_fma_f16 v82, v147, v155, v9 op_sel_hi:[1,0,1]
	v_pk_fma_f16 v85, v149, v154, v4 op_sel:[0,1,0]
	v_pk_fma_f16 v86, v149, v155, v6 op_sel_hi:[1,0,1]
	;; [unrolled: 2-line block ×4, first 2 shown]
	s_waitcnt vmcnt(3)
	ds_store_b128 v41, v[166:169]
	s_waitcnt vmcnt(2)
	ds_store_b128 v42, v[170:173]
	;; [unrolled: 2-line block ×4, first 2 shown]
	s_waitcnt lgkmcnt(0)
	s_barrier
	buffer_gl0_inv
	ds_load_2addr_b64 v[4:7], v84 offset1:32
	ds_load_b128 v[8:11], v39 offset:896
	v_pk_fma_f16 v75, v98, v112, v75 op_sel:[0,1,0]
	v_pk_fma_f16 v76, v98, v113, v76 op_sel_hi:[1,0,1]
	v_pk_fma_f16 v52, v99, v113, v52 op_sel:[0,1,0]
	v_pk_fma_f16 v53, v100, v112, v53 op_sel_hi:[1,0,1]
	v_pk_fma_f16 v55, v126, v151, v55 op_sel:[0,1,0]
	v_pk_fma_f16 v62, v127, v150, v62 op_sel_hi:[1,0,1]
	v_pk_fma_f16 v66, v127, v150, v66 op_sel:[0,1,0]
	v_pk_fma_f16 v67, v127, v151, v67 op_sel_hi:[1,0,1]
	v_pk_fma_f16 v56, v127, v151, v56 op_sel:[0,1,0]
	v_pk_fma_f16 v68, v128, v150, v68 op_sel_hi:[1,0,1]
	v_pk_fma_f16 v57, v128, v151, v57 op_sel:[0,1,0]
	v_pk_fma_f16 v69, v129, v150, v69 op_sel_hi:[1,0,1]
	v_pk_fma_f16 v74, v129, v151, v74 op_sel_hi:[1,0,1]
	v_pk_fma_f16 v58, v129, v151, v58 op_sel:[0,1,0]
	v_pk_fma_f16 v70, v130, v150, v70 op_sel_hi:[1,0,1]
	v_pk_fma_f16 v59, v130, v151, v59 op_sel:[0,1,0]
	v_pk_fma_f16 v63, v131, v150, v63 op_sel_hi:[1,0,1]
	v_pk_fma_f16 v60, v132, v150, v60 op_sel:[0,1,0]
	v_pk_fma_f16 v64, v132, v151, v64 op_sel_hi:[1,0,1]
	v_pk_fma_f16 v61, v132, v151, v61 op_sel:[0,1,0]
	v_pk_fma_f16 v65, v133, v150, v65 op_sel_hi:[1,0,1]
	v_pk_fma_f16 v71, v136, v152, v71 op_sel:[0,1,0]
	v_pk_fma_f16 v72, v136, v153, v72 op_sel_hi:[1,0,1]
	v_pk_fma_f16 v73, v137, v152, v73 op_sel:[0,1,0]
	v_pk_fma_f16 v75, v106, v114, v75 op_sel:[0,1,0]
	v_pk_fma_f16 v76, v106, v115, v76 op_sel_hi:[1,0,1]
	v_pk_fma_f16 v52, v107, v115, v52 op_sel:[0,1,0]
	v_pk_fma_f16 v53, v108, v114, v53 op_sel_hi:[1,0,1]
	v_pk_fma_f16 v55, v134, v153, v55 op_sel:[0,1,0]
	v_pk_fma_f16 v62, v135, v152, v62 op_sel_hi:[1,0,1]
	v_pk_fma_f16 v66, v135, v152, v66 op_sel:[0,1,0]
	v_pk_fma_f16 v67, v135, v153, v67 op_sel_hi:[1,0,1]
	v_pk_fma_f16 v56, v135, v153, v56 op_sel:[0,1,0]
	v_pk_fma_f16 v68, v136, v152, v68 op_sel_hi:[1,0,1]
	v_pk_fma_f16 v57, v136, v153, v57 op_sel:[0,1,0]
	v_pk_fma_f16 v69, v137, v152, v69 op_sel_hi:[1,0,1]
	v_pk_fma_f16 v74, v137, v153, v74 op_sel_hi:[1,0,1]
	v_pk_fma_f16 v58, v137, v153, v58 op_sel:[0,1,0]
	v_pk_fma_f16 v70, v138, v152, v70 op_sel_hi:[1,0,1]
	v_pk_fma_f16 v59, v138, v153, v59 op_sel:[0,1,0]
	v_pk_fma_f16 v63, v139, v152, v63 op_sel_hi:[1,0,1]
	v_pk_fma_f16 v60, v140, v152, v60 op_sel:[0,1,0]
	v_pk_fma_f16 v64, v140, v153, v64 op_sel_hi:[1,0,1]
	v_pk_fma_f16 v61, v140, v153, v61 op_sel:[0,1,0]
	v_pk_fma_f16 v65, v141, v152, v65 op_sel_hi:[1,0,1]
	v_pk_fma_f16 v71, v144, v154, v71 op_sel:[0,1,0]
	v_pk_fma_f16 v72, v144, v155, v72 op_sel_hi:[1,0,1]
	v_pk_fma_f16 v73, v145, v154, v73 op_sel:[0,1,0]
	;; [unrolled: 24-line block ×3, first 2 shown]
	v_pk_fma_f16 v75, v130, v150, v75 op_sel:[0,1,0]
	v_pk_fma_f16 v76, v130, v151, v76 op_sel_hi:[1,0,1]
	v_pk_fma_f16 v52, v131, v151, v52 op_sel:[0,1,0]
	v_pk_fma_f16 v53, v132, v150, v53 op_sel_hi:[1,0,1]
	;; [unrolled: 2-line block ×6, first 2 shown]
	v_pk_fma_f16 v99, v161, v157, v74 op_sel_hi:[1,0,1]
	v_pk_fma_f16 v100, v161, v157, v58 op_sel:[0,1,0]
	v_pk_fma_f16 v101, v162, v156, v70 op_sel_hi:[1,0,1]
	v_pk_fma_f16 v102, v162, v157, v59 op_sel:[0,1,0]
	;; [unrolled: 2-line block ×4, first 2 shown]
	v_pk_fma_f16 v107, v165, v156, v65 op_sel_hi:[1,0,1]
	ds_load_2addr_b64 v[55:58], v84 offset0:64 offset1:96
	ds_load_b128 v[59:62], v39 offset:912
	ds_load_b128 v[63:66], v39 offset:928
	;; [unrolled: 1-line block ×3, first 2 shown]
	s_waitcnt lgkmcnt(4)
	v_pk_fma_f16 v108, v6, v8, v71 op_sel:[0,1,0]
	v_pk_fma_f16 v109, v6, v9, v72 op_sel_hi:[1,0,1]
	v_pk_fma_f16 v110, v7, v8, v73 op_sel:[0,1,0]
	ds_load_2addr_b64 v[71:74], v84 offset0:128 offset1:160
	v_pk_fma_f16 v75, v138, v152, v75 op_sel:[0,1,0]
	v_pk_fma_f16 v76, v138, v153, v76 op_sel_hi:[1,0,1]
	v_pk_fma_f16 v52, v139, v153, v52 op_sel:[0,1,0]
	v_pk_fma_f16 v53, v140, v152, v53 op_sel_hi:[1,0,1]
	v_pk_fma_f16 v81, v163, v156, v81 op_sel:[0,1,0]
	v_pk_fma_f16 v75, v146, v154, v75 op_sel:[0,1,0]
	v_pk_fma_f16 v76, v146, v155, v76 op_sel_hi:[1,0,1]
	v_pk_fma_f16 v52, v147, v155, v52 op_sel:[0,1,0]
	v_pk_fma_f16 v53, v148, v154, v53 op_sel_hi:[1,0,1]
	v_pk_fma_f16 v82, v163, v157, v82 op_sel_hi:[1,0,1]
	v_pk_fma_f16 v75, v162, v156, v75 op_sel:[0,1,0]
	v_pk_fma_f16 v76, v162, v157, v76 op_sel_hi:[1,0,1]
	v_pk_fma_f16 v52, v163, v157, v52 op_sel:[0,1,0]
	;; [unrolled: 2-line block ×9, first 2 shown]
	v_pk_fma_f16 v98, v7, v8, v98 op_sel_hi:[1,0,1]
	v_pk_fma_f16 v99, v7, v9, v99 op_sel_hi:[1,0,1]
	v_pk_fma_f16 v100, v7, v9, v100 op_sel:[0,1,0]
	ds_load_2addr_b64 v[4:7], v84 offset0:192 offset1:224
	s_waitcnt lgkmcnt(5)
	v_pk_fma_f16 v101, v55, v8, v101 op_sel_hi:[1,0,1]
	v_pk_fma_f16 v75, v55, v8, v75 op_sel:[0,1,0]
	v_pk_fma_f16 v76, v55, v9, v76 op_sel_hi:[1,0,1]
	v_pk_fma_f16 v102, v55, v9, v102 op_sel:[0,1,0]
	;; [unrolled: 2-line block ×8, first 2 shown]
	s_waitcnt lgkmcnt(1)
	v_pk_fma_f16 v85, v71, v10, v88 op_sel_hi:[1,0,1]
	v_pk_fma_f16 v86, v71, v10, v89 op_sel:[0,1,0]
	v_pk_fma_f16 v87, v71, v11, v90 op_sel_hi:[1,0,1]
	v_pk_fma_f16 v88, v71, v11, v91 op_sel:[0,1,0]
	;; [unrolled: 2-line block ×7, first 2 shown]
	ds_load_2addr_b64 v[55:58], v83 offset1:32
	v_pk_fma_f16 v99, v74, v11, v99 op_sel_hi:[1,0,1]
	v_pk_fma_f16 v100, v74, v11, v100 op_sel:[0,1,0]
	ds_load_2addr_b64 v[71:74], v83 offset0:64 offset1:96
	s_waitcnt lgkmcnt(2)
	v_pk_fma_f16 v101, v4, v10, v101 op_sel_hi:[1,0,1]
	v_pk_fma_f16 v75, v4, v10, v75 op_sel:[0,1,0]
	v_pk_fma_f16 v76, v4, v11, v76 op_sel_hi:[1,0,1]
	v_pk_fma_f16 v102, v4, v11, v102 op_sel:[0,1,0]
	;; [unrolled: 2-line block ×8, first 2 shown]
	ds_load_2addr_b64 v[4:7], v83 offset0:128 offset1:160
	s_waitcnt lgkmcnt(2)
	v_pk_fma_f16 v85, v55, v59, v85 op_sel_hi:[1,0,1]
	v_pk_fma_f16 v86, v55, v59, v86 op_sel:[0,1,0]
	v_pk_fma_f16 v87, v55, v60, v87 op_sel_hi:[1,0,1]
	v_pk_fma_f16 v55, v55, v60, v88 op_sel:[0,1,0]
	v_pk_fma_f16 v88, v56, v59, v89 op_sel_hi:[1,0,1]
	v_pk_fma_f16 v89, v56, v59, v90 op_sel:[0,1,0]
	v_pk_fma_f16 v90, v56, v60, v91 op_sel_hi:[1,0,1]
	v_pk_fma_f16 v56, v56, v60, v92 op_sel:[0,1,0]
	v_pk_fma_f16 v91, v57, v59, v93 op_sel_hi:[1,0,1]
	v_pk_fma_f16 v92, v57, v59, v94 op_sel:[0,1,0]
	v_pk_fma_f16 v93, v57, v60, v95 op_sel_hi:[1,0,1]
	v_pk_fma_f16 v57, v57, v60, v96 op_sel:[0,1,0]
	v_pk_fma_f16 v94, v58, v59, v97 op_sel_hi:[1,0,1]
	v_pk_fma_f16 v95, v58, v59, v98 op_sel:[0,1,0]
	v_pk_fma_f16 v96, v58, v60, v99 op_sel_hi:[1,0,1]
	s_waitcnt lgkmcnt(1)
	v_pk_fma_f16 v98, v71, v59, v101 op_sel_hi:[1,0,1]
	v_pk_fma_f16 v75, v71, v59, v75 op_sel:[0,1,0]
	v_pk_fma_f16 v99, v72, v59, v103 op_sel_hi:[1,0,1]
	v_pk_fma_f16 v81, v72, v59, v81 op_sel:[0,1,0]
	;; [unrolled: 2-line block ×5, first 2 shown]
	ds_load_2addr_b64 v[8:11], v83 offset0:192 offset1:224
	v_pk_fma_f16 v97, v58, v60, v100 op_sel:[0,1,0]
	v_pk_fma_f16 v76, v71, v60, v76 op_sel_hi:[1,0,1]
	v_pk_fma_f16 v71, v71, v60, v102 op_sel:[0,1,0]
	v_pk_fma_f16 v100, v73, v60, v105 op_sel_hi:[1,0,1]
	;; [unrolled: 2-line block ×3, first 2 shown]
	v_pk_fma_f16 v60, v74, v60, v108 op_sel:[0,1,0]
	s_waitcnt lgkmcnt(1)
	v_pk_fma_f16 v74, v4, v61, v85 op_sel_hi:[1,0,1]
	v_pk_fma_f16 v84, v4, v61, v86 op_sel:[0,1,0]
	v_pk_fma_f16 v85, v4, v62, v87 op_sel_hi:[1,0,1]
	v_pk_fma_f16 v86, v4, v62, v55 op_sel:[0,1,0]
	;; [unrolled: 2-line block ×4, first 2 shown]
	v_pk_fma_f16 v102, v6, v62, v57 op_sel:[0,1,0]
	ds_load_2addr_b64 v[55:58], v50 offset1:32
	v_pk_fma_f16 v91, v6, v61, v91 op_sel_hi:[1,0,1]
	v_pk_fma_f16 v92, v6, v61, v92 op_sel:[0,1,0]
	v_pk_fma_f16 v93, v6, v62, v93 op_sel_hi:[1,0,1]
	v_pk_fma_f16 v94, v7, v61, v94 op_sel_hi:[1,0,1]
	v_pk_fma_f16 v95, v7, v61, v95 op_sel:[0,1,0]
	v_pk_fma_f16 v96, v7, v62, v96 op_sel_hi:[1,0,1]
	v_pk_fma_f16 v97, v7, v62, v97 op_sel:[0,1,0]
	s_waitcnt lgkmcnt(1)
	v_pk_fma_f16 v98, v8, v61, v98 op_sel_hi:[1,0,1]
	v_pk_fma_f16 v75, v8, v61, v75 op_sel:[0,1,0]
	v_pk_fma_f16 v76, v8, v62, v76 op_sel_hi:[1,0,1]
	v_pk_fma_f16 v71, v8, v62, v71 op_sel:[0,1,0]
	;; [unrolled: 2-line block ×7, first 2 shown]
	ds_load_2addr_b64 v[4:7], v50 offset0:64 offset1:96
	v_pk_fma_f16 v61, v11, v62, v83 op_sel_hi:[1,0,1]
	v_pk_fma_f16 v60, v11, v62, v60 op_sel:[0,1,0]
	ds_load_2addr_b64 v[8:11], v50 offset0:128 offset1:160
	s_waitcnt lgkmcnt(2)
	v_pk_fma_f16 v62, v55, v63, v74 op_sel_hi:[1,0,1]
	v_pk_fma_f16 v74, v55, v63, v84 op_sel:[0,1,0]
	v_pk_fma_f16 v83, v55, v64, v85 op_sel_hi:[1,0,1]
	v_pk_fma_f16 v84, v55, v64, v86 op_sel:[0,1,0]
	;; [unrolled: 2-line block ×8, first 2 shown]
	ds_load_2addr_b64 v[55:58], v50 offset0:192 offset1:224
	s_waitcnt lgkmcnt(2)
	v_pk_fma_f16 v97, v4, v63, v98 op_sel_hi:[1,0,1]
	v_pk_fma_f16 v75, v4, v63, v75 op_sel:[0,1,0]
	v_pk_fma_f16 v76, v4, v64, v76 op_sel_hi:[1,0,1]
	v_pk_fma_f16 v71, v4, v64, v71 op_sel:[0,1,0]
	;; [unrolled: 2-line block ×8, first 2 shown]
	s_waitcnt lgkmcnt(1)
	v_pk_fma_f16 v61, v8, v65, v62 op_sel_hi:[1,0,1]
	v_pk_fma_f16 v62, v8, v65, v74 op_sel:[0,1,0]
	v_pk_fma_f16 v63, v8, v66, v83 op_sel_hi:[1,0,1]
	v_pk_fma_f16 v64, v8, v66, v84 op_sel:[0,1,0]
	;; [unrolled: 2-line block ×7, first 2 shown]
	ds_load_2addr_b64 v[4:7], v51 offset1:32
	v_pk_fma_f16 v92, v11, v66, v95 op_sel_hi:[1,0,1]
	v_pk_fma_f16 v93, v11, v66, v96 op_sel:[0,1,0]
	ds_load_2addr_b64 v[8:11], v51 offset0:64 offset1:96
	s_waitcnt lgkmcnt(2)
	v_pk_fma_f16 v94, v55, v65, v97 op_sel_hi:[1,0,1]
	v_pk_fma_f16 v75, v55, v65, v75 op_sel:[0,1,0]
	v_pk_fma_f16 v76, v55, v66, v76 op_sel_hi:[1,0,1]
	v_pk_fma_f16 v71, v55, v66, v71 op_sel:[0,1,0]
	v_pk_fma_f16 v95, v56, v65, v98 op_sel_hi:[1,0,1]
	v_pk_fma_f16 v81, v56, v65, v81 op_sel:[0,1,0]
	v_pk_fma_f16 v82, v56, v66, v82 op_sel_hi:[1,0,1]
	v_pk_fma_f16 v52, v56, v66, v52 op_sel:[0,1,0]
	v_pk_fma_f16 v53, v57, v65, v53 op_sel_hi:[1,0,1]
	v_pk_fma_f16 v72, v57, v65, v72 op_sel:[0,1,0]
	v_pk_fma_f16 v96, v57, v66, v99 op_sel_hi:[1,0,1]
	v_pk_fma_f16 v73, v57, v66, v73 op_sel:[0,1,0]
	v_pk_fma_f16 v97, v58, v65, v100 op_sel_hi:[1,0,1]
	v_pk_fma_f16 v59, v58, v65, v59 op_sel:[0,1,0]
	v_pk_fma_f16 v50, v58, v66, v50 op_sel_hi:[1,0,1]
	v_pk_fma_f16 v60, v58, v66, v60 op_sel:[0,1,0]
	ds_load_2addr_b64 v[55:58], v51 offset0:128 offset1:160
	s_waitcnt lgkmcnt(2)
	v_pk_fma_f16 v61, v4, v67, v61 op_sel_hi:[1,0,1]
	v_pk_fma_f16 v62, v4, v67, v62 op_sel:[0,1,0]
	v_pk_fma_f16 v63, v4, v68, v63 op_sel_hi:[1,0,1]
	v_pk_fma_f16 v64, v4, v68, v64 op_sel:[0,1,0]
	;; [unrolled: 2-line block ×8, first 2 shown]
	s_waitcnt lgkmcnt(1)
	v_pk_fma_f16 v92, v8, v67, v94 op_sel_hi:[1,0,1]
	v_pk_fma_f16 v75, v8, v67, v75 op_sel:[0,1,0]
	v_pk_fma_f16 v76, v8, v68, v76 op_sel_hi:[1,0,1]
	v_pk_fma_f16 v71, v8, v68, v71 op_sel:[0,1,0]
	;; [unrolled: 2-line block ×7, first 2 shown]
	v_pk_fma_f16 v67, v11, v68, v50 op_sel_hi:[1,0,1]
	ds_load_2addr_b64 v[4:7], v51 offset0:192 offset1:224
	v_pk_fma_f16 v60, v11, v68, v60 op_sel:[0,1,0]
	ds_load_2addr_b64 v[8:11], v49 offset1:32
	ds_load_b128 v[50:53], v39 offset:960
	s_waitcnt lgkmcnt(3)
	v_pk_fma_f16 v61, v55, v69, v61 op_sel_hi:[1,0,1]
	v_pk_fma_f16 v62, v55, v69, v62 op_sel:[0,1,0]
	v_pk_fma_f16 v63, v55, v70, v63 op_sel_hi:[1,0,1]
	v_pk_fma_f16 v64, v55, v70, v64 op_sel:[0,1,0]
	;; [unrolled: 2-line block ×8, first 2 shown]
	ds_load_2addr_b64 v[55:58], v49 offset0:64 offset1:96
	s_waitcnt lgkmcnt(3)
	v_pk_fma_f16 v91, v4, v69, v92 op_sel_hi:[1,0,1]
	v_pk_fma_f16 v75, v4, v69, v75 op_sel:[0,1,0]
	v_pk_fma_f16 v76, v4, v70, v76 op_sel_hi:[1,0,1]
	v_pk_fma_f16 v71, v4, v70, v71 op_sel:[0,1,0]
	;; [unrolled: 2-line block ×8, first 2 shown]
	s_waitcnt lgkmcnt(1)
	v_pk_fma_f16 v97, v8, v50, v61 op_sel_hi:[1,0,1]
	v_pk_fma_f16 v98, v8, v50, v62 op_sel:[0,1,0]
	v_pk_fma_f16 v63, v8, v51, v63 op_sel_hi:[1,0,1]
	v_pk_fma_f16 v64, v8, v51, v64 op_sel:[0,1,0]
	v_pk_fma_f16 v65, v9, v50, v65 op_sel_hi:[1,0,1]
	v_pk_fma_f16 v66, v9, v50, v66 op_sel:[0,1,0]
	v_pk_fma_f16 v68, v9, v51, v68 op_sel_hi:[1,0,1]
	v_pk_fma_f16 v74, v9, v51, v74 op_sel:[0,1,0]
	v_pk_fma_f16 v83, v10, v50, v83 op_sel_hi:[1,0,1]
	v_pk_fma_f16 v84, v10, v50, v84 op_sel:[0,1,0]
	v_pk_fma_f16 v85, v10, v51, v85 op_sel_hi:[1,0,1]
	v_pk_fma_f16 v86, v10, v51, v86 op_sel:[0,1,0]
	v_pk_fma_f16 v87, v11, v50, v87 op_sel_hi:[1,0,1]
	v_pk_fma_f16 v88, v11, v50, v88 op_sel:[0,1,0]
	ds_load_2addr_b64 v[59:62], v49 offset0:128 offset1:160
	v_pk_fma_f16 v89, v11, v51, v89 op_sel_hi:[1,0,1]
	v_pk_fma_f16 v90, v11, v51, v90 op_sel:[0,1,0]
	ds_load_2addr_b64 v[8:11], v49 offset0:192 offset1:224
	s_waitcnt lgkmcnt(2)
	v_pk_fma_f16 v91, v55, v50, v91 op_sel_hi:[1,0,1]
	v_pk_fma_f16 v75, v55, v50, v75 op_sel:[0,1,0]
	v_pk_fma_f16 v92, v56, v50, v92 op_sel_hi:[1,0,1]
	v_pk_fma_f16 v81, v56, v50, v81 op_sel:[0,1,0]
	v_pk_fma_f16 v93, v56, v51, v93 op_sel:[0,1,0]
	v_pk_fma_f16 v94, v57, v50, v94 op_sel_hi:[1,0,1]
	v_pk_fma_f16 v72, v57, v50, v72 op_sel:[0,1,0]
	v_pk_fma_f16 v96, v58, v50, v96 op_sel_hi:[1,0,1]
	v_pk_fma_f16 v50, v58, v50, v69 op_sel:[0,1,0]
	ds_load_b128 v[4:7], v39 offset:976
	v_pk_fma_f16 v76, v55, v51, v76 op_sel_hi:[1,0,1]
	v_pk_fma_f16 v71, v55, v51, v71 op_sel:[0,1,0]
	v_pk_fma_f16 v82, v56, v51, v82 op_sel_hi:[1,0,1]
	v_pk_fma_f16 v95, v57, v51, v95 op_sel_hi:[1,0,1]
	v_pk_fma_f16 v73, v57, v51, v73 op_sel:[0,1,0]
	v_pk_fma_f16 v67, v58, v51, v67 op_sel_hi:[1,0,1]
	v_pk_fma_f16 v69, v58, v51, v70 op_sel:[0,1,0]
	s_waitcnt lgkmcnt(2)
	v_pk_fma_f16 v70, v59, v52, v97 op_sel_hi:[1,0,1]
	v_pk_fma_f16 v97, v59, v52, v98 op_sel:[0,1,0]
	v_pk_fma_f16 v63, v59, v53, v63 op_sel_hi:[1,0,1]
	v_pk_fma_f16 v59, v59, v53, v64 op_sel:[0,1,0]
	;; [unrolled: 2-line block ×7, first 2 shown]
	ds_load_2addr_b64 v[55:58], v48 offset1:32
	v_pk_fma_f16 v86, v62, v53, v89 op_sel_hi:[1,0,1]
	v_pk_fma_f16 v62, v62, v53, v90 op_sel:[0,1,0]
	s_waitcnt lgkmcnt(2)
	v_pk_fma_f16 v87, v8, v52, v91 op_sel_hi:[1,0,1]
	v_pk_fma_f16 v75, v8, v52, v75 op_sel:[0,1,0]
	v_pk_fma_f16 v88, v9, v52, v92 op_sel_hi:[1,0,1]
	v_pk_fma_f16 v81, v9, v52, v81 op_sel:[0,1,0]
	v_pk_fma_f16 v89, v9, v53, v93 op_sel:[0,1,0]
	v_pk_fma_f16 v90, v10, v52, v94 op_sel_hi:[1,0,1]
	v_pk_fma_f16 v72, v10, v52, v72 op_sel:[0,1,0]
	v_pk_fma_f16 v92, v11, v52, v96 op_sel_hi:[1,0,1]
	v_pk_fma_f16 v93, v11, v52, v50 op_sel:[0,1,0]
	ds_load_2addr_b64 v[49:52], v48 offset0:64 offset1:96
	v_pk_fma_f16 v76, v8, v53, v76 op_sel_hi:[1,0,1]
	v_pk_fma_f16 v71, v8, v53, v71 op_sel:[0,1,0]
	v_pk_fma_f16 v82, v9, v53, v82 op_sel_hi:[1,0,1]
	v_pk_fma_f16 v91, v10, v53, v95 op_sel_hi:[1,0,1]
	v_pk_fma_f16 v73, v10, v53, v73 op_sel:[0,1,0]
	v_pk_fma_f16 v67, v11, v53, v67 op_sel_hi:[1,0,1]
	v_pk_fma_f16 v53, v11, v53, v69 op_sel:[0,1,0]
	ds_load_2addr_b64 v[8:11], v48 offset0:128 offset1:160
	s_waitcnt lgkmcnt(2)
	v_pk_fma_f16 v69, v55, v4, v70 op_sel_hi:[1,0,1]
	v_pk_fma_f16 v70, v55, v4, v97 op_sel:[0,1,0]
	v_pk_fma_f16 v63, v55, v5, v63 op_sel_hi:[1,0,1]
	v_pk_fma_f16 v55, v55, v5, v59 op_sel:[0,1,0]
	;; [unrolled: 2-line block ×8, first 2 shown]
	s_waitcnt lgkmcnt(1)
	v_pk_fma_f16 v85, v49, v4, v87 op_sel_hi:[1,0,1]
	v_pk_fma_f16 v75, v49, v4, v75 op_sel:[0,1,0]
	v_pk_fma_f16 v76, v49, v5, v76 op_sel_hi:[1,0,1]
	v_pk_fma_f16 v71, v49, v5, v71 op_sel:[0,1,0]
	;; [unrolled: 2-line block ×6, first 2 shown]
	ds_load_2addr_b64 v[48:51], v48 offset0:192 offset1:224
	v_pk_fma_f16 v90, v52, v4, v92 op_sel_hi:[1,0,1]
	v_pk_fma_f16 v4, v52, v4, v93 op_sel:[0,1,0]
	v_pk_fma_f16 v67, v52, v5, v67 op_sel_hi:[1,0,1]
	v_pk_fma_f16 v5, v52, v5, v53 op_sel:[0,1,0]
	s_waitcnt lgkmcnt(1)
	v_pk_fma_f16 v52, v8, v6, v69 op_sel_hi:[1,0,1]
	v_pk_fma_f16 v53, v8, v6, v70 op_sel:[0,1,0]
	v_pk_fma_f16 v63, v8, v7, v63 op_sel_hi:[1,0,1]
	v_pk_fma_f16 v69, v8, v7, v55 op_sel:[0,1,0]
	;; [unrolled: 2-line block ×7, first 2 shown]
	v_pk_fma_f16 v83, v11, v7, v83 op_sel_hi:[1,0,1]
	ds_load_2addr_b64 v[55:58], v47 offset1:32
	ds_load_b128 v[59:62], v39 offset:992
	v_pk_fma_f16 v84, v11, v7, v84 op_sel:[0,1,0]
	ds_load_2addr_b64 v[8:11], v47 offset0:64 offset1:96
	s_waitcnt lgkmcnt(3)
	v_pk_fma_f16 v85, v48, v6, v85 op_sel_hi:[1,0,1]
	v_pk_fma_f16 v75, v48, v6, v75 op_sel:[0,1,0]
	v_pk_fma_f16 v76, v48, v7, v76 op_sel_hi:[1,0,1]
	v_pk_fma_f16 v71, v48, v7, v71 op_sel:[0,1,0]
	v_pk_fma_f16 v86, v49, v6, v86 op_sel_hi:[1,0,1]
	v_pk_fma_f16 v81, v49, v6, v81 op_sel:[0,1,0]
	v_pk_fma_f16 v82, v49, v7, v82 op_sel_hi:[1,0,1]
	v_pk_fma_f16 v87, v49, v7, v87 op_sel:[0,1,0]
	v_pk_fma_f16 v88, v50, v6, v88 op_sel_hi:[1,0,1]
	v_pk_fma_f16 v72, v50, v6, v72 op_sel:[0,1,0]
	v_pk_fma_f16 v89, v50, v7, v89 op_sel_hi:[1,0,1]
	v_pk_fma_f16 v73, v50, v7, v73 op_sel:[0,1,0]
	v_pk_fma_f16 v90, v51, v6, v90 op_sel_hi:[1,0,1]
	v_pk_fma_f16 v95, v51, v6, v4 op_sel:[0,1,0]
	v_pk_fma_f16 v67, v51, v7, v67 op_sel_hi:[1,0,1]
	v_pk_fma_f16 v96, v51, v7, v5 op_sel:[0,1,0]
	ds_load_2addr_b64 v[48:51], v47 offset0:128 offset1:160
	ds_load_b128 v[4:7], v39 offset:1008
	s_waitcnt lgkmcnt(3)
	v_pk_fma_f16 v52, v55, v59, v52 op_sel_hi:[1,0,1]
	v_pk_fma_f16 v53, v55, v59, v53 op_sel:[0,1,0]
	v_pk_fma_f16 v63, v55, v60, v63 op_sel_hi:[1,0,1]
	v_pk_fma_f16 v69, v55, v60, v69 op_sel:[0,1,0]
	;; [unrolled: 2-line block ×8, first 2 shown]
	s_waitcnt lgkmcnt(2)
	v_pk_fma_f16 v85, v8, v59, v85 op_sel_hi:[1,0,1]
	v_pk_fma_f16 v75, v8, v59, v75 op_sel:[0,1,0]
	v_pk_fma_f16 v76, v8, v60, v76 op_sel_hi:[1,0,1]
	v_pk_fma_f16 v71, v8, v60, v71 op_sel:[0,1,0]
	;; [unrolled: 2-line block ×7, first 2 shown]
	ds_load_2addr_b64 v[55:58], v47 offset0:192 offset1:224
	v_pk_fma_f16 v67, v11, v60, v67 op_sel_hi:[1,0,1]
	v_pk_fma_f16 v60, v11, v60, v96 op_sel:[0,1,0]
	ds_load_2addr_b64 v[8:11], v46 offset1:32
	s_waitcnt lgkmcnt(3)
	v_pk_fma_f16 v52, v48, v61, v52 op_sel_hi:[1,0,1]
	v_pk_fma_f16 v53, v48, v61, v53 op_sel:[0,1,0]
	v_pk_fma_f16 v63, v48, v62, v63 op_sel_hi:[1,0,1]
	v_pk_fma_f16 v69, v48, v62, v69 op_sel:[0,1,0]
	v_pk_fma_f16 v70, v49, v61, v70 op_sel_hi:[1,0,1]
	v_pk_fma_f16 v64, v49, v61, v64 op_sel:[0,1,0]
	v_pk_fma_f16 v65, v49, v62, v65 op_sel_hi:[1,0,1]
	v_pk_fma_f16 v91, v49, v62, v91 op_sel:[0,1,0]
	v_pk_fma_f16 v92, v50, v61, v92 op_sel_hi:[1,0,1]
	v_pk_fma_f16 v66, v50, v61, v66 op_sel:[0,1,0]
	v_pk_fma_f16 v68, v50, v62, v68 op_sel_hi:[1,0,1]
	v_pk_fma_f16 v93, v50, v62, v93 op_sel:[0,1,0]
	v_pk_fma_f16 v94, v51, v61, v94 op_sel_hi:[1,0,1]
	v_pk_fma_f16 v74, v51, v61, v74 op_sel:[0,1,0]
	v_pk_fma_f16 v83, v51, v62, v83 op_sel_hi:[1,0,1]
	v_pk_fma_f16 v51, v51, v62, v84 op_sel:[0,1,0]
	ds_load_2addr_b64 v[47:50], v46 offset0:64 offset1:96
	s_waitcnt lgkmcnt(2)
	v_pk_fma_f16 v84, v55, v61, v85 op_sel_hi:[1,0,1]
	v_pk_fma_f16 v85, v55, v61, v75 op_sel:[0,1,0]
	v_pk_fma_f16 v76, v55, v62, v76 op_sel_hi:[1,0,1]
	v_pk_fma_f16 v55, v55, v62, v71 op_sel:[0,1,0]
	;; [unrolled: 2-line block ×8, first 2 shown]
	s_waitcnt lgkmcnt(1)
	v_pk_fma_f16 v52, v8, v4, v52 op_sel_hi:[1,0,1]
	v_pk_fma_f16 v53, v8, v4, v53 op_sel:[0,1,0]
	v_pk_fma_f16 v60, v8, v5, v63 op_sel_hi:[1,0,1]
	v_pk_fma_f16 v62, v8, v5, v69 op_sel:[0,1,0]
	;; [unrolled: 2-line block ×7, first 2 shown]
	ds_load_2addr_b64 v[72:75], v46 offset0:128 offset1:160
	v_pk_fma_f16 v83, v11, v5, v83 op_sel_hi:[1,0,1]
	v_pk_fma_f16 v51, v11, v5, v51 op_sel:[0,1,0]
	ds_load_2addr_b64 v[8:11], v46 offset0:192 offset1:224
	s_waitcnt lgkmcnt(0)
	s_barrier
	buffer_gl0_inv
	s_load_b32 s4, s[2:3], 0x4
	v_pk_fma_f16 v84, v47, v4, v84 op_sel_hi:[1,0,1]
	v_pk_fma_f16 v85, v47, v4, v85 op_sel:[0,1,0]
	v_pk_fma_f16 v94, v47, v5, v76 op_sel_hi:[1,0,1]
	v_pk_fma_f16 v47, v47, v5, v55 op_sel:[0,1,0]
	;; [unrolled: 2-line block ×9, first 2 shown]
	v_pk_fma_f16 v55, v72, v7, v60 op_sel_hi:[1,0,1]
	s_waitcnt lgkmcnt(0)
	s_lshl_b32 s4, s4, 7
	v_pk_fma_f16 v52, v72, v7, v62 op_sel:[0,1,0]
	v_pk_fma_f16 v81, v73, v6, v67 op_sel_hi:[1,0,1]
	v_pk_fma_f16 v70, v73, v6, v64 op_sel:[0,1,0]
	v_pk_fma_f16 v62, v73, v7, v65 op_sel_hi:[1,0,1]
	;; [unrolled: 2-line block ×14, first 2 shown]
	v_pk_fma_f16 v46, v11, v7, v5 op_sel:[0,1,0]
	s_add_i32 s13, s4, s13
	s_delay_alu instid0(SALU_CYCLE_1)
	s_cmp_ge_i32 s13, s34
	s_cbranch_scc1 .LBB9_23
; %bb.22:                               ;   in Loop: Header=BB9_17 Depth=1
	v_dual_mov_b32 v90, v0 :: v_dual_mov_b32 v93, v1
	v_dual_mov_b32 v92, v2 :: v_dual_mov_b32 v91, v3
	;; [unrolled: 1-line block ×4, first 2 shown]
	s_branch .LBB9_17
.LBB9_23:
	v_dual_mov_b32 v6, 32 :: v_dual_mov_b32 v7, v32
.LBB9_24:
	s_delay_alu instid0(VALU_DEP_1)
	v_cmp_lt_i32_e32 vcc_lo, v12, v6
	s_cmp_lg_u64 s[24:25], 0
	s_cselect_b32 s2, -1, 0
	s_cmp_eq_u32 s14, 0
	v_cndmask_b32_e32 v4, v7, v12, vcc_lo
	v_cmp_lt_i32_e32 vcc_lo, v13, v6
	s_cselect_b32 s3, -1, 0
	s_delay_alu instid0(SALU_CYCLE_1) | instskip(NEXT) | instid1(VALU_DEP_2)
	s_and_b32 s2, s3, s2
	v_lshlrev_b32_e32 v4, 2, v4
	ds_bpermute_b32 v9, v4, v78
	s_waitcnt lgkmcnt(0)
	v_add_f32_e32 v9, v78, v9
	ds_bpermute_b32 v5, v4, v80
	ds_bpermute_b32 v8, v4, v79
	;; [unrolled: 1-line block ×3, first 2 shown]
	s_waitcnt lgkmcnt(2)
	v_add_f32_e32 v5, v80, v5
	v_cndmask_b32_e32 v10, v7, v13, vcc_lo
	s_waitcnt lgkmcnt(0)
	v_add_f32_e32 v4, v77, v4
	v_cmp_lt_i32_e32 vcc_lo, v14, v6
	s_delay_alu instid0(VALU_DEP_3)
	v_lshlrev_b32_e32 v10, 2, v10
	ds_bpermute_b32 v13, v10, v9
	s_waitcnt lgkmcnt(0)
	v_add_f32_e32 v9, v9, v13
	ds_bpermute_b32 v11, v10, v5
	v_cndmask_b32_e32 v14, v7, v14, vcc_lo
	v_cmp_lt_i32_e32 vcc_lo, v15, v6
	s_waitcnt lgkmcnt(0)
	s_delay_alu instid0(VALU_DEP_2)
	v_dual_add_f32 v5, v5, v11 :: v_dual_lshlrev_b32 v14, 2, v14
	v_add_f32_e32 v8, v79, v8
	ds_bpermute_b32 v12, v10, v8
	ds_bpermute_b32 v10, v10, v4
	s_waitcnt lgkmcnt(0)
	v_add_f32_e32 v4, v4, v10
	ds_bpermute_b32 v10, v14, v5
	ds_bpermute_b32 v13, v14, v4
	s_waitcnt lgkmcnt(1)
	v_dual_add_f32 v5, v5, v10 :: v_dual_add_f32 v8, v8, v12
	ds_bpermute_b32 v12, v14, v9
	s_waitcnt lgkmcnt(1)
	v_add_f32_e32 v4, v4, v13
	ds_bpermute_b32 v11, v14, v8
	v_cndmask_b32_e32 v14, v7, v15, vcc_lo
	v_cmp_lt_i32_e32 vcc_lo, v54, v6
	s_delay_alu instid0(VALU_DEP_2)
	v_lshlrev_b32_e32 v14, 2, v14
	v_cndmask_b32_e32 v6, v7, v54, vcc_lo
	s_and_b32 vcc_lo, exec_lo, s2
	ds_bpermute_b32 v10, v14, v5
	ds_bpermute_b32 v13, v14, v4
	s_waitcnt lgkmcnt(3)
	v_dual_add_f32 v9, v9, v12 :: v_dual_lshlrev_b32 v6, 2, v6
	ds_bpermute_b32 v12, v14, v9
	s_waitcnt lgkmcnt(2)
	v_dual_add_f32 v5, v5, v10 :: v_dual_add_f32 v8, v8, v11
	ds_bpermute_b32 v11, v14, v8
	s_waitcnt lgkmcnt(0)
	v_dual_add_f32 v7, v8, v11 :: v_dual_add_f32 v8, v9, v12
	v_add_f32_e32 v9, v4, v13
	ds_bpermute_b32 v4, v6, v5
	ds_bpermute_b32 v10, v6, v7
	;; [unrolled: 1-line block ×4, first 2 shown]
	s_waitcnt lgkmcnt(2)
	v_dual_add_f32 v4, v5, v4 :: v_dual_add_f32 v5, v7, v10
	s_waitcnt lgkmcnt(0)
	v_dual_add_f32 v6, v8, v11 :: v_dual_add_f32 v7, v9, v12
	s_cbranch_vccz .LBB9_27
; %bb.25:
	s_ashr_i32 s13, s12, 31
	v_dual_mov_b32 v8, 0 :: v_dual_max_f32 v13, v1, v1
	s_lshl_b64 s[2:3], s[12:13], 2
	s_delay_alu instid0(SALU_CYCLE_1)
	s_add_u32 s2, s24, s2
	s_addc_u32 s3, s25, s3
	global_load_b128 v[8:11], v8, s[2:3]
	v_max_f32_e32 v12, v0, v0
	s_waitcnt vmcnt(0)
	v_dual_max_f32 v14, v2, v2 :: v_dual_max_f32 v15, v8, v8
	v_dual_max_f32 v19, v9, v9 :: v_dual_max_f32 v20, v10, v10
	v_max_f32_e32 v21, v11, v11
	s_delay_alu instid0(VALU_DEP_2) | instskip(NEXT) | instid1(VALU_DEP_1)
	v_dual_max_f32 v13, v13, v19 :: v_dual_max_f32 v14, v14, v20
	v_dual_max_f32 v18, v3, v3 :: v_dual_sub_f32 v19, v1, v13
	s_delay_alu instid0(VALU_DEP_1) | instskip(NEXT) | instid1(VALU_DEP_3)
	v_dual_max_f32 v12, v12, v15 :: v_dual_max_f32 v15, v18, v21
	v_dual_sub_f32 v20, v2, v14 :: v_dual_sub_f32 v9, v9, v13
	v_sub_f32_e32 v10, v10, v14
	s_delay_alu instid0(VALU_DEP_3) | instskip(NEXT) | instid1(VALU_DEP_4)
	v_sub_f32_e32 v18, v0, v12
	v_dual_sub_f32 v8, v8, v12 :: v_dual_sub_f32 v21, v3, v15
	v_dual_mov_b32 v0, v12 :: v_dual_mov_b32 v3, v15
	v_dual_mov_b32 v1, v13 :: v_dual_mov_b32 v2, v14
	s_delay_alu instid0(VALU_DEP_3) | instskip(SKIP_3) | instid1(VALU_DEP_4)
	v_dual_mul_f32 v13, 0x3fb8aa3b, v8 :: v_dual_mul_f32 v12, 0x3fb8aa3b, v18
	v_sub_f32_e32 v11, v11, v15
	v_dual_mul_f32 v15, 0x3fb8aa3b, v9 :: v_dual_mul_f32 v14, 0x3fb8aa3b, v19
	v_mul_f32_e32 v23, 0x3fb8aa3b, v10
	v_fma_f32 v26, 0x3fb8aa3b, v18, -v12
	v_rndne_f32_e32 v27, v12
	v_fma_f32 v28, 0x3fb8aa3b, v8, -v13
	v_rndne_f32_e32 v29, v13
	v_fma_f32 v33, 0x3fb8aa3b, v9, -v15
	v_fma_f32 v37, 0x3fb8aa3b, v10, -v23
	v_fmac_f32_e32 v26, 0x32a5705f, v18
	v_sub_f32_e32 v12, v12, v27
	v_dual_mul_f32 v22, 0x3fb8aa3b, v20 :: v_dual_mul_f32 v25, 0x3fb8aa3b, v11
	v_fma_f32 v30, 0x3fb8aa3b, v19, -v14
	v_rndne_f32_e32 v32, v14
	v_dual_fmac_f32 v28, 0x32a5705f, v8 :: v_dual_fmac_f32 v37, 0x32a5705f, v10
	v_sub_f32_e32 v13, v13, v29
	v_dual_fmac_f32 v33, 0x32a5705f, v9 :: v_dual_add_f32 v12, v12, v26
	v_rndne_f32_e32 v34, v15
	v_mul_f32_e32 v24, 0x3fb8aa3b, v21
	v_fma_f32 v35, 0x3fb8aa3b, v20, -v22
	v_rndne_f32_e32 v38, v23
	v_fmac_f32_e32 v30, 0x32a5705f, v19
	v_sub_f32_e32 v14, v14, v32
	v_add_f32_e32 v13, v13, v28
	v_exp_f32_e32 v12, v12
	v_sub_f32_e32 v23, v23, v38
	v_rndne_f32_e32 v36, v22
	v_fma_f32 v41, 0x3fb8aa3b, v11, -v25
	v_rndne_f32_e32 v42, v25
	v_cvt_i32_f32_e32 v27, v27
	v_sub_f32_e32 v15, v15, v34
	v_fma_f32 v39, 0x3fb8aa3b, v21, -v24
	v_rndne_f32_e32 v40, v24
	v_dual_fmac_f32 v35, 0x32a5705f, v20 :: v_dual_add_f32 v14, v14, v30
	s_delay_alu instid0(VALU_DEP_4) | instskip(SKIP_4) | instid1(VALU_DEP_2)
	v_add_f32_e32 v15, v15, v33
	v_exp_f32_e32 v13, v13
	v_cvt_i32_f32_e32 v29, v29
	v_dual_sub_f32 v22, v22, v36 :: v_dual_fmac_f32 v39, 0x32a5705f, v21
	v_dual_sub_f32 v24, v24, v40 :: v_dual_fmac_f32 v41, 0x32a5705f, v11
	v_dual_sub_f32 v25, v25, v42 :: v_dual_add_f32 v22, v22, v35
	v_exp_f32_e32 v14, v14
	v_ldexp_f32 v12, v12, v27
	v_cmp_ngt_f32_e32 vcc_lo, 0xc2ce8ed0, v18
	v_cvt_i32_f32_e32 v32, v32
	v_add_f32_e32 v25, v25, v41
	v_exp_f32_e32 v15, v15
	v_ldexp_f32 v13, v13, v29
	v_cndmask_b32_e32 v12, 0, v12, vcc_lo
	v_cmp_ngt_f32_e32 vcc_lo, 0xc2ce8ed0, v8
	v_cvt_i32_f32_e32 v34, v34
	v_dual_add_f32 v23, v23, v37 :: v_dual_add_f32 v24, v24, v39
	v_exp_f32_e32 v22, v22
	v_ldexp_f32 v14, v14, v32
	v_cndmask_b32_e32 v13, 0, v13, vcc_lo
	v_cmp_ngt_f32_e32 vcc_lo, 0xc2ce8ed0, v19
	v_cvt_i32_f32_e32 v36, v36
	v_exp_f32_e32 v23, v23
	v_ldexp_f32 v15, v15, v34
	v_cvt_i32_f32_e32 v38, v38
	v_cndmask_b32_e32 v14, 0, v14, vcc_lo
	v_cmp_ngt_f32_e32 vcc_lo, 0xc2ce8ed0, v9
	v_exp_f32_e32 v24, v24
	v_ldexp_f32 v22, v22, v36
	v_exp_f32_e32 v25, v25
	v_cvt_i32_f32_e32 v26, v40
	v_cndmask_b32_e32 v15, 0, v15, vcc_lo
	v_cmp_ngt_f32_e32 vcc_lo, 0xc2ce8ed0, v20
	v_ldexp_f32 v23, v23, v38
	v_cvt_i32_f32_e32 v28, v42
	v_cndmask_b32_e32 v22, 0, v22, vcc_lo
	v_cmp_ngt_f32_e32 vcc_lo, 0xc2ce8ed0, v10
	v_ldexp_f32 v24, v24, v26
	s_delay_alu instid0(TRANS32_DEP_1) | instid1(VALU_DEP_4)
	v_ldexp_f32 v25, v25, v28
	v_cndmask_b32_e32 v23, 0, v23, vcc_lo
	v_cmp_ngt_f32_e32 vcc_lo, 0xc2ce8ed0, v21
	s_delay_alu instid0(VALU_DEP_4)
	v_cndmask_b32_e32 v24, 0, v24, vcc_lo
	v_cmp_ngt_f32_e32 vcc_lo, 0xc2ce8ed0, v11
	v_cndmask_b32_e32 v25, 0, v25, vcc_lo
	v_cmp_nlt_f32_e32 vcc_lo, 0x42b17218, v18
	v_cndmask_b32_e32 v12, 0x7f800000, v12, vcc_lo
	v_cmp_nlt_f32_e32 vcc_lo, 0x42b17218, v8
	;; [unrolled: 2-line block ×7, first 2 shown]
	s_delay_alu instid0(VALU_DEP_2) | instskip(SKIP_4) | instid1(VALU_DEP_3)
	v_dual_fmac_f32 v10, v6, v14 :: v_dual_fmac_f32 v9, v5, v13
	v_fmac_f32_e32 v8, v4, v12
	v_cvt_f16_f32_e32 v4, v12
	v_cndmask_b32_e32 v15, 0x7f800000, v24, vcc_lo
	v_cmp_nlt_f32_e32 vcc_lo, 0x42b17218, v11
	v_pk_mul_f16 v71, v4, v71 op_sel_hi:[0,1]
	v_pk_mul_f16 v81, v4, v81 op_sel_hi:[0,1]
	;; [unrolled: 1-line block ×8, first 2 shown]
	v_mov_b32_e32 v4, v8
	v_cvt_f16_f32_e32 v5, v13
	v_cndmask_b32_e32 v11, 0x7f800000, v25, vcc_lo
	s_delay_alu instid0(VALU_DEP_2)
	v_pk_mul_f16 v63, v5, v63 op_sel_hi:[0,1]
	v_pk_mul_f16 v70, v5, v70 op_sel_hi:[0,1]
	;; [unrolled: 1-line block ×8, first 2 shown]
	v_mov_b32_e32 v5, v9
	v_cvt_f16_f32_e32 v6, v14
	s_delay_alu instid0(VALU_DEP_1)
	v_pk_mul_f16 v55, v6, v55 op_sel_hi:[0,1]
	v_pk_mul_f16 v62, v6, v62 op_sel_hi:[0,1]
	;; [unrolled: 1-line block ×8, first 2 shown]
	v_dual_mov_b32 v6, v10 :: v_dual_fmac_f32 v11, v7, v15
	v_cvt_f16_f32_e32 v7, v15
	s_delay_alu instid0(VALU_DEP_1)
	v_pk_mul_f16 v52, v7, v52 op_sel_hi:[0,1]
	v_pk_mul_f16 v53, v7, v53 op_sel_hi:[0,1]
	;; [unrolled: 1-line block ×8, first 2 shown]
	v_mov_b32_e32 v7, v11
	s_mov_b32 s2, exec_lo
	v_cmpx_gt_i32_e64 s6, v16
	s_cbranch_execnz .LBB9_28
.LBB9_26:
	s_nop 0
	s_sendmsg sendmsg(MSG_DEALLOC_VGPRS)
	s_endpgm
.LBB9_27:
	s_delay_alu instid0(VALU_DEP_1)
	v_dual_mov_b32 v11, v7 :: v_dual_mov_b32 v10, v6
	v_dual_mov_b32 v9, v5 :: v_dual_mov_b32 v8, v4
	s_mov_b32 s2, exec_lo
	v_cmpx_gt_i32_e64 s6, v16
	s_cbranch_execz .LBB9_26
.LBB9_28:
	s_load_b32 s1, s[0:1], 0xd4
	v_mov_b32_e32 v14, 1.0
	s_waitcnt lgkmcnt(0)
	s_cmp_lg_u32 s1, 1
	s_cselect_b32 s3, -1, 0
	s_cmp_eq_u32 s1, 1
	s_cselect_b32 s2, -1, 0
	s_and_b32 vcc_lo, exec_lo, s3
	s_cbranch_vccnz .LBB9_30
; %bb.29:
	v_div_scale_f32 v12, null, v4, v4, 1.0
	s_delay_alu instid0(VALU_DEP_1) | instskip(SKIP_2) | instid1(VALU_DEP_1)
	v_rcp_f32_e32 v13, v12
	s_waitcnt_depctr 0xfff
	v_fma_f32 v14, -v12, v13, 1.0
	v_fmac_f32_e32 v13, v14, v13
	v_div_scale_f32 v14, vcc_lo, 1.0, v4, 1.0
	s_delay_alu instid0(VALU_DEP_1) | instskip(NEXT) | instid1(VALU_DEP_1)
	v_mul_f32_e32 v15, v14, v13
	v_fma_f32 v18, -v12, v15, v14
	s_delay_alu instid0(VALU_DEP_1) | instskip(NEXT) | instid1(VALU_DEP_1)
	v_fmac_f32_e32 v15, v18, v13
	v_fma_f32 v12, -v12, v15, v14
	s_delay_alu instid0(VALU_DEP_1) | instskip(NEXT) | instid1(VALU_DEP_1)
	v_div_fmas_f32 v12, v12, v13, v15
	v_div_fixup_f32 v14, v12, v4, 1.0
.LBB9_30:
	v_mad_u64_u32 v[12:13], null, s33, s6, v[16:17]
	v_lshrrev_b32_e32 v4, 16, v81
	v_cmp_eq_u32_e32 vcc_lo, 0, v17
	v_cvt_f32_f16_e32 v17, v81
	v_lshrrev_b32_e32 v18, 16, v71
	v_mov_b32_e32 v28, 0
	v_lshrrev_b32_e32 v19, 16, v82
	v_mad_u64_u32 v[15:16], null, v12, s7, s[12:13]
	v_mul_f32_e32 v17, v14, v17
	v_cvt_f32_f16_e32 v16, v71
	v_cvt_f32_f16_e32 v23, v76
	;; [unrolled: 1-line block ×5, first 2 shown]
	v_mad_u64_u32 v[12:13], null, s1, v15, s[14:15]
	v_dual_mul_f32 v15, v14, v16 :: v_dual_mov_b32 v24, v28
	v_mul_f32_e32 v19, v14, v23
	v_lshrrev_b32_e32 v13, 16, v75
	v_cvt_f32_f16_e32 v20, v82
	v_lshrrev_b32_e32 v22, 16, v76
	v_lshl_add_u32 v27, v12, 9, v31
	v_mul_f32_e32 v18, v14, v4
	v_lshrrev_b32_e32 v4, 16, v74
	v_cvt_f32_f16_e32 v13, v13
	v_mul_f32_e32 v21, v14, v20
	v_add_nc_u32_e32 v23, 0x80, v27
	v_lshlrev_b64 v[25:26], 2, v[27:28]
	v_mul_f32_e32 v16, v14, v29
	v_cvt_f32_f16_e32 v4, v4
	v_cvt_f32_f16_e32 v20, v22
	v_lshlrev_b64 v[23:24], 2, v[23:24]
	v_mul_f32_e32 v22, v14, v30
	v_add_co_u32 v32, s0, s28, v25
	s_delay_alu instid0(VALU_DEP_1) | instskip(NEXT) | instid1(VALU_DEP_4)
	v_add_co_ci_u32_e64 v33, s0, s29, v26, s0
	v_add_co_u32 v34, s0, s28, v23
	s_delay_alu instid0(VALU_DEP_1)
	v_add_co_ci_u32_e64 v35, s0, s29, v24, s0
	v_add_nc_u32_e32 v23, 0x100, v27
	v_dual_mov_b32 v24, v28 :: v_dual_add_nc_u32 v27, 0x180, v27
	v_mul_f32_e32 v26, v14, v13
	v_lshrrev_b32_e32 v13, 16, v72
	v_cvt_f32_f16_e32 v36, v74
	s_delay_alu instid0(VALU_DEP_4)
	v_lshlrev_b64 v[38:39], 2, v[27:28]
	v_lshlrev_b64 v[29:30], 2, v[23:24]
	v_mul_f32_e32 v24, v14, v4
	v_lshrrev_b32_e32 v4, 16, v73
	v_cvt_f32_f16_e32 v13, v13
	v_cvt_f32_f16_e32 v25, v75
	v_mul_f32_e32 v23, v14, v36
	v_add_co_u32 v36, s0, s28, v29
	v_cvt_f32_f16_e32 v4, v4
	v_cvt_f32_f16_e32 v29, v73
	;; [unrolled: 1-line block ×3, first 2 shown]
	v_add_co_ci_u32_e64 v37, s0, s29, v30, s0
	v_mul_f32_e32 v28, v14, v13
	v_add_co_u32 v13, s0, s28, v38
	v_mul_f32_e32 v20, v14, v20
	v_mul_f32_e32 v25, v14, v25
	;; [unrolled: 1-line block ×5, first 2 shown]
	v_add_co_ci_u32_e64 v14, s0, s29, v39, s0
	s_and_b32 s0, vcc_lo, s3
	s_clause 0x3
	global_store_b128 v[32:33], v[15:18], off
	global_store_b128 v[34:35], v[19:22], off
	;; [unrolled: 1-line block ×4, first 2 shown]
	s_and_saveexec_b32 s3, s0
	s_cbranch_execz .LBB9_32
; %bb.31:
	v_ashrrev_i32_e32 v13, 31, v12
	v_mov_b32_e32 v15, v0
	v_mov_b32_e32 v16, v8
	s_delay_alu instid0(VALU_DEP_3) | instskip(NEXT) | instid1(VALU_DEP_1)
	v_lshlrev_b64 v[13:14], 3, v[12:13]
	v_add_co_u32 v13, vcc_lo, s30, v13
	s_delay_alu instid0(VALU_DEP_2)
	v_add_co_ci_u32_e32 v14, vcc_lo, s31, v14, vcc_lo
	global_store_b64 v[13:14], v[15:16], off
.LBB9_32:
	s_or_b32 exec_lo, exec_lo, s3
	v_cndmask_b32_e64 v13, 0, 1, s2
	v_mov_b32_e32 v0, 1.0
	s_and_not1_b32 vcc_lo, exec_lo, s2
	s_cbranch_vccnz .LBB9_34
; %bb.33:
	v_div_scale_f32 v0, null, v5, v5, 1.0
	s_delay_alu instid0(VALU_DEP_1) | instskip(SKIP_2) | instid1(VALU_DEP_1)
	v_rcp_f32_e32 v4, v0
	s_waitcnt_depctr 0xfff
	v_fma_f32 v8, -v0, v4, 1.0
	v_fmac_f32_e32 v4, v8, v4
	v_div_scale_f32 v8, vcc_lo, 1.0, v5, 1.0
	s_delay_alu instid0(VALU_DEP_1) | instskip(NEXT) | instid1(VALU_DEP_1)
	v_mul_f32_e32 v14, v8, v4
	v_fma_f32 v15, -v0, v14, v8
	s_delay_alu instid0(VALU_DEP_1) | instskip(NEXT) | instid1(VALU_DEP_1)
	v_fmac_f32_e32 v14, v15, v4
	v_fma_f32 v0, -v0, v14, v8
	s_delay_alu instid0(VALU_DEP_1) | instskip(NEXT) | instid1(VALU_DEP_1)
	v_div_fmas_f32 v0, v0, v4, v14
	v_div_fixup_f32 v0, v0, v5, 1.0
.LBB9_34:
	v_dual_mov_b32 v27, 0 :: v_dual_add_nc_u32 v4, s1, v12
	v_lshrrev_b32_e32 v5, 16, v70
	v_cvt_f32_f16_e32 v8, v70
	v_lshrrev_b32_e32 v20, 16, v69
	s_delay_alu instid0(VALU_DEP_4)
	v_lshl_add_u32 v26, v4, 9, v31
	v_lshrrev_b32_e32 v12, 16, v63
	v_cvt_f32_f16_e32 v5, v5
	v_mul_f32_e32 v16, v0, v8
	v_cvt_f32_f16_e32 v8, v20
	v_lshlrev_b64 v[18:19], 2, v[26:27]
	v_cvt_f32_f16_e32 v14, v63
	v_mul_f32_e32 v17, v0, v5
	v_lshrrev_b32_e32 v5, 16, v67
	v_cvt_f32_f16_e32 v12, v12
	v_mul_f32_e32 v21, v0, v8
	v_add_co_u32 v32, vcc_lo, s28, v18
	v_add_co_ci_u32_e32 v33, vcc_lo, s29, v19, vcc_lo
	v_dual_mov_b32 v19, v27 :: v_dual_add_nc_u32 v18, 0x80, v26
	v_cvt_f32_f16_e32 v5, v5
	v_lshrrev_b32_e32 v8, 16, v66
	v_mul_f32_e32 v14, v0, v14
	v_mul_f32_e32 v15, v0, v12
	v_lshlrev_b64 v[22:23], 2, v[18:19]
	v_mul_f32_e32 v19, v0, v5
	v_lshrrev_b32_e32 v5, 16, v68
	v_cvt_f32_f16_e32 v12, v69
	v_cvt_f32_f16_e32 v8, v8
	;; [unrolled: 1-line block ×3, first 2 shown]
	v_add_co_u32 v34, vcc_lo, s28, v22
	v_add_nc_u32_e32 v22, 0x100, v26
	v_add_co_ci_u32_e32 v35, vcc_lo, s29, v23, vcc_lo
	v_mov_b32_e32 v23, v27
	v_cvt_f32_f16_e32 v5, v5
	v_add_nc_u32_e32 v26, 0x180, v26
	v_mul_f32_e32 v20, v0, v12
	v_cvt_f32_f16_e32 v12, v68
	v_lshlrev_b64 v[28:29], 2, v[22:23]
	v_cvt_f32_f16_e32 v30, v66
	v_mul_f32_e32 v25, v0, v5
	v_mul_f32_e32 v23, v0, v8
	v_lshrrev_b32_e32 v5, 16, v65
	v_lshrrev_b32_e32 v8, 16, v64
	v_lshlrev_b64 v[38:39], 2, v[26:27]
	v_mul_f32_e32 v18, v0, v24
	v_mul_f32_e32 v24, v0, v12
	v_mul_f32_e32 v22, v0, v30
	v_add_co_u32 v36, vcc_lo, s28, v28
	v_cvt_f32_f16_e32 v5, v5
	v_cvt_f32_f16_e32 v12, v65
	;; [unrolled: 1-line block ×4, first 2 shown]
	v_add_co_ci_u32_e32 v37, vcc_lo, s29, v29, vcc_lo
	v_add_co_u32 v38, vcc_lo, s28, v38
	v_mul_f32_e32 v29, v0, v5
	v_mul_f32_e32 v28, v0, v12
	;; [unrolled: 1-line block ×4, first 2 shown]
	v_add_co_ci_u32_e32 v39, vcc_lo, s29, v39, vcc_lo
	s_clause 0x3
	global_store_b128 v[32:33], v[14:17], off
	global_store_b128 v[34:35], v[18:21], off
	;; [unrolled: 1-line block ×4, first 2 shown]
	s_and_saveexec_b32 s2, s0
	s_cbranch_execz .LBB9_36
; %bb.35:
	v_ashrrev_i32_e32 v5, 31, v4
	v_mov_b32_e32 v8, v1
	s_delay_alu instid0(VALU_DEP_2) | instskip(NEXT) | instid1(VALU_DEP_1)
	v_lshlrev_b64 v[14:15], 3, v[4:5]
	v_add_co_u32 v14, vcc_lo, s30, v14
	s_delay_alu instid0(VALU_DEP_2)
	v_add_co_ci_u32_e32 v15, vcc_lo, s31, v15, vcc_lo
	global_store_b64 v[14:15], v[8:9], off
.LBB9_36:
	s_or_b32 exec_lo, exec_lo, s2
	v_cmp_ne_u32_e32 vcc_lo, 1, v13
	v_mov_b32_e32 v1, 1.0
	s_cbranch_vccnz .LBB9_38
; %bb.37:
	v_div_scale_f32 v0, null, v6, v6, 1.0
	s_delay_alu instid0(VALU_DEP_1) | instskip(SKIP_2) | instid1(VALU_DEP_1)
	v_rcp_f32_e32 v1, v0
	s_waitcnt_depctr 0xfff
	v_fma_f32 v5, -v0, v1, 1.0
	v_fmac_f32_e32 v1, v5, v1
	v_div_scale_f32 v5, vcc_lo, 1.0, v6, 1.0
	s_delay_alu instid0(VALU_DEP_1) | instskip(NEXT) | instid1(VALU_DEP_1)
	v_mul_f32_e32 v8, v5, v1
	v_fma_f32 v9, -v0, v8, v5
	s_delay_alu instid0(VALU_DEP_1) | instskip(NEXT) | instid1(VALU_DEP_1)
	v_fmac_f32_e32 v8, v9, v1
	v_fma_f32 v0, -v0, v8, v5
	s_delay_alu instid0(VALU_DEP_1) | instskip(NEXT) | instid1(VALU_DEP_1)
	v_div_fmas_f32 v0, v0, v1, v8
	v_div_fixup_f32 v1, v0, v6, 1.0
.LBB9_38:
	v_lshrrev_b32_e32 v6, 16, v62
	v_dual_mov_b32 v5, 0 :: v_dual_add_nc_u32 v0, s1, v4
	v_cvt_f32_f16_e32 v12, v62
	v_lshrrev_b32_e32 v18, 16, v61
	s_delay_alu instid0(VALU_DEP_4) | instskip(NEXT) | instid1(VALU_DEP_4)
	v_cvt_f32_f16_e32 v6, v6
	v_lshl_add_u32 v4, v0, 9, v31
	v_lshrrev_b32_e32 v8, 16, v55
	v_mul_f32_e32 v16, v1, v12
	v_cvt_f32_f16_e32 v12, v18
	s_delay_alu instid0(VALU_DEP_4)
	v_dual_mul_f32 v17, v1, v6 :: v_dual_add_nc_u32 v18, 0x80, v4
	v_lshrrev_b32_e32 v6, 16, v59
	v_mov_b32_e32 v19, v5
	v_cvt_f32_f16_e32 v15, v8
	v_lshlrev_b64 v[8:9], 2, v[4:5]
	v_mul_f32_e32 v21, v1, v12
	v_cvt_f32_f16_e32 v6, v6
	v_lshlrev_b64 v[22:23], 2, v[18:19]
	v_lshrrev_b32_e32 v12, 16, v58
	v_mul_f32_e32 v15, v1, v15
	v_add_co_u32 v8, vcc_lo, s28, v8
	v_mul_f32_e32 v19, v1, v6
	v_lshrrev_b32_e32 v6, 16, v60
	v_add_co_ci_u32_e32 v9, vcc_lo, s29, v9, vcc_lo
	v_add_co_u32 v32, vcc_lo, s28, v22
	v_add_nc_u32_e32 v22, 0x100, v4
	v_add_co_ci_u32_e32 v33, vcc_lo, s29, v23, vcc_lo
	v_mov_b32_e32 v23, v5
	v_cvt_f32_f16_e32 v6, v6
	v_cvt_f32_f16_e32 v12, v12
	v_add_nc_u32_e32 v4, 0x180, v4
	v_cvt_f32_f16_e32 v24, v59
	v_lshlrev_b64 v[26:27], 2, v[22:23]
	v_mul_f32_e32 v25, v1, v6
	v_mul_f32_e32 v23, v1, v12
	v_lshrrev_b32_e32 v6, 16, v57
	v_lshrrev_b32_e32 v12, 16, v56
	v_cvt_f32_f16_e32 v14, v55
	v_lshlrev_b64 v[4:5], 2, v[4:5]
	v_cvt_f32_f16_e32 v20, v61
	v_mul_f32_e32 v18, v1, v24
	v_cvt_f32_f16_e32 v24, v60
	v_cvt_f32_f16_e32 v28, v58
	v_add_co_u32 v34, vcc_lo, s28, v26
	v_cvt_f32_f16_e32 v6, v6
	v_cvt_f32_f16_e32 v26, v57
	;; [unrolled: 1-line block ×4, first 2 shown]
	v_mul_f32_e32 v14, v1, v14
	v_add_co_ci_u32_e32 v35, vcc_lo, s29, v27, vcc_lo
	v_mul_f32_e32 v20, v1, v20
	v_add_co_u32 v4, vcc_lo, s28, v4
	v_mul_f32_e32 v24, v1, v24
	v_mul_f32_e32 v22, v1, v28
	;; [unrolled: 1-line block ×6, first 2 shown]
	v_add_co_ci_u32_e32 v5, vcc_lo, s29, v5, vcc_lo
	s_clause 0x3
	global_store_b128 v[8:9], v[14:17], off
	global_store_b128 v[32:33], v[18:21], off
	;; [unrolled: 1-line block ×4, first 2 shown]
	s_and_saveexec_b32 s2, s0
	s_cbranch_execz .LBB9_40
; %bb.39:
	v_ashrrev_i32_e32 v1, 31, v0
	v_mov_b32_e32 v9, v2
	s_delay_alu instid0(VALU_DEP_2) | instskip(NEXT) | instid1(VALU_DEP_1)
	v_lshlrev_b64 v[4:5], 3, v[0:1]
	v_add_co_u32 v4, vcc_lo, s30, v4
	s_delay_alu instid0(VALU_DEP_2)
	v_add_co_ci_u32_e32 v5, vcc_lo, s31, v5, vcc_lo
	global_store_b64 v[4:5], v[9:10], off
.LBB9_40:
	s_or_b32 exec_lo, exec_lo, s2
	v_cmp_ne_u32_e32 vcc_lo, 1, v13
	v_mov_b32_e32 v1, 1.0
	s_cbranch_vccnz .LBB9_42
; %bb.41:
	v_div_scale_f32 v1, null, v7, v7, 1.0
	s_delay_alu instid0(VALU_DEP_1) | instskip(SKIP_2) | instid1(VALU_DEP_1)
	v_rcp_f32_e32 v2, v1
	s_waitcnt_depctr 0xfff
	v_fma_f32 v4, -v1, v2, 1.0
	v_fmac_f32_e32 v2, v4, v2
	v_div_scale_f32 v4, vcc_lo, 1.0, v7, 1.0
	s_delay_alu instid0(VALU_DEP_1) | instskip(NEXT) | instid1(VALU_DEP_1)
	v_mul_f32_e32 v5, v4, v2
	v_fma_f32 v6, -v1, v5, v4
	s_delay_alu instid0(VALU_DEP_1) | instskip(NEXT) | instid1(VALU_DEP_1)
	v_fmac_f32_e32 v5, v6, v2
	v_fma_f32 v1, -v1, v5, v4
	s_delay_alu instid0(VALU_DEP_1) | instskip(NEXT) | instid1(VALU_DEP_1)
	v_div_fmas_f32 v1, v1, v2, v5
	v_div_fixup_f32 v1, v1, v7, 1.0
.LBB9_42:
	v_dual_mov_b32 v9, 0 :: v_dual_add_nc_u32 v0, s1, v0
	v_lshrrev_b32_e32 v2, 16, v53
	v_cvt_f32_f16_e32 v4, v53
	v_cvt_f32_f16_e32 v7, v52
	s_delay_alu instid0(VALU_DEP_4)
	v_lshl_add_u32 v8, v0, 9, v31
	v_lshrrev_b32_e32 v10, 16, v51
	v_cvt_f32_f16_e32 v2, v2
	v_mul_f32_e32 v6, v1, v4
	v_mul_f32_e32 v4, v1, v7
	v_lshlrev_b64 v[12:13], 2, v[8:9]
	v_lshrrev_b32_e32 v5, 16, v52
	v_mul_f32_e32 v7, v1, v2
	v_lshrrev_b32_e32 v2, 16, v49
	v_cvt_f32_f16_e32 v10, v10
	v_cvt_f32_f16_e32 v18, v49
	v_add_co_u32 v24, vcc_lo, s28, v12
	v_add_nc_u32_e32 v12, 0x80, v8
	v_add_co_ci_u32_e32 v25, vcc_lo, s29, v13, vcc_lo
	v_mov_b32_e32 v13, v9
	v_cvt_f32_f16_e32 v2, v2
	v_cvt_f32_f16_e32 v5, v5
	v_mul_f32_e32 v15, v1, v10
	v_lshrrev_b32_e32 v10, 16, v48
	v_lshlrev_b64 v[16:17], 2, v[12:13]
	v_mul_f32_e32 v13, v1, v2
	v_lshrrev_b32_e32 v2, 16, v50
	v_mul_f32_e32 v5, v1, v5
	v_cvt_f32_f16_e32 v10, v10
	v_cvt_f32_f16_e32 v14, v51
	v_add_co_u32 v26, vcc_lo, s28, v16
	v_add_nc_u32_e32 v16, 0x100, v8
	v_add_co_ci_u32_e32 v27, vcc_lo, s29, v17, vcc_lo
	v_mov_b32_e32 v17, v9
	v_cvt_f32_f16_e32 v2, v2
	v_add_nc_u32_e32 v8, 0x180, v8
	v_mul_f32_e32 v12, v1, v18
	v_cvt_f32_f16_e32 v18, v50
	v_lshlrev_b64 v[20:21], 2, v[16:17]
	v_mul_f32_e32 v19, v1, v2
	v_mul_f32_e32 v17, v1, v10
	v_lshrrev_b32_e32 v2, 16, v46
	v_lshrrev_b32_e32 v10, 16, v47
	v_lshlrev_b64 v[8:9], 2, v[8:9]
	v_cvt_f32_f16_e32 v22, v48
	v_add_co_u32 v28, vcc_lo, s28, v20
	v_cvt_f32_f16_e32 v2, v2
	v_cvt_f32_f16_e32 v20, v46
	;; [unrolled: 1-line block ×4, first 2 shown]
	v_add_co_ci_u32_e32 v29, vcc_lo, s29, v21, vcc_lo
	v_mul_f32_e32 v14, v1, v14
	v_mul_f32_e32 v18, v1, v18
	;; [unrolled: 1-line block ×7, first 2 shown]
	v_add_co_u32 v1, vcc_lo, s28, v8
	v_add_co_ci_u32_e32 v2, vcc_lo, s29, v9, vcc_lo
	s_clause 0x3
	global_store_b128 v[24:25], v[4:7], off
	global_store_b128 v[26:27], v[12:15], off
	global_store_b128 v[28:29], v[16:19], off
	global_store_b128 v[1:2], v[20:23], off
	s_and_b32 exec_lo, exec_lo, s0
	s_cbranch_execz .LBB9_26
; %bb.43:
	v_ashrrev_i32_e32 v1, 31, v0
	v_mov_b32_e32 v10, v3
	s_delay_alu instid0(VALU_DEP_2) | instskip(NEXT) | instid1(VALU_DEP_1)
	v_lshlrev_b64 v[0:1], 3, v[0:1]
	v_add_co_u32 v0, vcc_lo, s30, v0
	s_delay_alu instid0(VALU_DEP_2)
	v_add_co_ci_u32_e32 v1, vcc_lo, s31, v1, vcc_lo
	global_store_b64 v[0:1], v[10:11], off
	s_nop 0
	s_sendmsg sendmsg(MSG_DEALLOC_VGPRS)
	s_endpgm
	.section	.rodata,"a",@progbits
	.p2align	6, 0x0
	.amdhsa_kernel _ZL15flash_attn_tileILi576ELi512ELi8ELi4ELb0EEvPKcS1_S1_S1_S1_PKiPfP15HIP_vector_typeIfLj2EEffffjfiS5_IjLj3EEiiiiiiiiiiiliiliiiiil
		.amdhsa_group_segment_fixed_size 63488
		.amdhsa_private_segment_fixed_size 0
		.amdhsa_kernarg_size 464
		.amdhsa_user_sgpr_count 13
		.amdhsa_user_sgpr_dispatch_ptr 0
		.amdhsa_user_sgpr_queue_ptr 0
		.amdhsa_user_sgpr_kernarg_segment_ptr 1
		.amdhsa_user_sgpr_dispatch_id 0
		.amdhsa_user_sgpr_private_segment_size 0
		.amdhsa_wavefront_size32 1
		.amdhsa_uses_dynamic_stack 0
		.amdhsa_enable_private_segment 0
		.amdhsa_system_sgpr_workgroup_id_x 1
		.amdhsa_system_sgpr_workgroup_id_y 1
		.amdhsa_system_sgpr_workgroup_id_z 1
		.amdhsa_system_sgpr_workgroup_info 0
		.amdhsa_system_vgpr_workitem_id 1
		.amdhsa_next_free_vgpr 209
		.amdhsa_next_free_sgpr 40
		.amdhsa_reserve_vcc 1
		.amdhsa_float_round_mode_32 0
		.amdhsa_float_round_mode_16_64 0
		.amdhsa_float_denorm_mode_32 3
		.amdhsa_float_denorm_mode_16_64 3
		.amdhsa_dx10_clamp 1
		.amdhsa_ieee_mode 1
		.amdhsa_fp16_overflow 0
		.amdhsa_workgroup_processor_mode 1
		.amdhsa_memory_ordered 1
		.amdhsa_forward_progress 0
		.amdhsa_shared_vgpr_count 0
		.amdhsa_exception_fp_ieee_invalid_op 0
		.amdhsa_exception_fp_denorm_src 0
		.amdhsa_exception_fp_ieee_div_zero 0
		.amdhsa_exception_fp_ieee_overflow 0
		.amdhsa_exception_fp_ieee_underflow 0
		.amdhsa_exception_fp_ieee_inexact 0
		.amdhsa_exception_int_div_zero 0
	.end_amdhsa_kernel
	.section	.text._ZL15flash_attn_tileILi576ELi512ELi8ELi4ELb0EEvPKcS1_S1_S1_S1_PKiPfP15HIP_vector_typeIfLj2EEffffjfiS5_IjLj3EEiiiiiiiiiiiliiliiiiil,"axG",@progbits,_ZL15flash_attn_tileILi576ELi512ELi8ELi4ELb0EEvPKcS1_S1_S1_S1_PKiPfP15HIP_vector_typeIfLj2EEffffjfiS5_IjLj3EEiiiiiiiiiiiliiliiiiil,comdat
.Lfunc_end9:
	.size	_ZL15flash_attn_tileILi576ELi512ELi8ELi4ELb0EEvPKcS1_S1_S1_S1_PKiPfP15HIP_vector_typeIfLj2EEffffjfiS5_IjLj3EEiiiiiiiiiiiliiliiiiil, .Lfunc_end9-_ZL15flash_attn_tileILi576ELi512ELi8ELi4ELb0EEvPKcS1_S1_S1_S1_PKiPfP15HIP_vector_typeIfLj2EEffffjfiS5_IjLj3EEiiiiiiiiiiiliiliiiiil
                                        ; -- End function
	.section	.AMDGPU.csdata,"",@progbits
; Kernel info:
; codeLenInByte = 81220
; NumSgprs: 42
; NumVgprs: 209
; ScratchSize: 0
; MemoryBound: 0
; FloatMode: 240
; IeeeMode: 1
; LDSByteSize: 63488 bytes/workgroup (compile time only)
; SGPRBlocks: 5
; VGPRBlocks: 26
; NumSGPRsForWavesPerEU: 42
; NumVGPRsForWavesPerEU: 209
; Occupancy: 4
; WaveLimiterHint : 1
; COMPUTE_PGM_RSRC2:SCRATCH_EN: 0
; COMPUTE_PGM_RSRC2:USER_SGPR: 13
; COMPUTE_PGM_RSRC2:TRAP_HANDLER: 0
; COMPUTE_PGM_RSRC2:TGID_X_EN: 1
; COMPUTE_PGM_RSRC2:TGID_Y_EN: 1
; COMPUTE_PGM_RSRC2:TGID_Z_EN: 1
; COMPUTE_PGM_RSRC2:TIDIG_COMP_CNT: 1
	.section	.text._ZL25flash_attn_mask_to_KV_maxILi8EEvPK7__half2Piiii,"axG",@progbits,_ZL25flash_attn_mask_to_KV_maxILi8EEvPK7__half2Piiii,comdat
	.globl	_ZL25flash_attn_mask_to_KV_maxILi8EEvPK7__half2Piiii ; -- Begin function _ZL25flash_attn_mask_to_KV_maxILi8EEvPK7__half2Piiii
	.p2align	8
	.type	_ZL25flash_attn_mask_to_KV_maxILi8EEvPK7__half2Piiii,@function
_ZL25flash_attn_mask_to_KV_maxILi8EEvPK7__half2Piiii: ; @_ZL25flash_attn_mask_to_KV_maxILi8EEvPK7__half2Piiii
; %bb.0:
	s_load_b128 s[4:7], s[0:1], 0x0
	s_mov_b32 s2, exec_lo
	v_cmpx_gt_u32_e32 32, v0
	s_cbranch_execz .LBB10_2
; %bb.1:
	v_dual_mov_b32 v2, 1 :: v_dual_lshlrev_b32 v1, 2, v0
	ds_store_b32 v1, v2
.LBB10_2:
	s_or_b32 exec_lo, exec_lo, s2
	s_clause 0x1
	s_load_b128 s[8:11], s[0:1], 0x10
	s_load_b32 s1, s[0:1], 0x20
	v_dual_mov_b32 v2, 0 :: v_dual_and_b32 v1, 31, v0
	v_lshrrev_b32_e32 v5, 3, v0
	s_waitcnt lgkmcnt(0)
	s_barrier
	s_delay_alu instid0(VALU_DEP_2) | instskip(SKIP_4) | instid1(SALU_CYCLE_1)
	v_lshlrev_b32_e32 v6, 2, v1
	buffer_gl0_inv
	s_mul_i32 s0, s14, s9
	s_mul_i32 s2, s15, s10
	s_lshl_b32 s0, s0, 3
	s_add_i32 s2, s2, s0
	v_cmp_eq_u32_e64 s0, 0, v1
	s_ashr_i32 s3, s2, 31
	s_delay_alu instid0(SALU_CYCLE_1) | instskip(NEXT) | instid1(SALU_CYCLE_1)
	s_lshl_b64 s[10:11], s[2:3], 2
	s_add_u32 s3, s4, s10
	s_addc_u32 s4, s5, s11
	s_lshl_b32 s5, s8, 8
	s_branch .LBB10_4
.LBB10_3:                               ;   in Loop: Header=BB10_4 Depth=1
	s_or_b32 exec_lo, exec_lo, s10
	s_waitcnt lgkmcnt(0)
	s_barrier
	buffer_gl0_inv
	ds_load_b32 v1, v6
	s_waitcnt lgkmcnt(0)
	s_barrier
	buffer_gl0_inv
	;;#ASMSTART
	;;#ASMEND
	v_cmp_ne_u32_e32 vcc_lo, 0, v1
	s_cmp_lg_u32 vcc_lo, exec_lo
	s_cselect_b32 s8, -1, 0
	s_delay_alu instid0(SALU_CYCLE_1)
	s_and_b32 vcc_lo, exec_lo, s8
	s_cbranch_vccnz .LBB10_36
.LBB10_4:                               ; =>This Inner Loop Header: Depth=1
	s_mov_b32 s2, s5
	s_addk_i32 s5, 0xff00
	s_delay_alu instid0(SALU_CYCLE_1)
	s_cmp_lt_i32 s5, 0
	s_cbranch_scc1 .LBB10_35
; %bb.5:                                ;   in Loop: Header=BB10_4 Depth=1
	s_lshr_b32 s8, s5, 1
	s_mov_b32 s10, 0
	v_add_nc_u32_e32 v1, s8, v0
	s_delay_alu instid0(VALU_DEP_1) | instskip(NEXT) | instid1(VALU_DEP_1)
	v_lshlrev_b64 v[3:4], 2, v[1:2]
	v_add_co_u32 v3, vcc_lo, s3, v3
	s_delay_alu instid0(VALU_DEP_2) | instskip(SKIP_4) | instid1(VALU_DEP_2)
	v_add_co_ci_u32_e32 v4, vcc_lo, s4, v4, vcc_lo
	global_load_b32 v3, v[3:4], off
	s_waitcnt vmcnt(0)
	v_lshrrev_b32_e32 v4, 16, v3
	v_cmp_class_f16_e64 s8, v3, 0x204
	v_and_b32_e32 v4, 0x7fff, v4
	s_delay_alu instid0(VALU_DEP_1) | instskip(NEXT) | instid1(VALU_DEP_3)
	v_cmp_eq_f16_e32 vcc_lo, 0x7c00, v4
	s_and_b32 s11, s8, vcc_lo
	s_delay_alu instid0(SALU_CYCLE_1)
	s_and_saveexec_b32 s8, s11
	s_cbranch_execz .LBB10_33
; %bb.6:                                ;   in Loop: Header=BB10_4 Depth=1
	v_add_nc_u32_e32 v3, s9, v1
	s_mov_b32 s11, 0
	s_delay_alu instid0(VALU_DEP_1) | instskip(NEXT) | instid1(VALU_DEP_1)
	v_ashrrev_i32_e32 v4, 31, v3
	v_lshlrev_b64 v[7:8], 2, v[3:4]
	s_delay_alu instid0(VALU_DEP_1) | instskip(NEXT) | instid1(VALU_DEP_2)
	v_add_co_u32 v7, vcc_lo, s3, v7
	v_add_co_ci_u32_e32 v8, vcc_lo, s4, v8, vcc_lo
	global_load_b32 v1, v[7:8], off
	s_waitcnt vmcnt(0)
	v_cmp_class_f16_e64 s12, v1, 0x204
	s_delay_alu instid0(VALU_DEP_1)
	s_and_saveexec_b32 s10, s12
	s_cbranch_execz .LBB10_32
; %bb.7:                                ;   in Loop: Header=BB10_4 Depth=1
	v_lshrrev_b32_e32 v1, 16, v1
	s_mov_b32 s12, 0
	s_delay_alu instid0(VALU_DEP_1) | instskip(NEXT) | instid1(VALU_DEP_1)
	v_cmp_class_f16_e64 s13, v1, 0x204
	s_and_saveexec_b32 s11, s13
	s_cbranch_execz .LBB10_31
; %bb.8:                                ;   in Loop: Header=BB10_4 Depth=1
	v_add_nc_u32_e32 v3, s9, v3
	s_mov_b32 s13, 0
	s_delay_alu instid0(VALU_DEP_1) | instskip(NEXT) | instid1(VALU_DEP_1)
	v_ashrrev_i32_e32 v4, 31, v3
	v_lshlrev_b64 v[7:8], 2, v[3:4]
	s_delay_alu instid0(VALU_DEP_1) | instskip(NEXT) | instid1(VALU_DEP_2)
	v_add_co_u32 v7, vcc_lo, s3, v7
	v_add_co_ci_u32_e32 v8, vcc_lo, s4, v8, vcc_lo
	global_load_b32 v1, v[7:8], off
	s_waitcnt vmcnt(0)
	v_cmp_class_f16_e64 s16, v1, 0x204
	s_delay_alu instid0(VALU_DEP_1)
	s_and_saveexec_b32 s12, s16
	s_cbranch_execz .LBB10_30
; %bb.9:                                ;   in Loop: Header=BB10_4 Depth=1
	v_lshrrev_b32_e32 v1, 16, v1
	s_mov_b32 s16, 0
	s_delay_alu instid0(VALU_DEP_1) | instskip(NEXT) | instid1(VALU_DEP_1)
	v_cmp_class_f16_e64 s17, v1, 0x204
	s_and_saveexec_b32 s13, s17
	s_cbranch_execz .LBB10_29
; %bb.10:                               ;   in Loop: Header=BB10_4 Depth=1
	v_add_nc_u32_e32 v3, s9, v3
	s_mov_b32 s17, 0
	s_delay_alu instid0(VALU_DEP_1) | instskip(NEXT) | instid1(VALU_DEP_1)
	v_ashrrev_i32_e32 v4, 31, v3
	v_lshlrev_b64 v[7:8], 2, v[3:4]
	s_delay_alu instid0(VALU_DEP_1) | instskip(NEXT) | instid1(VALU_DEP_2)
	v_add_co_u32 v7, vcc_lo, s3, v7
	v_add_co_ci_u32_e32 v8, vcc_lo, s4, v8, vcc_lo
	global_load_b32 v1, v[7:8], off
	s_waitcnt vmcnt(0)
	v_cmp_class_f16_e64 s18, v1, 0x204
	s_delay_alu instid0(VALU_DEP_1)
	s_and_saveexec_b32 s16, s18
	s_cbranch_execz .LBB10_28
; %bb.11:                               ;   in Loop: Header=BB10_4 Depth=1
	v_lshrrev_b32_e32 v1, 16, v1
	s_mov_b32 s18, 0
	s_delay_alu instid0(VALU_DEP_1) | instskip(NEXT) | instid1(VALU_DEP_1)
	v_cmp_class_f16_e64 s19, v1, 0x204
	s_and_saveexec_b32 s17, s19
	s_cbranch_execz .LBB10_27
; %bb.12:                               ;   in Loop: Header=BB10_4 Depth=1
	v_add_nc_u32_e32 v3, s9, v3
	s_mov_b32 s19, 0
	s_delay_alu instid0(VALU_DEP_1) | instskip(NEXT) | instid1(VALU_DEP_1)
	v_ashrrev_i32_e32 v4, 31, v3
	v_lshlrev_b64 v[7:8], 2, v[3:4]
	s_delay_alu instid0(VALU_DEP_1) | instskip(NEXT) | instid1(VALU_DEP_2)
	v_add_co_u32 v7, vcc_lo, s3, v7
	v_add_co_ci_u32_e32 v8, vcc_lo, s4, v8, vcc_lo
	global_load_b32 v1, v[7:8], off
	s_waitcnt vmcnt(0)
	v_cmp_class_f16_e64 s20, v1, 0x204
	s_delay_alu instid0(VALU_DEP_1)
	s_and_saveexec_b32 s18, s20
	s_cbranch_execz .LBB10_26
; %bb.13:                               ;   in Loop: Header=BB10_4 Depth=1
	;; [unrolled: 22-line block ×4, first 2 shown]
	v_lshrrev_b32_e32 v1, 16, v1
	s_mov_b32 s24, 0
	s_delay_alu instid0(VALU_DEP_1) | instskip(NEXT) | instid1(VALU_DEP_1)
	v_cmp_class_f16_e64 s25, v1, 0x204
	s_and_saveexec_b32 s23, s25
	s_cbranch_execz .LBB10_21
; %bb.18:                               ;   in Loop: Header=BB10_4 Depth=1
	v_add_nc_u32_e32 v3, s9, v3
	s_delay_alu instid0(VALU_DEP_1) | instskip(NEXT) | instid1(VALU_DEP_1)
	v_ashrrev_i32_e32 v4, 31, v3
	v_lshlrev_b64 v[3:4], 2, v[3:4]
	s_delay_alu instid0(VALU_DEP_1) | instskip(NEXT) | instid1(VALU_DEP_2)
	v_add_co_u32 v3, vcc_lo, s3, v3
	v_add_co_ci_u32_e32 v4, vcc_lo, s4, v4, vcc_lo
	global_load_b32 v1, v[3:4], off
	s_waitcnt vmcnt(0)
	v_cmp_class_f16_e64 s26, v1, 0x204
	s_delay_alu instid0(VALU_DEP_1)
	s_and_saveexec_b32 s25, s26
; %bb.19:                               ;   in Loop: Header=BB10_4 Depth=1
	v_lshrrev_b32_e32 v1, 16, v1
	s_delay_alu instid0(VALU_DEP_1) | instskip(NEXT) | instid1(VALU_DEP_1)
	v_cmp_class_f16_e64 s24, v1, 0x204
	s_and_b32 s24, s24, exec_lo
; %bb.20:                               ;   in Loop: Header=BB10_4 Depth=1
	s_or_b32 exec_lo, exec_lo, s25
	s_delay_alu instid0(SALU_CYCLE_1)
	s_and_b32 s24, s24, exec_lo
.LBB10_21:                              ;   in Loop: Header=BB10_4 Depth=1
	s_or_b32 exec_lo, exec_lo, s23
	s_delay_alu instid0(SALU_CYCLE_1)
	s_and_b32 s23, s24, exec_lo
.LBB10_22:                              ;   in Loop: Header=BB10_4 Depth=1
	s_or_b32 exec_lo, exec_lo, s22
	s_delay_alu instid0(SALU_CYCLE_1)
	s_and_b32 s22, s23, exec_lo
.LBB10_23:                              ;   in Loop: Header=BB10_4 Depth=1
	s_or_b32 exec_lo, exec_lo, s21
	s_delay_alu instid0(SALU_CYCLE_1)
	s_and_b32 s21, s22, exec_lo
.LBB10_24:                              ;   in Loop: Header=BB10_4 Depth=1
	s_or_b32 exec_lo, exec_lo, s20
	s_delay_alu instid0(SALU_CYCLE_1)
	s_and_b32 s20, s21, exec_lo
.LBB10_25:                              ;   in Loop: Header=BB10_4 Depth=1
	s_or_b32 exec_lo, exec_lo, s19
	s_delay_alu instid0(SALU_CYCLE_1)
	s_and_b32 s19, s20, exec_lo
.LBB10_26:                              ;   in Loop: Header=BB10_4 Depth=1
	s_or_b32 exec_lo, exec_lo, s18
	s_delay_alu instid0(SALU_CYCLE_1)
	s_and_b32 s18, s19, exec_lo
.LBB10_27:                              ;   in Loop: Header=BB10_4 Depth=1
	s_or_b32 exec_lo, exec_lo, s17
	s_delay_alu instid0(SALU_CYCLE_1)
	s_and_b32 s17, s18, exec_lo
.LBB10_28:                              ;   in Loop: Header=BB10_4 Depth=1
	s_or_b32 exec_lo, exec_lo, s16
	s_delay_alu instid0(SALU_CYCLE_1)
	s_and_b32 s16, s17, exec_lo
.LBB10_29:                              ;   in Loop: Header=BB10_4 Depth=1
	s_or_b32 exec_lo, exec_lo, s13
	s_delay_alu instid0(SALU_CYCLE_1)
	s_and_b32 s13, s16, exec_lo
.LBB10_30:                              ;   in Loop: Header=BB10_4 Depth=1
	s_or_b32 exec_lo, exec_lo, s12
	s_delay_alu instid0(SALU_CYCLE_1)
	s_and_b32 s12, s13, exec_lo
.LBB10_31:                              ;   in Loop: Header=BB10_4 Depth=1
	s_or_b32 exec_lo, exec_lo, s11
	s_delay_alu instid0(SALU_CYCLE_1)
	s_and_b32 s11, s12, exec_lo
.LBB10_32:                              ;   in Loop: Header=BB10_4 Depth=1
	s_or_b32 exec_lo, exec_lo, s10
	s_delay_alu instid0(SALU_CYCLE_1)
	s_and_b32 s10, s11, exec_lo
.LBB10_33:                              ;   in Loop: Header=BB10_4 Depth=1
	s_or_b32 exec_lo, exec_lo, s8
	v_cndmask_b32_e64 v1, 0, 1, s10
	;;#ASMSTART
	;;#ASMEND
	s_delay_alu instid0(VALU_DEP_1)
	v_cmp_ne_u32_e32 vcc_lo, 0, v1
	s_mov_b32 s8, exec_lo
	s_and_saveexec_b32 s10, s0
	s_cbranch_execz .LBB10_3
; %bb.34:                               ;   in Loop: Header=BB10_4 Depth=1
	s_cmp_eq_u32 vcc_lo, s8
	s_cselect_b32 s8, -1, 0
	s_delay_alu instid0(SALU_CYCLE_1)
	v_cndmask_b32_e64 v1, 0, 1, s8
	ds_store_b32 v5, v1
	s_branch .LBB10_3
.LBB10_35:                              ;   in Loop: Header=BB10_4 Depth=1
                                        ; implicit-def: $sgpr5
	s_cbranch_execz .LBB10_4
.LBB10_36:
	s_mov_b32 s0, exec_lo
	v_cmpx_eq_u32_e32 0, v0
	s_cbranch_execz .LBB10_38
; %bb.37:
	s_mul_i32 s0, s1, s15
	v_dual_mov_b32 v0, 0 :: v_dual_mov_b32 v1, s2
	s_add_i32 s0, s0, s14
	s_delay_alu instid0(SALU_CYCLE_1) | instskip(NEXT) | instid1(SALU_CYCLE_1)
	s_ashr_i32 s1, s0, 31
	s_lshl_b64 s[0:1], s[0:1], 2
	s_delay_alu instid0(SALU_CYCLE_1)
	s_add_u32 s0, s6, s0
	s_addc_u32 s1, s7, s1
	global_store_b32 v0, v1, s[0:1]
.LBB10_38:
	s_nop 0
	s_sendmsg sendmsg(MSG_DEALLOC_VGPRS)
	s_endpgm
	.section	.rodata,"a",@progbits
	.p2align	6, 0x0
	.amdhsa_kernel _ZL25flash_attn_mask_to_KV_maxILi8EEvPK7__half2Piiii
		.amdhsa_group_segment_fixed_size 128
		.amdhsa_private_segment_fixed_size 0
		.amdhsa_kernarg_size 288
		.amdhsa_user_sgpr_count 14
		.amdhsa_user_sgpr_dispatch_ptr 0
		.amdhsa_user_sgpr_queue_ptr 0
		.amdhsa_user_sgpr_kernarg_segment_ptr 1
		.amdhsa_user_sgpr_dispatch_id 0
		.amdhsa_user_sgpr_private_segment_size 0
		.amdhsa_wavefront_size32 1
		.amdhsa_uses_dynamic_stack 0
		.amdhsa_enable_private_segment 0
		.amdhsa_system_sgpr_workgroup_id_x 1
		.amdhsa_system_sgpr_workgroup_id_y 1
		.amdhsa_system_sgpr_workgroup_id_z 0
		.amdhsa_system_sgpr_workgroup_info 0
		.amdhsa_system_vgpr_workitem_id 0
		.amdhsa_next_free_vgpr 9
		.amdhsa_next_free_sgpr 27
		.amdhsa_reserve_vcc 1
		.amdhsa_float_round_mode_32 0
		.amdhsa_float_round_mode_16_64 0
		.amdhsa_float_denorm_mode_32 3
		.amdhsa_float_denorm_mode_16_64 3
		.amdhsa_dx10_clamp 1
		.amdhsa_ieee_mode 1
		.amdhsa_fp16_overflow 0
		.amdhsa_workgroup_processor_mode 1
		.amdhsa_memory_ordered 1
		.amdhsa_forward_progress 0
		.amdhsa_shared_vgpr_count 0
		.amdhsa_exception_fp_ieee_invalid_op 0
		.amdhsa_exception_fp_denorm_src 0
		.amdhsa_exception_fp_ieee_div_zero 0
		.amdhsa_exception_fp_ieee_overflow 0
		.amdhsa_exception_fp_ieee_underflow 0
		.amdhsa_exception_fp_ieee_inexact 0
		.amdhsa_exception_int_div_zero 0
	.end_amdhsa_kernel
	.section	.text._ZL25flash_attn_mask_to_KV_maxILi8EEvPK7__half2Piiii,"axG",@progbits,_ZL25flash_attn_mask_to_KV_maxILi8EEvPK7__half2Piiii,comdat
.Lfunc_end10:
	.size	_ZL25flash_attn_mask_to_KV_maxILi8EEvPK7__half2Piiii, .Lfunc_end10-_ZL25flash_attn_mask_to_KV_maxILi8EEvPK7__half2Piiii
                                        ; -- End function
	.section	.AMDGPU.csdata,"",@progbits
; Kernel info:
; codeLenInByte = 1376
; NumSgprs: 29
; NumVgprs: 9
; ScratchSize: 0
; MemoryBound: 0
; FloatMode: 240
; IeeeMode: 1
; LDSByteSize: 128 bytes/workgroup (compile time only)
; SGPRBlocks: 3
; VGPRBlocks: 1
; NumSGPRsForWavesPerEU: 29
; NumVGPRsForWavesPerEU: 9
; Occupancy: 16
; WaveLimiterHint : 0
; COMPUTE_PGM_RSRC2:SCRATCH_EN: 0
; COMPUTE_PGM_RSRC2:USER_SGPR: 14
; COMPUTE_PGM_RSRC2:TRAP_HANDLER: 0
; COMPUTE_PGM_RSRC2:TGID_X_EN: 1
; COMPUTE_PGM_RSRC2:TGID_Y_EN: 1
; COMPUTE_PGM_RSRC2:TGID_Z_EN: 0
; COMPUTE_PGM_RSRC2:TIDIG_COMP_CNT: 0
	.section	.text._ZL33flash_attn_stream_k_fixup_uniformILi512ELi8ELi4EEvPfPK15HIP_vector_typeIfLj2EEiiiiiiS1_IjLj3EES5_S5_,"axG",@progbits,_ZL33flash_attn_stream_k_fixup_uniformILi512ELi8ELi4EEvPfPK15HIP_vector_typeIfLj2EEiiiiiiS1_IjLj3EES5_S5_,comdat
	.globl	_ZL33flash_attn_stream_k_fixup_uniformILi512ELi8ELi4EEvPfPK15HIP_vector_typeIfLj2EEiiiiiiS1_IjLj3EES5_S5_ ; -- Begin function _ZL33flash_attn_stream_k_fixup_uniformILi512ELi8ELi4EEvPfPK15HIP_vector_typeIfLj2EEiiiiiiS1_IjLj3EES5_S5_
	.p2align	8
	.type	_ZL33flash_attn_stream_k_fixup_uniformILi512ELi8ELi4EEvPfPK15HIP_vector_typeIfLj2EEiiiiiiS1_IjLj3EES5_S5_,@function
_ZL33flash_attn_stream_k_fixup_uniformILi512ELi8ELi4EEvPfPK15HIP_vector_typeIfLj2EEiiiiiiS1_IjLj3EES5_S5_: ; @_ZL33flash_attn_stream_k_fixup_uniformILi512ELi8ELi4EEvPfPK15HIP_vector_typeIfLj2EEiiiiiiS1_IjLj3EES5_S5_
; %bb.0:
	s_clause 0x1
	s_load_b256 s[4:11], s[0:1], 0x1c
	s_load_b128 s[16:19], s[0:1], 0x3c
	s_waitcnt lgkmcnt(0)
	s_mul_hi_u32 s2, s7, s13
	s_delay_alu instid0(SALU_CYCLE_1) | instskip(NEXT) | instid1(SALU_CYCLE_1)
	s_add_i32 s2, s13, s2
	s_lshr_b32 s2, s2, s8
	s_delay_alu instid0(SALU_CYCLE_1) | instskip(SKIP_2) | instid1(SALU_CYCLE_1)
	s_mul_i32 s3, s2, s9
	s_load_b64 s[8:9], s[0:1], 0x10
	s_sub_i32 s7, s13, s3
	s_mul_hi_u32 s3, s7, s10
	s_delay_alu instid0(SALU_CYCLE_1) | instskip(NEXT) | instid1(SALU_CYCLE_1)
	s_add_i32 s3, s7, s3
	s_lshr_b32 s3, s3, s11
	s_delay_alu instid0(SALU_CYCLE_1) | instskip(NEXT) | instid1(SALU_CYCLE_1)
	s_mul_i32 s10, s3, s16
	s_sub_i32 s7, s7, s10
	s_delay_alu instid0(SALU_CYCLE_1) | instskip(NEXT) | instid1(SALU_CYCLE_1)
	s_mul_hi_u32 s10, s7, s17
	s_add_i32 s10, s7, s10
	s_delay_alu instid0(SALU_CYCLE_1) | instskip(NEXT) | instid1(SALU_CYCLE_1)
	s_lshr_b32 s10, s10, s18
	s_mul_i32 s11, s10, s19
	s_lshl_b32 s10, s10, 2
	s_sub_i32 s7, s7, s11
	s_delay_alu instid0(SALU_CYCLE_1) | instskip(NEXT) | instid1(SALU_CYCLE_1)
	s_lshl_b32 s11, s7, 3
	s_add_i32 s11, s11, s14
	s_waitcnt lgkmcnt(0)
	s_cmp_lt_i32 s11, s8
	s_cselect_b32 s11, -1, 0
	s_add_i32 s12, s10, s15
	s_delay_alu instid0(SALU_CYCLE_1) | instskip(SKIP_1) | instid1(SALU_CYCLE_1)
	s_cmp_lt_i32 s12, s5
	s_cselect_b32 s12, -1, 0
	s_and_b32 s11, s11, s12
	s_delay_alu instid0(SALU_CYCLE_1)
	s_and_not1_b32 vcc_lo, exec_lo, s11
	s_cbranch_vccnz .LBB11_6
; %bb.1:
	s_mul_i32 s2, s2, s8
	s_mul_i32 s5, s3, s5
	s_add_i32 s2, s2, s14
	s_mul_i32 s7, s9, s7
	s_mul_i32 s2, s2, s9
	s_lshl_b32 s7, s7, 12
	s_add_i32 s8, s2, s15
	s_load_b128 s[0:3], s[0:1], 0x0
	s_add_i32 s5, s8, s5
	s_lshl_b32 s9, s14, 2
	s_add_i32 s5, s5, s10
	s_delay_alu instid0(SALU_CYCLE_1) | instskip(NEXT) | instid1(SALU_CYCLE_1)
	s_lshl_b32 s5, s5, 9
	s_add_i32 s7, s7, s5
	s_mul_i32 s5, s13, s6
	v_or_b32_e32 v1, s7, v0
	s_add_i32 s10, s5, s6
	s_delay_alu instid0(VALU_DEP_1) | instskip(NEXT) | instid1(VALU_DEP_1)
	v_ashrrev_i32_e32 v2, 31, v1
	v_lshlrev_b64 v[1:2], 2, v[1:2]
	s_waitcnt lgkmcnt(0)
	s_delay_alu instid0(VALU_DEP_1) | instskip(NEXT) | instid1(VALU_DEP_2)
	v_add_co_u32 v1, vcc_lo, s0, v1
	v_add_co_ci_u32_e32 v2, vcc_lo, s1, v2, vcc_lo
	s_add_i32 s0, s9, s15
	s_lshl_b32 s1, s10, 5
	s_delay_alu instid0(SALU_CYCLE_1) | instskip(SKIP_2) | instid1(SALU_CYCLE_1)
	s_add_i32 s0, s0, s1
	global_load_b32 v5, v[1:2], off
	s_sub_i32 s0, s0, 32
	s_ashr_i32 s1, s0, 31
	s_delay_alu instid0(SALU_CYCLE_1) | instskip(NEXT) | instid1(SALU_CYCLE_1)
	s_lshl_b64 s[0:1], s[0:1], 3
	s_add_u32 s0, s2, s0
	s_addc_u32 s1, s3, s1
	s_add_i32 s7, s10, -2
	s_load_b32 s11, s[0:1], 0x4
	s_cmp_lt_i32 s7, s5
	s_cbranch_scc1 .LBB11_4
; %bb.2:
	s_lshl_b32 s16, s4, 7
	s_load_b32 s12, s[0:1], 0x0
	s_ashr_i32 s17, s16, 31
	s_delay_alu instid0(SALU_CYCLE_1) | instskip(NEXT) | instid1(SALU_CYCLE_1)
	s_lshl_b64 s[0:1], s[16:17], 2
	s_add_u32 s7, s2, s0
	s_addc_u32 s8, s3, s1
	s_add_i32 s13, s13, 1
	s_lshl_b32 s0, s14, 11
	s_lshl_b32 s1, s15, 9
	s_mul_i32 s6, s6, s13
	s_add_i32 s0, s1, s0
	s_lshl_b32 s1, s6, 14
	s_delay_alu instid0(SALU_CYCLE_1)
	s_add_i32 s0, s0, s1
	s_lshl_b32 s1, s6, 5
	v_or_b32_e32 v0, s0, v0
	s_lshl_b32 s0, s4, 5
	s_add_i32 s1, s15, s1
	s_waitcnt lgkmcnt(0)
	v_mov_b32_e32 v6, s11
	s_add_i32 s0, s1, s0
	v_dual_mov_b32 v0, s12 :: v_dual_add_nc_u32 v3, 0xffff8000, v0
	s_add_i32 s0, s0, s9
	s_add_i32 s4, s10, -1
	s_sub_i32 s0, s0, 64
.LBB11_3:                               ; =>This Inner Loop Header: Depth=1
	s_delay_alu instid0(VALU_DEP_1) | instskip(SKIP_1) | instid1(SALU_CYCLE_1)
	v_ashrrev_i32_e32 v4, 31, v3
	s_ashr_i32 s1, s0, 31
	s_lshl_b64 s[10:11], s[0:1], 3
	s_delay_alu instid0(SALU_CYCLE_1) | instskip(NEXT) | instid1(VALU_DEP_1)
	s_add_u32 s10, s2, s10
	v_lshlrev_b64 v[7:8], 2, v[3:4]
	s_addc_u32 s11, s3, s11
	s_add_i32 s4, s4, -1
	s_sub_i32 s0, s0, 32
	s_cmp_le_i32 s4, s5
	s_load_b64 s[10:11], s[10:11], 0x0
	v_add_co_u32 v7, vcc_lo, s7, v7
	v_add_co_ci_u32_e32 v8, vcc_lo, s8, v8, vcc_lo
	global_load_b32 v4, v[7:8], off
	v_max_f32_e32 v7, v0, v0
	s_waitcnt lgkmcnt(0)
	v_max_f32_e64 v8, s10, s10
	s_delay_alu instid0(VALU_DEP_1) | instskip(NEXT) | instid1(VALU_DEP_1)
	v_max_f32_e32 v7, v7, v8
	v_sub_f32_e32 v8, s10, v7
	s_delay_alu instid0(VALU_DEP_1) | instskip(NEXT) | instid1(VALU_DEP_1)
	v_dual_sub_f32 v0, v0, v7 :: v_dual_mul_f32 v9, 0x3fb8aa3b, v8
	v_fma_f32 v10, 0x3fb8aa3b, v8, -v9
	v_rndne_f32_e32 v11, v9
	s_delay_alu instid0(VALU_DEP_3) | instskip(NEXT) | instid1(VALU_DEP_2)
	v_mul_f32_e32 v12, 0x3fb8aa3b, v0
	v_dual_fmac_f32 v10, 0x32a5705f, v8 :: v_dual_sub_f32 v9, v9, v11
	v_cvt_i32_f32_e32 v11, v11
	s_delay_alu instid0(VALU_DEP_3) | instskip(SKIP_1) | instid1(VALU_DEP_4)
	v_fma_f32 v13, 0x3fb8aa3b, v0, -v12
	v_rndne_f32_e32 v14, v12
	v_add_f32_e32 v9, v9, v10
	v_cmp_ngt_f32_e32 vcc_lo, 0xc2ce8ed0, v8
	s_delay_alu instid0(VALU_DEP_3) | instskip(NEXT) | instid1(VALU_DEP_3)
	v_sub_f32_e32 v10, v12, v14
	v_exp_f32_e32 v9, v9
	s_waitcnt_depctr 0xfff
	v_ldexp_f32 v9, v9, v11
	v_cvt_i32_f32_e32 v11, v14
	s_delay_alu instid0(VALU_DEP_2) | instskip(SKIP_1) | instid1(VALU_DEP_2)
	v_cndmask_b32_e32 v9, 0, v9, vcc_lo
	v_cmp_nlt_f32_e32 vcc_lo, 0x42b17218, v8
	v_cndmask_b32_e32 v9, 0x7f800000, v9, vcc_lo
	v_cmp_ngt_f32_e32 vcc_lo, 0xc2ce8ed0, v0
	v_fmac_f32_e32 v13, 0x32a5705f, v0
	s_delay_alu instid0(VALU_DEP_1) | instskip(NEXT) | instid1(VALU_DEP_1)
	v_add_f32_e32 v10, v10, v13
	v_exp_f32_e32 v10, v10
	s_waitcnt_depctr 0xfff
	v_ldexp_f32 v10, v10, v11
	s_delay_alu instid0(VALU_DEP_1)
	v_dual_mov_b32 v11, v6 :: v_dual_cndmask_b32 v10, 0, v10
	v_cmp_le_f32_e32 vcc_lo, 0xc1a00000, v8
	s_waitcnt vmcnt(1)
	v_dual_cndmask_b32 v8, 0, v9 :: v_dual_mov_b32 v9, v5
	v_cmp_nlt_f32_e32 vcc_lo, 0x42b17218, v0
	v_cndmask_b32_e32 v5, 0x7f800000, v10, vcc_lo
	s_delay_alu instid0(VALU_DEP_3) | instskip(SKIP_2) | instid1(VALU_DEP_3)
	v_mul_f32_e32 v10, s11, v8
	v_cmp_le_f32_e32 vcc_lo, 0xc1a00000, v0
	v_mov_b32_e32 v0, v7
	v_mov_b32_e32 v6, v10
	s_waitcnt vmcnt(0)
	v_dual_cndmask_b32 v12, 0, v5 :: v_dual_mul_f32 v5, v4, v8
	s_delay_alu instid0(VALU_DEP_1) | instskip(NEXT) | instid1(VALU_DEP_2)
	v_dual_fmac_f32 v6, v11, v12 :: v_dual_add_nc_u32 v3, 0xffffc000, v3
	v_fmac_f32_e32 v5, v9, v12
	s_cbranch_scc0 .LBB11_3
	s_branch .LBB11_5
.LBB11_4:
	s_waitcnt lgkmcnt(0)
	v_mov_b32_e32 v6, s11
.LBB11_5:
	s_waitcnt vmcnt(0)
	s_delay_alu instid0(VALU_DEP_1) | instskip(NEXT) | instid1(VALU_DEP_1)
	v_div_scale_f32 v0, null, v6, v6, v5
	v_rcp_f32_e32 v3, v0
	s_waitcnt_depctr 0xfff
	v_fma_f32 v4, -v0, v3, 1.0
	s_delay_alu instid0(VALU_DEP_1) | instskip(SKIP_1) | instid1(VALU_DEP_1)
	v_fmac_f32_e32 v3, v4, v3
	v_div_scale_f32 v4, vcc_lo, v5, v6, v5
	v_mul_f32_e32 v7, v4, v3
	s_delay_alu instid0(VALU_DEP_1) | instskip(NEXT) | instid1(VALU_DEP_1)
	v_fma_f32 v8, -v0, v7, v4
	v_fmac_f32_e32 v7, v8, v3
	s_delay_alu instid0(VALU_DEP_1) | instskip(NEXT) | instid1(VALU_DEP_1)
	v_fma_f32 v0, -v0, v7, v4
	v_div_fmas_f32 v0, v0, v3, v7
	s_delay_alu instid0(VALU_DEP_1)
	v_div_fixup_f32 v0, v0, v6, v5
	global_store_b32 v[1:2], v0, off
.LBB11_6:
	s_nop 0
	s_sendmsg sendmsg(MSG_DEALLOC_VGPRS)
	s_endpgm
	.section	.rodata,"a",@progbits
	.p2align	6, 0x0
	.amdhsa_kernel _ZL33flash_attn_stream_k_fixup_uniformILi512ELi8ELi4EEvPfPK15HIP_vector_typeIfLj2EEiiiiiiS1_IjLj3EES5_S5_
		.amdhsa_group_segment_fixed_size 0
		.amdhsa_private_segment_fixed_size 0
		.amdhsa_kernarg_size 76
		.amdhsa_user_sgpr_count 13
		.amdhsa_user_sgpr_dispatch_ptr 0
		.amdhsa_user_sgpr_queue_ptr 0
		.amdhsa_user_sgpr_kernarg_segment_ptr 1
		.amdhsa_user_sgpr_dispatch_id 0
		.amdhsa_user_sgpr_private_segment_size 0
		.amdhsa_wavefront_size32 1
		.amdhsa_uses_dynamic_stack 0
		.amdhsa_enable_private_segment 0
		.amdhsa_system_sgpr_workgroup_id_x 1
		.amdhsa_system_sgpr_workgroup_id_y 1
		.amdhsa_system_sgpr_workgroup_id_z 1
		.amdhsa_system_sgpr_workgroup_info 0
		.amdhsa_system_vgpr_workitem_id 0
		.amdhsa_next_free_vgpr 15
		.amdhsa_next_free_sgpr 20
		.amdhsa_reserve_vcc 1
		.amdhsa_float_round_mode_32 0
		.amdhsa_float_round_mode_16_64 0
		.amdhsa_float_denorm_mode_32 3
		.amdhsa_float_denorm_mode_16_64 3
		.amdhsa_dx10_clamp 1
		.amdhsa_ieee_mode 1
		.amdhsa_fp16_overflow 0
		.amdhsa_workgroup_processor_mode 1
		.amdhsa_memory_ordered 1
		.amdhsa_forward_progress 0
		.amdhsa_shared_vgpr_count 0
		.amdhsa_exception_fp_ieee_invalid_op 0
		.amdhsa_exception_fp_denorm_src 0
		.amdhsa_exception_fp_ieee_div_zero 0
		.amdhsa_exception_fp_ieee_overflow 0
		.amdhsa_exception_fp_ieee_underflow 0
		.amdhsa_exception_fp_ieee_inexact 0
		.amdhsa_exception_int_div_zero 0
	.end_amdhsa_kernel
	.section	.text._ZL33flash_attn_stream_k_fixup_uniformILi512ELi8ELi4EEvPfPK15HIP_vector_typeIfLj2EEiiiiiiS1_IjLj3EES5_S5_,"axG",@progbits,_ZL33flash_attn_stream_k_fixup_uniformILi512ELi8ELi4EEvPfPK15HIP_vector_typeIfLj2EEiiiiiiS1_IjLj3EES5_S5_,comdat
.Lfunc_end11:
	.size	_ZL33flash_attn_stream_k_fixup_uniformILi512ELi8ELi4EEvPfPK15HIP_vector_typeIfLj2EEiiiiiiS1_IjLj3EES5_S5_, .Lfunc_end11-_ZL33flash_attn_stream_k_fixup_uniformILi512ELi8ELi4EEvPfPK15HIP_vector_typeIfLj2EEiiiiiiS1_IjLj3EES5_S5_
                                        ; -- End function
	.section	.AMDGPU.csdata,"",@progbits
; Kernel info:
; codeLenInByte = 996
; NumSgprs: 22
; NumVgprs: 15
; ScratchSize: 0
; MemoryBound: 0
; FloatMode: 240
; IeeeMode: 1
; LDSByteSize: 0 bytes/workgroup (compile time only)
; SGPRBlocks: 2
; VGPRBlocks: 1
; NumSGPRsForWavesPerEU: 22
; NumVGPRsForWavesPerEU: 15
; Occupancy: 16
; WaveLimiterHint : 0
; COMPUTE_PGM_RSRC2:SCRATCH_EN: 0
; COMPUTE_PGM_RSRC2:USER_SGPR: 13
; COMPUTE_PGM_RSRC2:TRAP_HANDLER: 0
; COMPUTE_PGM_RSRC2:TGID_X_EN: 1
; COMPUTE_PGM_RSRC2:TGID_Y_EN: 1
; COMPUTE_PGM_RSRC2:TGID_Z_EN: 1
; COMPUTE_PGM_RSRC2:TIDIG_COMP_CNT: 0
	.section	.text._ZL33flash_attn_stream_k_fixup_generalILi512ELi8ELi4EEvPfPK15HIP_vector_typeIfLj2EEiiiiS1_IjLj3EES5_S5_S5_,"axG",@progbits,_ZL33flash_attn_stream_k_fixup_generalILi512ELi8ELi4EEvPfPK15HIP_vector_typeIfLj2EEiiiiS1_IjLj3EES5_S5_S5_,comdat
	.globl	_ZL33flash_attn_stream_k_fixup_generalILi512ELi8ELi4EEvPfPK15HIP_vector_typeIfLj2EEiiiiS1_IjLj3EES5_S5_S5_ ; -- Begin function _ZL33flash_attn_stream_k_fixup_generalILi512ELi8ELi4EEvPfPK15HIP_vector_typeIfLj2EEiiiiS1_IjLj3EES5_S5_S5_
	.p2align	8
	.type	_ZL33flash_attn_stream_k_fixup_generalILi512ELi8ELi4EEvPfPK15HIP_vector_typeIfLj2EEiiiiS1_IjLj3EES5_S5_S5_,@function
_ZL33flash_attn_stream_k_fixup_generalILi512ELi8ELi4EEvPfPK15HIP_vector_typeIfLj2EEiiiiS1_IjLj3EES5_S5_S5_: ; @_ZL33flash_attn_stream_k_fixup_generalILi512ELi8ELi4EEvPfPK15HIP_vector_typeIfLj2EEiiiiS1_IjLj3EES5_S5_S5_
; %bb.0:
	s_clause 0x1
	s_load_b128 s[4:7], s[0:1], 0x10
	s_load_b32 s20, s[0:1], 0x50
	s_mov_b32 s2, 0
	s_waitcnt lgkmcnt(0)
	s_mul_hi_i32 s3, s7, s13
	s_mul_i32 s12, s7, s13
	s_cmp_lg_u64 s[2:3], 0
	s_cbranch_scc0 .LBB12_21
; %bb.1:
	v_cvt_f32_ubyte0_e32 v1, 0
	v_cvt_f32_u32_e32 v2, s20
	s_sub_u32 s10, 0, s20
	s_subb_u32 s11, 0, 0
	s_delay_alu instid0(VALU_DEP_1) | instskip(NEXT) | instid1(VALU_DEP_1)
	v_fmamk_f32 v1, v1, 0x4f800000, v2
	v_rcp_f32_e32 v1, v1
	s_waitcnt_depctr 0xfff
	v_mul_f32_e32 v1, 0x5f7ffffc, v1
	s_delay_alu instid0(VALU_DEP_1) | instskip(NEXT) | instid1(VALU_DEP_1)
	v_mul_f32_e32 v2, 0x2f800000, v1
	v_trunc_f32_e32 v2, v2
	s_delay_alu instid0(VALU_DEP_1) | instskip(SKIP_1) | instid1(VALU_DEP_2)
	v_fmamk_f32 v1, v2, 0xcf800000, v1
	v_cvt_u32_f32_e32 v2, v2
	v_cvt_u32_f32_e32 v1, v1
	s_delay_alu instid0(VALU_DEP_2) | instskip(NEXT) | instid1(VALU_DEP_2)
	v_readfirstlane_b32 s8, v2
	v_readfirstlane_b32 s9, v1
	s_delay_alu instid0(VALU_DEP_2) | instskip(NEXT) | instid1(VALU_DEP_1)
	s_mul_i32 s16, s10, s8
	s_mul_hi_u32 s18, s10, s9
	s_mul_i32 s17, s11, s9
	s_add_i32 s16, s18, s16
	s_mul_i32 s19, s10, s9
	s_add_i32 s16, s16, s17
	s_mul_hi_u32 s18, s9, s19
	s_mul_hi_u32 s21, s8, s19
	s_mul_i32 s17, s8, s19
	s_mul_hi_u32 s19, s9, s16
	s_mul_i32 s9, s9, s16
	s_mul_hi_u32 s22, s8, s16
	s_add_u32 s9, s18, s9
	s_addc_u32 s18, 0, s19
	s_add_u32 s9, s9, s17
	s_mul_i32 s16, s8, s16
	s_addc_u32 s9, s18, s21
	s_addc_u32 s17, s22, 0
	s_add_u32 s9, s9, s16
	s_addc_u32 s16, 0, s17
	v_add_co_u32 v1, s9, v1, s9
	s_delay_alu instid0(VALU_DEP_1) | instskip(SKIP_1) | instid1(VALU_DEP_1)
	s_cmp_lg_u32 s9, 0
	s_addc_u32 s8, s8, s16
	v_readfirstlane_b32 s9, v1
	s_mul_i32 s16, s10, s8
	s_delay_alu instid0(VALU_DEP_1)
	s_mul_hi_u32 s17, s10, s9
	s_mul_i32 s11, s11, s9
	s_add_i32 s16, s17, s16
	s_mul_i32 s10, s10, s9
	s_add_i32 s16, s16, s11
	s_mul_hi_u32 s17, s8, s10
	s_mul_i32 s18, s8, s10
	s_mul_hi_u32 s10, s9, s10
	s_mul_hi_u32 s19, s9, s16
	s_mul_i32 s9, s9, s16
	s_mul_hi_u32 s11, s8, s16
	s_add_u32 s9, s10, s9
	s_addc_u32 s10, 0, s19
	s_add_u32 s9, s9, s18
	s_mul_i32 s16, s8, s16
	s_addc_u32 s9, s10, s17
	s_addc_u32 s10, s11, 0
	s_add_u32 s9, s9, s16
	s_addc_u32 s10, 0, s10
	v_add_co_u32 v1, s9, v1, s9
	s_delay_alu instid0(VALU_DEP_1) | instskip(SKIP_2) | instid1(SALU_CYCLE_1)
	s_cmp_lg_u32 s9, 0
	s_addc_u32 s16, s8, s10
	s_ashr_i32 s8, s3, 31
	s_add_u32 s10, s12, s8
	s_addc_u32 s11, s3, s8
	v_readfirstlane_b32 s3, v1
	s_mov_b32 s9, s8
	s_delay_alu instid0(SALU_CYCLE_1) | instskip(NEXT) | instid1(SALU_CYCLE_1)
	s_xor_b64 s[10:11], s[10:11], s[8:9]
	s_mul_i32 s18, s10, s16
	s_delay_alu instid0(VALU_DEP_1)
	s_mul_hi_u32 s19, s10, s3
	s_mul_hi_u32 s17, s10, s16
	;; [unrolled: 1-line block ×3, first 2 shown]
	s_mul_i32 s3, s11, s3
	s_add_u32 s18, s19, s18
	s_addc_u32 s17, 0, s17
	s_mul_hi_u32 s21, s11, s16
	s_add_u32 s3, s18, s3
	s_mul_i32 s16, s11, s16
	s_addc_u32 s3, s17, s22
	s_addc_u32 s17, s21, 0
	s_add_u32 s3, s3, s16
	s_addc_u32 s16, 0, s17
	s_mul_i32 s18, s20, s3
	s_add_u32 s17, s3, 1
	v_sub_co_u32 v1, s10, s10, s18
	s_mul_hi_u32 s18, s20, s3
	s_addc_u32 s19, s16, 0
	s_mul_i32 s21, s20, s16
	s_delay_alu instid0(VALU_DEP_1)
	v_sub_co_u32 v2, s22, v1, s20
	s_add_u32 s23, s3, 2
	s_addc_u32 s24, s16, 0
	s_add_i32 s18, s18, s21
	s_cmp_lg_u32 s10, 0
	v_readfirstlane_b32 s10, v2
	s_subb_u32 s11, s11, s18
	s_cmp_lg_u32 s22, 0
	s_subb_u32 s18, s11, 0
	s_delay_alu instid0(VALU_DEP_1) | instskip(SKIP_4) | instid1(SALU_CYCLE_1)
	s_cmp_ge_u32 s10, s20
	s_cselect_b32 s10, -1, 0
	s_cmp_eq_u32 s18, 0
	v_readfirstlane_b32 s18, v1
	s_cselect_b32 s10, s10, -1
	s_cmp_lg_u32 s10, 0
	s_cselect_b32 s10, s23, s17
	s_cselect_b32 s17, s24, s19
	s_cmp_ge_u32 s18, s20
	s_cselect_b32 s18, -1, 0
	s_cmp_eq_u32 s11, 0
	s_cselect_b32 s11, s18, -1
	s_delay_alu instid0(SALU_CYCLE_1) | instskip(SKIP_2) | instid1(SALU_CYCLE_1)
	s_cmp_lg_u32 s11, 0
	s_cselect_b32 s11, s17, s16
	s_cselect_b32 s10, s10, s3
	s_xor_b64 s[10:11], s[10:11], s[8:9]
	s_delay_alu instid0(SALU_CYCLE_1)
	s_sub_u32 s16, s10, s8
	s_load_b128 s[8:11], s[0:1], 0x44
	s_and_not1_b32 vcc_lo, exec_lo, s2
	s_cbranch_vccnz .LBB12_3
.LBB12_2:
	v_cvt_f32_u32_e32 v1, s20
	s_sub_i32 s3, 0, s20
	s_delay_alu instid0(VALU_DEP_1) | instskip(SKIP_2) | instid1(VALU_DEP_1)
	v_rcp_iflag_f32_e32 v1, v1
	s_waitcnt_depctr 0xfff
	v_mul_f32_e32 v1, 0x4f7ffffe, v1
	v_cvt_u32_f32_e32 v1, v1
	s_delay_alu instid0(VALU_DEP_1) | instskip(NEXT) | instid1(VALU_DEP_1)
	v_readfirstlane_b32 s2, v1
	s_mul_i32 s3, s3, s2
	s_delay_alu instid0(SALU_CYCLE_1) | instskip(NEXT) | instid1(SALU_CYCLE_1)
	s_mul_hi_u32 s3, s2, s3
	s_add_i32 s2, s2, s3
	s_delay_alu instid0(SALU_CYCLE_1) | instskip(NEXT) | instid1(SALU_CYCLE_1)
	s_mul_hi_u32 s2, s12, s2
	s_mul_i32 s3, s2, s20
	s_waitcnt lgkmcnt(0)
	s_add_i32 s11, s2, 1
	s_sub_i32 s3, s12, s3
	s_delay_alu instid0(SALU_CYCLE_1)
	s_sub_i32 s12, s3, s20
	s_cmp_ge_u32 s3, s20
	s_cselect_b32 s2, s11, s2
	s_cselect_b32 s3, s12, s3
	s_add_i32 s11, s2, 1
	s_cmp_ge_u32 s3, s20
	s_cselect_b32 s16, s11, s2
.LBB12_3:
	s_waitcnt lgkmcnt(0)
	s_add_i32 s11, s13, 1
	s_mov_b32 s2, 0
	s_mul_hi_i32 s3, s7, s11
	s_mul_i32 s11, s7, s11
	s_cmp_lg_u64 s[2:3], 0
	s_cbranch_scc0 .LBB12_22
; %bb.4:
	v_cvt_f32_ubyte0_e32 v1, 0
	v_cvt_f32_u32_e32 v2, s20
	s_sub_u32 s18, 0, s20
	s_subb_u32 s19, 0, 0
	s_delay_alu instid0(VALU_DEP_1) | instskip(NEXT) | instid1(VALU_DEP_1)
	v_fmamk_f32 v1, v1, 0x4f800000, v2
	v_rcp_f32_e32 v1, v1
	s_waitcnt_depctr 0xfff
	v_mul_f32_e32 v1, 0x5f7ffffc, v1
	s_delay_alu instid0(VALU_DEP_1) | instskip(NEXT) | instid1(VALU_DEP_1)
	v_mul_f32_e32 v2, 0x2f800000, v1
	v_trunc_f32_e32 v2, v2
	s_delay_alu instid0(VALU_DEP_1) | instskip(SKIP_1) | instid1(VALU_DEP_2)
	v_fmamk_f32 v1, v2, 0xcf800000, v1
	v_cvt_u32_f32_e32 v2, v2
	v_cvt_u32_f32_e32 v1, v1
	s_delay_alu instid0(VALU_DEP_2) | instskip(NEXT) | instid1(VALU_DEP_2)
	v_readfirstlane_b32 s12, v2
	v_readfirstlane_b32 s17, v1
	s_delay_alu instid0(VALU_DEP_2) | instskip(NEXT) | instid1(VALU_DEP_1)
	s_mul_i32 s21, s18, s12
	s_mul_hi_u32 s23, s18, s17
	s_mul_i32 s22, s19, s17
	s_add_i32 s21, s23, s21
	s_mul_i32 s24, s18, s17
	s_add_i32 s21, s21, s22
	s_mul_hi_u32 s23, s17, s24
	s_mul_hi_u32 s25, s12, s24
	s_mul_i32 s22, s12, s24
	s_mul_hi_u32 s24, s17, s21
	s_mul_i32 s17, s17, s21
	s_mul_hi_u32 s26, s12, s21
	s_add_u32 s17, s23, s17
	s_addc_u32 s23, 0, s24
	s_add_u32 s17, s17, s22
	s_mul_i32 s21, s12, s21
	s_addc_u32 s17, s23, s25
	s_addc_u32 s22, s26, 0
	s_add_u32 s17, s17, s21
	s_addc_u32 s21, 0, s22
	v_add_co_u32 v1, s17, v1, s17
	s_delay_alu instid0(VALU_DEP_1) | instskip(SKIP_1) | instid1(VALU_DEP_1)
	s_cmp_lg_u32 s17, 0
	s_addc_u32 s12, s12, s21
	v_readfirstlane_b32 s17, v1
	s_mul_i32 s21, s18, s12
	s_delay_alu instid0(VALU_DEP_1)
	s_mul_hi_u32 s22, s18, s17
	s_mul_i32 s19, s19, s17
	s_add_i32 s21, s22, s21
	s_mul_i32 s18, s18, s17
	s_add_i32 s21, s21, s19
	s_mul_hi_u32 s22, s12, s18
	s_mul_i32 s23, s12, s18
	s_mul_hi_u32 s18, s17, s18
	s_mul_hi_u32 s24, s17, s21
	s_mul_i32 s17, s17, s21
	s_mul_hi_u32 s19, s12, s21
	s_add_u32 s17, s18, s17
	s_addc_u32 s18, 0, s24
	s_add_u32 s17, s17, s23
	s_mul_i32 s21, s12, s21
	s_addc_u32 s17, s18, s22
	s_addc_u32 s18, s19, 0
	s_add_u32 s17, s17, s21
	s_addc_u32 s18, 0, s18
	v_add_co_u32 v1, s17, v1, s17
	s_delay_alu instid0(VALU_DEP_1) | instskip(SKIP_2) | instid1(SALU_CYCLE_1)
	s_cmp_lg_u32 s17, 0
	s_addc_u32 s12, s12, s18
	s_ashr_i32 s18, s3, 31
	s_add_u32 s22, s11, s18
	s_addc_u32 s23, s3, s18
	v_readfirstlane_b32 s3, v1
	s_mov_b32 s19, s18
	s_delay_alu instid0(SALU_CYCLE_1) | instskip(NEXT) | instid1(SALU_CYCLE_1)
	s_xor_b64 s[22:23], s[22:23], s[18:19]
	s_mul_i32 s21, s22, s12
	s_delay_alu instid0(VALU_DEP_1)
	s_mul_hi_u32 s24, s22, s3
	s_mul_hi_u32 s17, s22, s12
	;; [unrolled: 1-line block ×3, first 2 shown]
	s_mul_i32 s3, s23, s3
	s_add_u32 s21, s24, s21
	s_addc_u32 s17, 0, s17
	s_mul_hi_u32 s25, s23, s12
	s_add_u32 s3, s21, s3
	s_mul_i32 s12, s23, s12
	s_addc_u32 s3, s17, s26
	s_addc_u32 s17, s25, 0
	s_add_u32 s3, s3, s12
	s_addc_u32 s12, 0, s17
	s_mul_i32 s21, s20, s3
	s_add_u32 s17, s3, 1
	v_sub_co_u32 v1, s21, s22, s21
	s_mul_hi_u32 s22, s20, s3
	s_addc_u32 s24, s12, 0
	s_mul_i32 s25, s20, s12
	s_delay_alu instid0(VALU_DEP_1)
	v_sub_co_u32 v2, s26, v1, s20
	s_add_u32 s27, s3, 2
	s_addc_u32 s28, s12, 0
	s_add_i32 s22, s22, s25
	s_cmp_lg_u32 s21, 0
	v_readfirstlane_b32 s21, v2
	s_subb_u32 s22, s23, s22
	s_cmp_lg_u32 s26, 0
	s_subb_u32 s23, s22, 0
	s_delay_alu instid0(VALU_DEP_1) | instskip(SKIP_4) | instid1(SALU_CYCLE_1)
	s_cmp_ge_u32 s21, s20
	s_cselect_b32 s21, -1, 0
	s_cmp_eq_u32 s23, 0
	v_readfirstlane_b32 s23, v1
	s_cselect_b32 s21, s21, -1
	s_cmp_lg_u32 s21, 0
	s_cselect_b32 s17, s27, s17
	s_cselect_b32 s21, s28, s24
	s_cmp_ge_u32 s23, s20
	s_cselect_b32 s23, -1, 0
	s_cmp_eq_u32 s22, 0
	s_cselect_b32 s22, s23, -1
	s_delay_alu instid0(SALU_CYCLE_1) | instskip(SKIP_2) | instid1(SALU_CYCLE_1)
	s_cmp_lg_u32 s22, 0
	s_cselect_b32 s23, s21, s12
	s_cselect_b32 s22, s17, s3
	s_xor_b64 s[22:23], s[22:23], s[18:19]
	s_delay_alu instid0(SALU_CYCLE_1)
	s_sub_u32 s18, s22, s18
	s_and_not1_b32 vcc_lo, exec_lo, s2
	s_cbranch_vccnz .LBB12_6
.LBB12_5:
	v_cvt_f32_u32_e32 v1, s20
	s_sub_i32 s3, 0, s20
	s_delay_alu instid0(VALU_DEP_1) | instskip(SKIP_2) | instid1(VALU_DEP_1)
	v_rcp_iflag_f32_e32 v1, v1
	s_waitcnt_depctr 0xfff
	v_mul_f32_e32 v1, 0x4f7ffffe, v1
	v_cvt_u32_f32_e32 v1, v1
	s_delay_alu instid0(VALU_DEP_1) | instskip(NEXT) | instid1(VALU_DEP_1)
	v_readfirstlane_b32 s2, v1
	s_mul_i32 s3, s3, s2
	s_delay_alu instid0(SALU_CYCLE_1) | instskip(NEXT) | instid1(SALU_CYCLE_1)
	s_mul_hi_u32 s3, s2, s3
	s_add_i32 s2, s2, s3
	s_delay_alu instid0(SALU_CYCLE_1) | instskip(NEXT) | instid1(SALU_CYCLE_1)
	s_mul_hi_u32 s2, s11, s2
	s_mul_i32 s3, s2, s20
	s_delay_alu instid0(SALU_CYCLE_1)
	s_sub_i32 s3, s11, s3
	s_add_i32 s11, s2, 1
	s_sub_i32 s12, s3, s20
	s_cmp_ge_u32 s3, s20
	s_cselect_b32 s2, s11, s2
	s_cselect_b32 s3, s12, s3
	s_add_i32 s11, s2, 1
	s_cmp_ge_u32 s3, s20
	s_cselect_b32 s18, s11, s2
.LBB12_6:
	s_delay_alu instid0(SALU_CYCLE_1) | instskip(SKIP_3) | instid1(SALU_CYCLE_1)
	s_cmp_eq_u32 s16, s18
	s_mul_hi_u32 s2, s16, s8
	s_cselect_b32 s3, -1, 0
	s_add_i32 s2, s2, s16
	s_lshr_b32 s11, s2, s9
	s_delay_alu instid0(SALU_CYCLE_1) | instskip(NEXT) | instid1(SALU_CYCLE_1)
	s_mul_i32 s2, s11, s10
	s_cmp_eq_u32 s2, s16
	s_mul_hi_u32 s2, s18, s8
	s_cselect_b32 s12, -1, 0
	s_add_i32 s2, s2, s18
	s_delay_alu instid0(SALU_CYCLE_1) | instskip(NEXT) | instid1(SALU_CYCLE_1)
	s_lshr_b32 s2, s2, s9
	s_cmp_eq_u32 s11, s2
	s_mul_i32 s2, s2, s10
	s_cselect_b32 s17, -1, 0
	s_cmp_lg_u32 s2, s18
	s_cselect_b32 s2, -1, 0
	s_or_b32 s3, s3, s12
	s_and_b32 s2, s17, s2
	s_delay_alu instid0(SALU_CYCLE_1) | instskip(NEXT) | instid1(SALU_CYCLE_1)
	s_or_b32 s2, s3, s2
	s_and_b32 vcc_lo, exec_lo, s2
	s_cbranch_vccnz .LBB12_24
; %bb.7:
	s_load_b256 s[24:31], s[0:1], 0x20
	s_waitcnt lgkmcnt(0)
	s_mul_hi_u32 s2, s16, s24
	s_delay_alu instid0(SALU_CYCLE_1) | instskip(NEXT) | instid1(SALU_CYCLE_1)
	s_add_i32 s2, s2, s16
	s_lshr_b32 s17, s2, s25
	s_load_b32 s2, s[0:1], 0x40
	s_mul_i32 s3, s17, s26
	s_delay_alu instid0(SALU_CYCLE_1) | instskip(NEXT) | instid1(SALU_CYCLE_1)
	s_sub_i32 s3, s16, s3
	s_mul_hi_u32 s12, s3, s27
	s_delay_alu instid0(SALU_CYCLE_1) | instskip(NEXT) | instid1(SALU_CYCLE_1)
	s_add_i32 s12, s3, s12
	s_lshr_b32 s21, s12, s28
	s_delay_alu instid0(SALU_CYCLE_1) | instskip(NEXT) | instid1(SALU_CYCLE_1)
	s_mul_i32 s12, s21, s29
	s_sub_i32 s3, s3, s12
	s_delay_alu instid0(SALU_CYCLE_1) | instskip(NEXT) | instid1(SALU_CYCLE_1)
	s_mul_hi_u32 s12, s3, s30
	s_add_i32 s12, s3, s12
	s_delay_alu instid0(SALU_CYCLE_1)
	s_lshr_b32 s12, s12, s31
	s_waitcnt lgkmcnt(0)
	s_mul_i32 s2, s12, s2
	s_lshl_b32 s23, s12, 2
	s_sub_i32 s2, s3, s2
	s_mov_b32 s12, 0
	s_mul_hi_u32 s3, s2, s8
	s_delay_alu instid0(SALU_CYCLE_1) | instskip(NEXT) | instid1(SALU_CYCLE_1)
	s_add_i32 s2, s2, s3
	s_lshr_b32 s22, s2, s9
	s_delay_alu instid0(SALU_CYCLE_1) | instskip(NEXT) | instid1(SALU_CYCLE_1)
	s_lshl_b32 s2, s22, 3
	s_add_i32 s2, s2, s14
	s_delay_alu instid0(SALU_CYCLE_1) | instskip(SKIP_2) | instid1(SALU_CYCLE_1)
	s_cmp_lt_i32 s2, s4
	s_cselect_b32 s2, -1, 0
	s_add_i32 s3, s23, s15
	s_cmp_lt_i32 s3, s6
	s_cselect_b32 s3, -1, 0
	s_delay_alu instid0(SALU_CYCLE_1) | instskip(NEXT) | instid1(SALU_CYCLE_1)
	s_and_b32 s2, s2, s3
	s_and_not1_b32 vcc_lo, exec_lo, s2
	s_cbranch_vccnz .LBB12_24
; %bb.8:
	s_load_b128 s[0:3], s[0:1], 0x0
	s_lshl_b32 s18, s20, 7
	s_mov_b32 s19, s12
	s_lshl_b32 s24, s14, 2
	s_lshl_b64 s[18:19], s[18:19], 2
	s_mul_i32 s4, s17, s4
	s_add_i32 s17, s24, s15
	s_mul_i32 s21, s21, s6
	v_cvt_f32_ubyte0_e32 v4, 0
	v_cvt_f32_u32_e32 v5, s20
	s_waitcnt lgkmcnt(0)
	s_add_u32 s18, s2, s18
	s_addc_u32 s19, s3, s19
	s_add_i32 s4, s4, s14
	s_delay_alu instid0(SALU_CYCLE_1) | instskip(SKIP_4) | instid1(SALU_CYCLE_1)
	s_mul_i32 s4, s4, s5
	s_mul_i32 s5, s5, s22
	s_add_i32 s4, s4, s15
	s_lshl_b32 s5, s5, 12
	s_add_i32 s4, s4, s21
	s_add_i32 s4, s4, s23
	s_delay_alu instid0(SALU_CYCLE_1) | instskip(NEXT) | instid1(SALU_CYCLE_1)
	s_lshl_b32 s4, s4, 9
	s_add_i32 s5, s5, s4
	s_delay_alu instid0(SALU_CYCLE_1) | instskip(SKIP_1) | instid1(VALU_DEP_2)
	v_or_b32_e32 v1, s5, v0
	v_lshl_or_b32 v0, s17, 9, v0
	v_ashrrev_i32_e32 v2, 31, v1
	s_delay_alu instid0(VALU_DEP_1) | instskip(NEXT) | instid1(VALU_DEP_1)
	v_lshlrev_b64 v[1:2], 2, v[1:2]
	v_add_co_u32 v1, vcc_lo, s0, v1
	s_delay_alu instid0(VALU_DEP_2) | instskip(SKIP_1) | instid1(SALU_CYCLE_1)
	v_add_co_ci_u32_e32 v2, vcc_lo, s1, v2, vcc_lo
	s_lshl_b32 s0, s13, 5
	s_add_i32 s0, s17, s0
	global_load_b32 v3, v[1:2], off
	s_ashr_i32 s1, s0, 31
	s_delay_alu instid0(SALU_CYCLE_1) | instskip(NEXT) | instid1(SALU_CYCLE_1)
	s_lshl_b64 s[0:1], s[0:1], 3
	s_add_u32 s0, s2, s0
	s_addc_u32 s1, s3, s1
	s_add_i32 s14, s13, -1
	s_load_b64 s[0:1], s[0:1], 0x0
	v_fmac_f32_e32 v5, 0x4f800000, v4
	s_sub_i32 s6, 0, s20
	s_waitcnt lgkmcnt(0)
	v_mov_b32_e32 v8, s0
	s_delay_alu instid0(VALU_DEP_2) | instskip(SKIP_2) | instid1(VALU_DEP_2)
	v_rcp_f32_e32 v4, v5
	v_cvt_f32_u32_e32 v5, s20
	v_mov_b32_e32 v7, s1
	v_rcp_iflag_f32_e32 v5, v5
	s_waitcnt_depctr 0xfff
	v_mul_f32_e32 v4, 0x5f7ffffc, v4
	s_delay_alu instid0(VALU_DEP_1) | instskip(SKIP_1) | instid1(VALU_DEP_2)
	v_mul_f32_e32 v6, 0x2f800000, v4
	v_mul_f32_e32 v9, 0x4f7ffffe, v5
	v_trunc_f32_e32 v6, v6
	s_delay_alu instid0(VALU_DEP_1) | instskip(SKIP_1) | instid1(VALU_DEP_4)
	v_fmac_f32_e32 v4, 0xcf800000, v6
	v_cvt_u32_f32_e32 v5, v6
	v_cvt_u32_f32_e32 v6, v9
	s_delay_alu instid0(VALU_DEP_3)
	v_cvt_u32_f32_e32 v4, v4
.LBB12_9:                               ; =>This Inner Loop Header: Depth=1
	s_mul_hi_i32 s13, s14, s7
	s_mul_i32 s4, s14, s7
	s_cmp_lg_u64 s[12:13], 0
	s_mov_b32 s5, -1
                                        ; implicit-def: $sgpr0_sgpr1
	s_cbranch_scc0 .LBB12_11
; %bb.10:                               ;   in Loop: Header=BB12_9 Depth=1
	v_readfirstlane_b32 s0, v4
	v_readfirstlane_b32 s1, v5
	s_sub_u32 s5, 0, s20
	s_subb_u32 s15, 0, 0
	s_delay_alu instid0(VALU_DEP_2) | instskip(NEXT) | instid1(VALU_DEP_1)
	s_mul_hi_u32 s21, s5, s0
	s_mul_i32 s22, s5, s1
	s_mul_i32 s23, s15, s0
	s_add_i32 s21, s21, s22
	s_mul_i32 s22, s5, s0
	s_add_i32 s21, s21, s23
	s_mul_hi_u32 s23, s0, s22
	s_mul_i32 s24, s0, s21
	s_mul_hi_u32 s0, s0, s21
	s_add_u32 s23, s23, s24
	s_mul_i32 s25, s1, s22
	s_addc_u32 s0, 0, s0
	s_mul_hi_u32 s22, s1, s22
	s_mul_hi_u32 s24, s1, s21
	s_add_u32 s23, s23, s25
	s_addc_u32 s0, s0, s22
	s_mul_i32 s21, s1, s21
	s_addc_u32 s22, s24, 0
	s_add_u32 s0, s0, s21
	s_addc_u32 s21, 0, s22
	v_add_co_u32 v9, s0, v4, s0
	s_delay_alu instid0(VALU_DEP_1) | instskip(SKIP_1) | instid1(VALU_DEP_1)
	s_cmp_lg_u32 s0, 0
	s_addc_u32 s1, s1, s21
	v_readfirstlane_b32 s0, v9
	s_mul_i32 s21, s5, s1
	s_delay_alu instid0(VALU_DEP_1)
	s_mul_hi_u32 s22, s5, s0
	s_mul_i32 s15, s15, s0
	s_add_i32 s21, s22, s21
	s_mul_i32 s5, s5, s0
	s_add_i32 s21, s21, s15
	s_mul_hi_u32 s15, s1, s5
	s_mul_i32 s23, s1, s5
	s_mul_i32 s24, s0, s21
	s_mul_hi_u32 s5, s0, s5
	s_mul_hi_u32 s0, s0, s21
	s_add_u32 s5, s5, s24
	s_addc_u32 s0, 0, s0
	s_mul_hi_u32 s22, s1, s21
	s_add_u32 s5, s5, s23
	s_addc_u32 s0, s0, s15
	s_mul_i32 s5, s1, s21
	s_addc_u32 s15, s22, 0
	s_add_u32 s0, s0, s5
	s_addc_u32 s5, 0, s15
	v_add_co_u32 v9, s0, v9, s0
	s_delay_alu instid0(VALU_DEP_1) | instskip(SKIP_2) | instid1(SALU_CYCLE_1)
	s_cmp_lg_u32 s0, 0
	s_addc_u32 s5, s1, s5
	s_ashr_i32 s0, s13, 31
	s_add_u32 s22, s4, s0
	s_addc_u32 s23, s13, s0
	v_readfirstlane_b32 s13, v9
	s_mov_b32 s1, s0
	s_delay_alu instid0(SALU_CYCLE_1) | instskip(NEXT) | instid1(SALU_CYCLE_1)
	s_xor_b64 s[22:23], s[22:23], s[0:1]
	s_mul_i32 s15, s22, s5
	s_delay_alu instid0(VALU_DEP_1)
	s_mul_hi_u32 s21, s22, s13
	s_mul_hi_u32 s24, s22, s5
	s_add_u32 s15, s21, s15
	s_mul_i32 s25, s23, s13
	s_addc_u32 s21, 0, s24
	s_mul_hi_u32 s13, s23, s13
	s_mul_hi_u32 s24, s23, s5
	s_add_u32 s15, s15, s25
	s_addc_u32 s13, s21, s13
	s_mul_i32 s5, s23, s5
	s_addc_u32 s15, s24, 0
	s_add_u32 s5, s13, s5
	s_addc_u32 s13, 0, s15
	s_mul_i32 s21, s20, s5
	s_add_u32 s15, s5, 1
	v_sub_co_u32 v9, s21, s22, s21
	s_addc_u32 s22, s13, 0
	s_mul_i32 s25, s20, s13
	s_mul_hi_u32 s27, s20, s5
	s_delay_alu instid0(VALU_DEP_1)
	v_sub_co_u32 v10, s26, v9, s20
	s_add_u32 s24, s5, 2
	s_addc_u32 s28, s13, 0
	s_add_i32 s27, s27, s25
	s_cmp_lg_u32 s21, 0
	v_readfirstlane_b32 s21, v10
	s_subb_u32 s23, s23, s27
	s_cmp_lg_u32 s26, 0
	s_subb_u32 s25, s23, 0
	s_delay_alu instid0(VALU_DEP_1) | instskip(SKIP_4) | instid1(SALU_CYCLE_1)
	s_cmp_ge_u32 s21, s20
	s_cselect_b32 s21, -1, 0
	s_cmp_eq_u32 s25, 0
	v_readfirstlane_b32 s25, v9
	s_cselect_b32 s21, s21, -1
	s_cmp_lg_u32 s21, 0
	s_cselect_b32 s15, s24, s15
	s_cselect_b32 s21, s28, s22
	s_cmp_ge_u32 s25, s20
	s_cselect_b32 s22, -1, 0
	s_cmp_eq_u32 s23, 0
	s_cselect_b32 s22, s22, -1
	s_delay_alu instid0(SALU_CYCLE_1) | instskip(SKIP_4) | instid1(SALU_CYCLE_1)
	s_cmp_lg_u32 s22, 0
	s_cselect_b32 s23, s21, s13
	s_cselect_b32 s22, s15, s5
	s_mov_b32 s5, 0
	s_xor_b64 s[22:23], s[22:23], s[0:1]
	s_sub_u32 s0, s22, s0
.LBB12_11:                              ;   in Loop: Header=BB12_9 Depth=1
	s_and_not1_b32 vcc_lo, exec_lo, s5
	s_cbranch_vccnz .LBB12_13
; %bb.12:                               ;   in Loop: Header=BB12_9 Depth=1
	v_readfirstlane_b32 s0, v6
	s_delay_alu instid0(VALU_DEP_1) | instskip(NEXT) | instid1(SALU_CYCLE_1)
	s_mul_i32 s1, s6, s0
	s_mul_hi_u32 s1, s0, s1
	s_delay_alu instid0(SALU_CYCLE_1) | instskip(NEXT) | instid1(SALU_CYCLE_1)
	s_add_i32 s0, s0, s1
	s_mul_hi_u32 s0, s4, s0
	s_delay_alu instid0(SALU_CYCLE_1) | instskip(NEXT) | instid1(SALU_CYCLE_1)
	s_mul_i32 s1, s0, s20
	s_sub_i32 s1, s4, s1
	s_add_i32 s4, s0, 1
	s_sub_i32 s5, s1, s20
	s_cmp_ge_u32 s1, s20
	s_cselect_b32 s0, s4, s0
	s_cselect_b32 s1, s5, s1
	s_add_i32 s4, s0, 1
	s_cmp_ge_u32 s1, s20
	s_cselect_b32 s0, s4, s0
.LBB12_13:                              ;   in Loop: Header=BB12_9 Depth=1
	s_delay_alu instid0(SALU_CYCLE_1)
	s_cmp_lg_u32 s16, s0
	s_cbranch_scc0 .LBB12_17
; %bb.14:                               ;   in Loop: Header=BB12_9 Depth=1
	s_add_i32 s1, s14, s20
	s_mov_b32 s5, s12
	s_lshl_b32 s1, s1, 5
	s_mov_b32 s15, s16
	s_add_i32 s4, s1, s17
	s_mul_hi_u32 s1, s0, s8
	s_lshl_b64 s[4:5], s[4:5], 3
	s_delay_alu instid0(SALU_CYCLE_1) | instskip(SKIP_2) | instid1(SALU_CYCLE_1)
	s_add_u32 s4, s2, s4
	s_addc_u32 s5, s3, s5
	s_add_i32 s1, s1, s0
	s_lshr_b32 s1, s1, s9
	s_delay_alu instid0(SALU_CYCLE_1) | instskip(NEXT) | instid1(SALU_CYCLE_1)
	s_mul_i32 s13, s1, s10
	s_cmp_eq_u32 s13, s0
	s_cselect_b32 s13, -1, 0
	s_cmp_lt_u32 s1, s11
	s_cselect_b32 s1, -1, 0
	s_delay_alu instid0(SALU_CYCLE_1)
	s_or_b32 s1, s1, s13
	s_mov_b32 s13, -1
	s_and_b32 vcc_lo, exec_lo, s1
	s_mov_b32 s1, s14
	s_cbranch_vccnz .LBB12_16
; %bb.15:                               ;   in Loop: Header=BB12_9 Depth=1
	s_add_i32 s1, s14, -1
	s_mov_b32 s13, 0
	s_mov_b32 s15, s0
.LBB12_16:                              ;   in Loop: Header=BB12_9 Depth=1
	v_lshl_add_u32 v9, s14, 14, v0
	s_load_b64 s[4:5], s[4:5], 0x0
	s_delay_alu instid0(VALU_DEP_1) | instskip(NEXT) | instid1(VALU_DEP_1)
	v_ashrrev_i32_e32 v10, 31, v9
	v_lshlrev_b64 v[9:10], 2, v[9:10]
	s_delay_alu instid0(VALU_DEP_1) | instskip(NEXT) | instid1(VALU_DEP_2)
	v_add_co_u32 v9, vcc_lo, s18, v9
	v_add_co_ci_u32_e32 v10, vcc_lo, s19, v10, vcc_lo
	s_waitcnt lgkmcnt(0)
	v_max_f32_e64 v11, s4, s4
	global_load_b32 v10, v[9:10], off
	v_max_f32_e32 v9, v8, v8
	s_delay_alu instid0(VALU_DEP_1) | instskip(NEXT) | instid1(VALU_DEP_1)
	v_max_f32_e32 v9, v9, v11
	v_sub_f32_e32 v12, v8, v9
	s_delay_alu instid0(VALU_DEP_1) | instskip(NEXT) | instid1(VALU_DEP_1)
	v_dual_mul_f32 v14, 0x3fb8aa3b, v12 :: v_dual_sub_f32 v11, s4, v9
	v_rndne_f32_e32 v18, v14
	s_delay_alu instid0(VALU_DEP_2) | instskip(SKIP_2) | instid1(VALU_DEP_4)
	v_mul_f32_e32 v13, 0x3fb8aa3b, v11
	v_fma_f32 v17, 0x3fb8aa3b, v12, -v14
	v_cmp_ngt_f32_e32 vcc_lo, 0xc2ce8ed0, v11
	v_sub_f32_e32 v14, v14, v18
	s_delay_alu instid0(VALU_DEP_4) | instskip(SKIP_2) | instid1(VALU_DEP_3)
	v_fma_f32 v15, 0x3fb8aa3b, v11, -v13
	v_rndne_f32_e32 v16, v13
	v_fmac_f32_e32 v17, 0x32a5705f, v12
	v_fmac_f32_e32 v15, 0x32a5705f, v11
	s_delay_alu instid0(VALU_DEP_2) | instskip(NEXT) | instid1(VALU_DEP_1)
	v_dual_sub_f32 v13, v13, v16 :: v_dual_add_f32 v14, v14, v17
	v_add_f32_e32 v13, v13, v15
	s_delay_alu instid0(VALU_DEP_2) | instskip(SKIP_2) | instid1(VALU_DEP_3)
	v_exp_f32_e32 v14, v14
	v_cvt_i32_f32_e32 v15, v16
	v_cvt_i32_f32_e32 v16, v18
	v_exp_f32_e32 v13, v13
	s_waitcnt_depctr 0xfff
	v_ldexp_f32 v14, v14, v16
	v_ldexp_f32 v13, v13, v15
	s_delay_alu instid0(VALU_DEP_1) | instskip(SKIP_1) | instid1(VALU_DEP_4)
	v_cndmask_b32_e32 v13, 0, v13, vcc_lo
	v_cmp_ngt_f32_e32 vcc_lo, 0xc2ce8ed0, v12
	v_cndmask_b32_e32 v14, 0, v14, vcc_lo
	v_cmp_nlt_f32_e32 vcc_lo, 0x42b17218, v11
	s_delay_alu instid0(VALU_DEP_4) | instskip(SKIP_1) | instid1(VALU_DEP_4)
	v_cndmask_b32_e32 v13, 0x7f800000, v13, vcc_lo
	v_cmp_nlt_f32_e32 vcc_lo, 0x42b17218, v12
	v_cndmask_b32_e32 v14, 0x7f800000, v14, vcc_lo
	v_cmp_le_f32_e32 vcc_lo, 0xc1a00000, v11
	s_delay_alu instid0(VALU_DEP_4) | instskip(SKIP_1) | instid1(VALU_DEP_4)
	v_cndmask_b32_e32 v11, 0, v13, vcc_lo
	v_cmp_le_f32_e32 vcc_lo, 0xc1a00000, v12
	v_cndmask_b32_e32 v12, 0, v14, vcc_lo
	s_waitcnt vmcnt(0)
	s_delay_alu instid0(VALU_DEP_3) | instskip(NEXT) | instid1(VALU_DEP_1)
	v_mul_f32_e32 v10, v10, v11
	v_dual_mul_f32 v11, s5, v11 :: v_dual_fmac_f32 v10, v3, v12
	s_delay_alu instid0(VALU_DEP_1)
	v_fmac_f32_e32 v11, v7, v12
	s_cbranch_execz .LBB12_18
	s_branch .LBB12_19
.LBB12_17:                              ;   in Loop: Header=BB12_9 Depth=1
                                        ; implicit-def: $sgpr13
                                        ; implicit-def: $vgpr10
                                        ; implicit-def: $vgpr9
                                        ; implicit-def: $vgpr11
                                        ; implicit-def: $sgpr1
                                        ; implicit-def: $sgpr15
.LBB12_18:                              ;   in Loop: Header=BB12_9 Depth=1
	v_mov_b32_e32 v11, v7
	s_waitcnt vmcnt(0)
	v_dual_mov_b32 v9, v8 :: v_dual_mov_b32 v10, v3
	s_add_i32 s1, s14, -1
	s_mov_b32 s13, 0
	s_mov_b32 s15, s16
.LBB12_19:                              ;   in Loop: Header=BB12_9 Depth=1
	s_and_not1_b32 vcc_lo, exec_lo, s13
	s_cbranch_vccz .LBB12_23
; %bb.20:                               ;   in Loop: Header=BB12_9 Depth=1
	v_dual_mov_b32 v7, v11 :: v_dual_mov_b32 v8, v9
	s_waitcnt vmcnt(0)
	v_mov_b32_e32 v3, v10
	s_mov_b32 s16, s15
	s_mov_b32 s14, s1
	s_branch .LBB12_9
.LBB12_21:
                                        ; implicit-def: $sgpr16_sgpr17
	s_load_b128 s[8:11], s[0:1], 0x44
	s_branch .LBB12_2
.LBB12_22:
                                        ; implicit-def: $sgpr18_sgpr19
	s_branch .LBB12_5
.LBB12_23:
	v_div_scale_f32 v0, null, v11, v11, v10
	s_waitcnt vmcnt(0)
	s_delay_alu instid0(VALU_DEP_1) | instskip(SKIP_2) | instid1(VALU_DEP_1)
	v_rcp_f32_e32 v3, v0
	s_waitcnt_depctr 0xfff
	v_fma_f32 v4, -v0, v3, 1.0
	v_fmac_f32_e32 v3, v4, v3
	v_div_scale_f32 v4, vcc_lo, v10, v11, v10
	s_delay_alu instid0(VALU_DEP_1) | instskip(NEXT) | instid1(VALU_DEP_1)
	v_mul_f32_e32 v5, v4, v3
	v_fma_f32 v6, -v0, v5, v4
	s_delay_alu instid0(VALU_DEP_1) | instskip(NEXT) | instid1(VALU_DEP_1)
	v_fmac_f32_e32 v5, v6, v3
	v_fma_f32 v0, -v0, v5, v4
	s_delay_alu instid0(VALU_DEP_1) | instskip(NEXT) | instid1(VALU_DEP_1)
	v_div_fmas_f32 v0, v0, v3, v5
	v_div_fixup_f32 v0, v0, v11, v10
	global_store_b32 v[1:2], v0, off
.LBB12_24:
	s_nop 0
	s_sendmsg sendmsg(MSG_DEALLOC_VGPRS)
	s_endpgm
	.section	.rodata,"a",@progbits
	.p2align	6, 0x0
	.amdhsa_kernel _ZL33flash_attn_stream_k_fixup_generalILi512ELi8ELi4EEvPfPK15HIP_vector_typeIfLj2EEiiiiS1_IjLj3EES5_S5_S5_
		.amdhsa_group_segment_fixed_size 0
		.amdhsa_private_segment_fixed_size 0
		.amdhsa_kernarg_size 336
		.amdhsa_user_sgpr_count 13
		.amdhsa_user_sgpr_dispatch_ptr 0
		.amdhsa_user_sgpr_queue_ptr 0
		.amdhsa_user_sgpr_kernarg_segment_ptr 1
		.amdhsa_user_sgpr_dispatch_id 0
		.amdhsa_user_sgpr_private_segment_size 0
		.amdhsa_wavefront_size32 1
		.amdhsa_uses_dynamic_stack 0
		.amdhsa_enable_private_segment 0
		.amdhsa_system_sgpr_workgroup_id_x 1
		.amdhsa_system_sgpr_workgroup_id_y 1
		.amdhsa_system_sgpr_workgroup_id_z 1
		.amdhsa_system_sgpr_workgroup_info 0
		.amdhsa_system_vgpr_workitem_id 0
		.amdhsa_next_free_vgpr 19
		.amdhsa_next_free_sgpr 32
		.amdhsa_reserve_vcc 1
		.amdhsa_float_round_mode_32 0
		.amdhsa_float_round_mode_16_64 0
		.amdhsa_float_denorm_mode_32 3
		.amdhsa_float_denorm_mode_16_64 3
		.amdhsa_dx10_clamp 1
		.amdhsa_ieee_mode 1
		.amdhsa_fp16_overflow 0
		.amdhsa_workgroup_processor_mode 1
		.amdhsa_memory_ordered 1
		.amdhsa_forward_progress 0
		.amdhsa_shared_vgpr_count 0
		.amdhsa_exception_fp_ieee_invalid_op 0
		.amdhsa_exception_fp_denorm_src 0
		.amdhsa_exception_fp_ieee_div_zero 0
		.amdhsa_exception_fp_ieee_overflow 0
		.amdhsa_exception_fp_ieee_underflow 0
		.amdhsa_exception_fp_ieee_inexact 0
		.amdhsa_exception_int_div_zero 0
	.end_amdhsa_kernel
	.section	.text._ZL33flash_attn_stream_k_fixup_generalILi512ELi8ELi4EEvPfPK15HIP_vector_typeIfLj2EEiiiiS1_IjLj3EES5_S5_S5_,"axG",@progbits,_ZL33flash_attn_stream_k_fixup_generalILi512ELi8ELi4EEvPfPK15HIP_vector_typeIfLj2EEiiiiS1_IjLj3EES5_S5_S5_,comdat
.Lfunc_end12:
	.size	_ZL33flash_attn_stream_k_fixup_generalILi512ELi8ELi4EEvPfPK15HIP_vector_typeIfLj2EEiiiiS1_IjLj3EES5_S5_S5_, .Lfunc_end12-_ZL33flash_attn_stream_k_fixup_generalILi512ELi8ELi4EEvPfPK15HIP_vector_typeIfLj2EEiiiiS1_IjLj3EES5_S5_S5_
                                        ; -- End function
	.section	.AMDGPU.csdata,"",@progbits
; Kernel info:
; codeLenInByte = 3224
; NumSgprs: 34
; NumVgprs: 19
; ScratchSize: 0
; MemoryBound: 0
; FloatMode: 240
; IeeeMode: 1
; LDSByteSize: 0 bytes/workgroup (compile time only)
; SGPRBlocks: 4
; VGPRBlocks: 2
; NumSGPRsForWavesPerEU: 34
; NumVGPRsForWavesPerEU: 19
; Occupancy: 16
; WaveLimiterHint : 0
; COMPUTE_PGM_RSRC2:SCRATCH_EN: 0
; COMPUTE_PGM_RSRC2:USER_SGPR: 13
; COMPUTE_PGM_RSRC2:TRAP_HANDLER: 0
; COMPUTE_PGM_RSRC2:TGID_X_EN: 1
; COMPUTE_PGM_RSRC2:TGID_Y_EN: 1
; COMPUTE_PGM_RSRC2:TGID_Z_EN: 1
; COMPUTE_PGM_RSRC2:TIDIG_COMP_CNT: 0
	.section	.text._ZL15flash_attn_tileILi576ELi512ELi4ELi4ELb0EEvPKcS1_S1_S1_S1_PKiPfP15HIP_vector_typeIfLj2EEffffjfiS5_IjLj3EEiiiiiiiiiiiliiliiiiil,"axG",@progbits,_ZL15flash_attn_tileILi576ELi512ELi4ELi4ELb0EEvPKcS1_S1_S1_S1_PKiPfP15HIP_vector_typeIfLj2EEffffjfiS5_IjLj3EEiiiiiiiiiiiliiliiiiil,comdat
	.globl	_ZL15flash_attn_tileILi576ELi512ELi4ELi4ELb0EEvPKcS1_S1_S1_S1_PKiPfP15HIP_vector_typeIfLj2EEffffjfiS5_IjLj3EEiiiiiiiiiiiliiliiiiil ; -- Begin function _ZL15flash_attn_tileILi576ELi512ELi4ELi4ELb0EEvPKcS1_S1_S1_S1_PKiPfP15HIP_vector_typeIfLj2EEffffjfiS5_IjLj3EEiiiiiiiiiiiliiliiiiil
	.p2align	8
	.type	_ZL15flash_attn_tileILi576ELi512ELi4ELi4ELb0EEvPKcS1_S1_S1_S1_PKiPfP15HIP_vector_typeIfLj2EEffffjfiS5_IjLj3EEiiiiiiiiiiiliiliiiiil,@function
_ZL15flash_attn_tileILi576ELi512ELi4ELi4ELb0EEvPKcS1_S1_S1_S1_PKiPfP15HIP_vector_typeIfLj2EEffffjfiS5_IjLj3EEiiiiiiiiiiiliiliiiiil: ; @_ZL15flash_attn_tileILi576ELi512ELi4ELi4ELb0EEvPKcS1_S1_S1_S1_PKiPfP15HIP_vector_typeIfLj2EEffffjfiS5_IjLj3EEiiiiiiiiiiiliiliiiiil
; %bb.0:
	s_clause 0x1
	s_load_b128 s[36:39], s[0:1], 0x5c
	s_load_b64 s[34:35], s[0:1], 0x80
	s_mov_b64 s[40:41], 0
	s_waitcnt lgkmcnt(0)
	s_ashr_i32 s2, s39, 31
	s_delay_alu instid0(SALU_CYCLE_1) | instskip(NEXT) | instid1(SALU_CYCLE_1)
	s_lshr_b32 s2, s2, 30
	s_add_i32 s2, s39, s2
	s_delay_alu instid0(SALU_CYCLE_1) | instskip(NEXT) | instid1(SALU_CYCLE_1)
	s_ashr_i32 s2, s2, 2
	v_cvt_f32_u32_e32 v1, s2
	s_sub_i32 s4, 0, s2
	s_delay_alu instid0(VALU_DEP_1) | instskip(SKIP_2) | instid1(VALU_DEP_1)
	v_rcp_iflag_f32_e32 v1, v1
	s_waitcnt_depctr 0xfff
	v_mul_f32_e32 v1, 0x4f7ffffe, v1
	v_cvt_u32_f32_e32 v1, v1
	s_delay_alu instid0(VALU_DEP_1) | instskip(NEXT) | instid1(VALU_DEP_1)
	v_readfirstlane_b32 s3, v1
	s_mul_i32 s4, s4, s3
	s_delay_alu instid0(SALU_CYCLE_1) | instskip(NEXT) | instid1(SALU_CYCLE_1)
	s_mul_hi_u32 s4, s3, s4
	s_add_i32 s3, s3, s4
	s_delay_alu instid0(SALU_CYCLE_1) | instskip(NEXT) | instid1(SALU_CYCLE_1)
	s_mul_hi_u32 s3, s15, s3
	s_mul_i32 s4, s3, s2
	s_add_i32 s5, s3, 1
	s_sub_i32 s4, s15, s4
	s_delay_alu instid0(SALU_CYCLE_1)
	s_sub_i32 s6, s4, s2
	s_cmp_ge_u32 s4, s2
	s_cselect_b32 s3, s5, s3
	s_cselect_b32 s4, s6, s4
	s_add_i32 s5, s3, 1
	s_cmp_ge_u32 s4, s2
	s_cselect_b32 s33, s5, s3
	s_abs_i32 s2, s35
	s_abs_i32 s7, s39
	v_cvt_f32_u32_e32 v1, s2
	s_sub_i32 s4, 0, s2
	s_lshl_b32 s5, s15, 2
	s_mul_i32 s6, s33, s39
	s_delay_alu instid0(VALU_DEP_1) | instskip(SKIP_3) | instid1(VALU_DEP_1)
	v_rcp_iflag_f32_e32 v1, v1
	s_sub_i32 s15, s5, s6
	s_waitcnt_depctr 0xfff
	v_mul_f32_e32 v1, 0x4f7ffffe, v1
	v_cvt_u32_f32_e32 v1, v1
	s_delay_alu instid0(VALU_DEP_1) | instskip(NEXT) | instid1(VALU_DEP_1)
	v_readfirstlane_b32 s3, v1
	s_mul_i32 s4, s4, s3
	s_delay_alu instid0(SALU_CYCLE_1) | instskip(NEXT) | instid1(SALU_CYCLE_1)
	s_mul_hi_u32 s4, s3, s4
	s_add_i32 s3, s3, s4
	s_xor_b32 s4, s39, s35
	s_mul_hi_u32 s3, s7, s3
	s_ashr_i32 s4, s4, 31
	s_mul_i32 s5, s3, s2
	s_add_i32 s6, s3, 1
	s_sub_i32 s5, s7, s5
	s_delay_alu instid0(SALU_CYCLE_1)
	s_sub_i32 s7, s5, s2
	s_cmp_ge_u32 s5, s2
	s_cselect_b32 s3, s6, s3
	s_cselect_b32 s5, s7, s5
	s_add_i32 s6, s3, 1
	s_cmp_ge_u32 s5, s2
	s_cselect_b32 s2, s6, s3
	s_delay_alu instid0(SALU_CYCLE_1) | instskip(NEXT) | instid1(SALU_CYCLE_1)
	s_xor_b32 s2, s2, s4
	s_sub_i32 s9, s2, s4
	s_clause 0x1
	s_load_b512 s[16:31], s[0:1], 0x0
	s_load_b64 s[2:3], s[0:1], 0xb8
	s_abs_i32 s8, s9
	s_delay_alu instid0(SALU_CYCLE_1) | instskip(NEXT) | instid1(VALU_DEP_1)
	v_cvt_f32_u32_e32 v1, s8
	v_rcp_iflag_f32_e32 v1, v1
	s_waitcnt_depctr 0xfff
	v_mul_f32_e32 v1, 0x4f7ffffe, v1
	s_waitcnt lgkmcnt(0)
	s_cmp_eq_u64 s[22:23], 0
	s_delay_alu instid0(VALU_DEP_1) | instskip(NEXT) | instid1(VALU_DEP_1)
	v_cvt_u32_f32_e32 v1, v1
	v_readfirstlane_b32 s10, v1
	s_cbranch_scc1 .LBB13_2
; %bb.1:
	s_abs_i32 s2, s2
	s_abs_i32 s6, s33
	v_cvt_f32_u32_e32 v1, s2
	s_sub_i32 s5, 0, s2
	s_delay_alu instid0(VALU_DEP_1) | instskip(SKIP_2) | instid1(VALU_DEP_1)
	v_rcp_iflag_f32_e32 v1, v1
	s_waitcnt_depctr 0xfff
	v_mul_f32_e32 v1, 0x4f7ffffe, v1
	v_cvt_u32_f32_e32 v1, v1
	s_delay_alu instid0(VALU_DEP_1) | instskip(NEXT) | instid1(VALU_DEP_1)
	v_readfirstlane_b32 s4, v1
	s_mul_i32 s5, s5, s4
	s_delay_alu instid0(SALU_CYCLE_1) | instskip(NEXT) | instid1(SALU_CYCLE_1)
	s_mul_hi_u32 s5, s4, s5
	s_add_i32 s7, s4, s5
	s_load_b64 s[4:5], s[0:1], 0xc8
	s_mul_hi_u32 s7, s6, s7
	s_delay_alu instid0(SALU_CYCLE_1) | instskip(NEXT) | instid1(SALU_CYCLE_1)
	s_mul_i32 s7, s7, s2
	s_sub_i32 s6, s6, s7
	s_ashr_i32 s7, s33, 31
	s_sub_i32 s11, s6, s2
	s_cmp_ge_u32 s6, s2
	s_cselect_b32 s6, s11, s6
	s_delay_alu instid0(SALU_CYCLE_1) | instskip(SKIP_2) | instid1(SALU_CYCLE_1)
	s_sub_i32 s11, s6, s2
	s_cmp_ge_u32 s6, s2
	s_cselect_b32 s2, s11, s6
	s_xor_b32 s2, s2, s7
	s_delay_alu instid0(SALU_CYCLE_1)
	s_sub_i32 s2, s2, s7
	s_waitcnt lgkmcnt(0)
	s_mul_i32 s5, s2, s5
	s_mul_hi_u32 s6, s2, s4
	s_ashr_i32 s7, s2, 31
	s_add_i32 s5, s6, s5
	s_mul_i32 s7, s7, s4
	s_mul_i32 s2, s2, s4
	s_add_i32 s5, s5, s7
	s_add_u32 s40, s22, s2
	s_addc_u32 s41, s23, s5
.LBB13_2:
	v_bfe_u32 v2, v0, 10, 10
	s_load_b128 s[4:7], s[0:1], 0x70
	v_and_b32_e32 v101, 0x3ff, v0
	s_delay_alu instid0(VALU_DEP_2) | instskip(NEXT) | instid1(VALU_DEP_1)
	v_lshrrev_b32_e32 v1, 1, v2
	v_lshl_add_u32 v100, s13, 2, v1
	s_delay_alu instid0(VALU_DEP_1) | instskip(SKIP_3) | instid1(VALU_DEP_1)
	v_mul_hi_u32 v1, s36, v100
	s_waitcnt lgkmcnt(0)
	s_mul_i32 s2, s33, s6
	s_mul_i32 s6, s15, s5
	v_add_nc_u32_e32 v1, v100, v1
	s_ashr_i32 s7, s2, 31
	s_add_u32 s2, s16, s2
	s_addc_u32 s7, s17, s7
	s_ashr_i32 s11, s6, 31
	v_lshrrev_b32_e32 v1, s37, v1
	s_add_u32 s2, s2, s6
	s_addc_u32 s6, s7, s11
	s_ashr_i32 s7, s4, 31
	s_ashr_i32 s17, s5, 31
	v_mul_lo_u32 v1, v1, s38
	v_alignbit_b32 v4, s7, s4, 2
	s_lshr_b32 s4, s7, 2
	s_mov_b32 s16, s5
	s_delay_alu instid0(VALU_DEP_2) | instskip(NEXT) | instid1(VALU_DEP_1)
	v_sub_nc_u32_e32 v3, v100, v1
	v_mad_u64_u32 v[5:6], null, v4, v3, 0
	v_lshlrev_b32_e32 v4, 1, v2
	s_delay_alu instid0(VALU_DEP_1) | instskip(NEXT) | instid1(VALU_DEP_3)
	v_and_b32_e32 v109, 2, v4
	v_mov_b32_e32 v1, v6
	s_delay_alu instid0(VALU_DEP_1) | instskip(SKIP_2) | instid1(SALU_CYCLE_1)
	v_mad_u64_u32 v[6:7], null, s4, v3, v[1:2]
	v_alignbit_b32 v1, s17, s5, 2
	s_lshr_b32 s4, s17, 2
	v_mul_lo_u32 v9, s4, v109
	s_lshr_b64 s[4:5], s[16:17], 2
	s_delay_alu instid0(VALU_DEP_2) | instskip(NEXT) | instid1(VALU_DEP_4)
	v_mad_u64_u32 v[7:8], null, v1, v109, 0
	v_lshlrev_b64 v[0:1], 2, v[5:6]
	v_lshlrev_b32_e32 v5, 4, v101
	s_delay_alu instid0(VALU_DEP_3) | instskip(NEXT) | instid1(VALU_DEP_3)
	v_or_b32_e32 v8, v8, v9
	v_add_co_u32 v6, vcc_lo, s2, v0
	s_delay_alu instid0(VALU_DEP_4) | instskip(NEXT) | instid1(VALU_DEP_3)
	v_add_co_ci_u32_e32 v9, vcc_lo, s6, v1, vcc_lo
	v_lshlrev_b64 v[0:1], 2, v[7:8]
	s_delay_alu instid0(VALU_DEP_3) | instskip(NEXT) | instid1(VALU_DEP_3)
	v_add_co_u32 v5, vcc_lo, v6, v5
	v_add_co_ci_u32_e32 v6, vcc_lo, 0, v9, vcc_lo
	s_load_b32 s6, s[0:1], 0x40
	s_delay_alu instid0(VALU_DEP_2) | instskip(NEXT) | instid1(VALU_DEP_2)
	v_add_co_u32 v0, vcc_lo, v5, v0
	v_add_co_ci_u32_e32 v1, vcc_lo, v6, v1, vcc_lo
	v_lshlrev_b32_e32 v7, 1, v101
	s_clause 0x3
	global_load_b128 v[9:12], v[0:1], off
	global_load_b128 v[13:16], v[0:1], off offset:512
	global_load_b128 v[17:20], v[0:1], off offset:1024
	;; [unrolled: 1-line block ×3, first 2 shown]
	v_mul_u32_u24_e32 v8, 0x240, v2
	v_cmp_gt_u32_e32 vcc_lo, 16, v101
	s_delay_alu instid0(VALU_DEP_2)
	v_add_lshl_u32 v8, v8, v7, 2
	s_waitcnt vmcnt(3) lgkmcnt(0)
	v_fma_mixlo_f16 v25, v9, s6, 0
	v_fma_mixlo_f16 v26, v11, s6, 0
	s_waitcnt vmcnt(2)
	v_fma_mixlo_f16 v27, v13, s6, 0
	v_fma_mixlo_f16 v28, v15, s6, 0
	s_waitcnt vmcnt(1)
	;; [unrolled: 3-line block ×3, first 2 shown]
	v_fma_mixlo_f16 v31, v21, s6, 0
	v_fma_mixlo_f16 v32, v23, s6, 0
	v_fma_mixhi_f16 v26, v12, s6, 0
	v_fma_mixhi_f16 v25, v10, s6, 0
	;; [unrolled: 1-line block ×8, first 2 shown]
	ds_store_2addr_b64 v8, v[25:26], v[27:28] offset1:32
	ds_store_2addr_b64 v8, v[29:30], v[31:32] offset0:64 offset1:96
	s_and_saveexec_b32 s2, vcc_lo
	s_cbranch_execz .LBB13_4
; %bb.3:
	global_load_b128 v[9:12], v[0:1], off offset:2048
	s_waitcnt vmcnt(0)
	v_fma_mixlo_f16 v1, v11, s6, 0
	v_fma_mixlo_f16 v0, v9, s6, 0
	s_delay_alu instid0(VALU_DEP_2) | instskip(NEXT) | instid1(VALU_DEP_2)
	v_fma_mixhi_f16 v1, v12, s6, 0
	v_fma_mixhi_f16 v0, v10, s6, 0
	ds_store_b64 v8, v[0:1] offset:1024
.LBB13_4:
	s_or_b32 exec_lo, exec_lo, s2
	v_or_b32_e32 v4, 1, v4
	s_delay_alu instid0(VALU_DEP_1) | instskip(SKIP_1) | instid1(VALU_DEP_2)
	v_and_b32_e32 v10, 3, v4
	v_mul_u32_u24_e32 v4, 0x120, v4
	v_mad_u64_u32 v[0:1], null, s4, v10, 0
	s_delay_alu instid0(VALU_DEP_2) | instskip(NEXT) | instid1(VALU_DEP_2)
	v_add_lshl_u32 v4, v4, v7, 2
	v_mad_u64_u32 v[8:9], null, s5, v10, v[1:2]
	s_delay_alu instid0(VALU_DEP_1) | instskip(NEXT) | instid1(VALU_DEP_1)
	v_mov_b32_e32 v1, v8
	v_lshlrev_b64 v[0:1], 2, v[0:1]
	s_delay_alu instid0(VALU_DEP_1) | instskip(NEXT) | instid1(VALU_DEP_1)
	v_add_co_u32 v0, s2, v5, v0
	v_add_co_ci_u32_e64 v1, s2, v6, v1, s2
	s_clause 0x3
	global_load_b128 v[8:11], v[0:1], off
	global_load_b128 v[12:15], v[0:1], off offset:512
	global_load_b128 v[16:19], v[0:1], off offset:1024
	;; [unrolled: 1-line block ×3, first 2 shown]
	s_waitcnt vmcnt(3)
	v_fma_mixlo_f16 v5, v8, s6, 0
	v_fma_mixlo_f16 v6, v10, s6, 0
	s_waitcnt vmcnt(2)
	v_fma_mixlo_f16 v7, v12, s6, 0
	v_fma_mixlo_f16 v8, v14, s6, 0
	;; [unrolled: 3-line block ×4, first 2 shown]
	v_fma_mixhi_f16 v6, v11, s6, 0
	v_fma_mixhi_f16 v5, v9, s6, 0
	;; [unrolled: 1-line block ×8, first 2 shown]
	ds_store_2addr_b64 v4, v[5:6], v[7:8] offset1:32
	ds_store_2addr_b64 v4, v[24:25], v[26:27] offset0:64 offset1:96
	s_and_saveexec_b32 s2, vcc_lo
	s_cbranch_execz .LBB13_6
; %bb.5:
	global_load_b128 v[5:8], v[0:1], off offset:2048
	s_waitcnt vmcnt(0)
	v_fma_mixlo_f16 v1, v7, s6, 0
	v_fma_mixlo_f16 v0, v5, s6, 0
	s_delay_alu instid0(VALU_DEP_2) | instskip(NEXT) | instid1(VALU_DEP_2)
	v_fma_mixhi_f16 v1, v8, s6, 0
	v_fma_mixhi_f16 v0, v6, s6, 0
	ds_store_b64 v4, v[0:1] offset:1024
.LBB13_6:
	s_or_b32 exec_lo, exec_lo, s2
	s_cmp_eq_u64 s[26:27], 0
	s_waitcnt lgkmcnt(0)
	s_barrier
	buffer_gl0_inv
	s_cbranch_scc1 .LBB13_8
; %bb.7:
	s_load_b32 s2, s[0:1], 0xd0
	s_mov_b32 s5, 0
	s_waitcnt lgkmcnt(0)
	s_mul_i32 s2, s2, s33
	s_delay_alu instid0(SALU_CYCLE_1) | instskip(NEXT) | instid1(SALU_CYCLE_1)
	s_add_i32 s4, s2, s13
	s_lshl_b64 s[4:5], s[4:5], 2
	s_delay_alu instid0(SALU_CYCLE_1)
	s_add_u32 s4, s26, s4
	s_addc_u32 s5, s27, s5
	s_load_b32 s34, s[4:5], 0x0
.LBB13_8:
	v_lshlrev_b32_e32 v110, 2, v101
	v_mbcnt_lo_u32_b32 v111, -1, 0
	s_lshl_b32 s13, s14, 6
	s_waitcnt lgkmcnt(0)
	s_cmp_lt_i32 s13, s34
	s_cbranch_scc1 .LBB13_10
; %bb.9:
	v_mbcnt_lo_u32_b32 v1, -1, 0
	v_mov_b32_e32 v0, 32
	s_mov_b32 s2, 0
	s_mov_b32 s4, 0xfeffffff
	s_delay_alu instid0(VALU_DEP_2)
	v_xor_b32_e32 v116, 16, v1
	v_xor_b32_e32 v115, 8, v1
	;; [unrolled: 1-line block ×5, first 2 shown]
	s_branch .LBB13_11
.LBB13_10:
	s_mov_b32 s2, -1
                                        ; implicit-def: $sgpr4
                                        ; implicit-def: $vgpr1
                                        ; implicit-def: $vgpr0
                                        ; implicit-def: $vgpr116
                                        ; implicit-def: $vgpr115
                                        ; implicit-def: $vgpr114
                                        ; implicit-def: $vgpr113
                                        ; implicit-def: $vgpr112
.LBB13_11:
	s_delay_alu instid0(SALU_CYCLE_1) | instskip(SKIP_2) | instid1(VALU_DEP_3)
	v_cndmask_b32_e64 v4, 0, 1, s2
	v_dual_mov_b32 v108, s4 :: v_dual_mov_b32 v117, s2
	v_dual_mov_b32 v24, s2 :: v_dual_mov_b32 v107, s4
	v_cmp_ne_u32_e32 vcc_lo, 1, v4
	v_dual_mov_b32 v118, s2 :: v_dual_mov_b32 v29, s2
	v_dual_mov_b32 v26, s2 :: v_dual_mov_b32 v25, s2
	;; [unrolled: 1-line block ×8, first 2 shown]
	s_cbranch_vccnz .LBB13_15
; %bb.12:
	s_clause 0x1
	s_load_b128 s[4:7], s[0:1], 0x98
	s_load_b64 s[16:17], s[0:1], 0x8c
	s_sub_i32 s2, 0, s8
	s_abs_i32 s11, s15
	s_mul_i32 s2, s2, s10
	s_ashr_i32 s12, s15, 31
	s_mul_hi_u32 s2, s10, s2
	s_ashr_i32 s9, s9, 31
	s_add_i32 s10, s10, s2
	s_ashr_i32 s2, s3, 1
	s_mul_hi_u32 s3, s11, s10
	s_ashr_i32 s10, s33, 31
	s_load_b64 s[26:27], s[0:1], 0xa8
	s_mul_i32 s35, s3, s8
	v_lshrrev_b32_e32 v0, 3, v101
	v_dual_mov_b32 v107, 0xfeffffff :: v_dual_and_b32 v8, 28, v110
	v_mov_b32_e32 v15, 0
	v_dual_mov_b32 v16, 0 :: v_dual_lshlrev_b32 v9, 2, v110
	s_waitcnt lgkmcnt(0)
	s_ashr_i32 s22, s6, 2
	s_mul_i32 s5, s33, s5
	s_mul_hi_u32 s6, s33, s4
	s_ashr_i32 s23, s16, 2
	s_mul_i32 s16, s10, s4
	s_add_i32 s5, s6, s5
	s_mul_i32 s4, s33, s4
	s_add_i32 s5, s5, s16
	s_add_u32 s4, s18, s4
	s_addc_u32 s5, s19, s5
	s_xor_b32 s6, s12, s9
	s_sub_i32 s9, s11, s35
	s_add_i32 s11, s3, 1
	s_sub_i32 s12, s9, s8
	s_cmp_ge_u32 s9, s8
	v_lshl_add_u32 v1, v2, 2, v0
	v_lshlrev_b32_e32 v4, 2, v8
	s_cselect_b32 s3, s11, s3
	s_cselect_b32 s9, s12, s9
	s_add_i32 s11, s3, 1
	s_cmp_ge_u32 s9, s8
	v_mad_u32_u24 v5, 0x90, v1, v4
	v_mul_lo_u32 v4, s22, v2
	s_cselect_b32 s3, s11, s3
	v_mul_lo_u32 v0, s23, v1
	s_xor_b32 s3, s3, s6
	v_dual_mov_b32 v14, 0 :: v_dual_add_nc_u32 v119, 0x4800, v5
	s_sub_i32 s3, s3, s6
	v_dual_mov_b32 v17, 0 :: v_dual_add_nc_u32 v120, 0x5a00, v5
	s_mul_i32 s9, s3, s17
	v_ashrrev_i32_e32 v5, 31, v4
	s_mul_i32 s8, s33, s27
	s_mul_hi_u32 s6, s33, s26
	s_ashr_i32 s11, s9, 31
	s_add_u32 s18, s4, s9
	s_mul_i32 s10, s10, s26
	s_addc_u32 s19, s5, s11
	s_add_i32 s4, s6, s8
	s_mul_i32 s5, s33, s26
	v_lshlrev_b64 v[4:5], 2, v[4:5]
	s_add_i32 s4, s4, s10
	s_mul_i32 s3, s3, s7
	s_add_u32 s5, s20, s5
	v_lshl_add_u32 v6, s23, 5, v0
	s_addc_u32 s4, s21, s4
	s_ashr_i32 s6, s3, 31
	s_add_u32 s3, s5, s3
	s_addc_u32 s4, s4, s6
	v_mul_u32_u24_e32 v122, 0x900, v2
	v_lshl_add_u32 v10, v2, 10, v9
	v_lshl_add_u32 v123, v2, 8, 0x6c00
	v_add_co_u32 v2, vcc_lo, s3, v4
	v_ashrrev_i32_e32 v1, 31, v0
	v_ashrrev_i32_e32 v7, 31, v6
	v_mad_u64_u32 v[102:103], null, v3, s2, v[101:102]
	v_add_co_ci_u32_e32 v3, vcc_lo, s4, v5, vcc_lo
	v_lshl_add_u32 v126, v101, 3, 0x4800
	v_add_co_u32 v127, vcc_lo, v2, v9
	v_lshlrev_b64 v[103:104], 2, v[0:1]
	v_lshlrev_b64 v[105:106], 2, v[6:7]
	v_mul_u32_u24_e32 v121, 0x90, v101
	v_dual_mov_b32 v19, 0 :: v_dual_add_nc_u32 v124, 0x4800, v10
	v_dual_mov_b32 v20, 0 :: v_dual_add_nc_u32 v125, 0x4a00, v10
	v_add_co_ci_u32_e32 v128, vcc_lo, 0, v3, vcc_lo
	v_dual_mov_b32 v18, 0 :: v_dual_lshlrev_b32 v129, 2, v8
	v_xor_b32_e32 v116, 16, v111
	v_xor_b32_e32 v115, 8, v111
	;; [unrolled: 1-line block ×5, first 2 shown]
	v_dual_mov_b32 v21, 0 :: v_dual_add_nc_u32 v130, v123, v110
	v_dual_mov_b32 v22, 0 :: v_dual_add_nc_u32 v131, 0x800, v126
	;; [unrolled: 1-line block ×4, first 2 shown]
	v_dual_mov_b32 v27, 0 :: v_dual_mov_b32 v26, 0
	v_dual_mov_b32 v25, 0 :: v_dual_mov_b32 v24, 0
	;; [unrolled: 1-line block ×4, first 2 shown]
	s_add_u32 s16, s0, 0xd0
	s_addc_u32 s17, s1, 0
.LBB13_13:                              ; =>This Inner Loop Header: Depth=1
	s_mul_hi_i32 s7, s13, s23
	s_mul_i32 s6, s13, s23
	v_cmp_gt_i32_e64 s4, 32, v113
	v_cmp_gt_i32_e64 s5, 32, v112
	;; [unrolled: 1-line block ×4, first 2 shown]
	v_cmp_gt_i32_e32 vcc_lo, 32, v116
	s_lshl_b64 s[10:11], s[6:7], 2
	s_mul_hi_i32 s9, s13, s22
	s_mul_i32 s8, s13, s22
	s_add_u32 s7, s18, s10
	v_cndmask_b32_e64 v5, v111, v113, s4
	v_cndmask_b32_e64 v8, v111, v112, s5
	s_addc_u32 s6, s19, s11
	s_lshl_b64 s[4:5], s[8:9], 2
	s_or_b32 s8, s13, 8
	v_cndmask_b32_e64 v3, v111, v115, s2
	v_cndmask_b32_e64 v4, v111, v114, s3
	v_add_co_u32 v11, s2, s7, v103
	s_delay_alu instid0(VALU_DEP_3)
	v_dual_cndmask_b32 v2, v111, v116 :: v_dual_lshlrev_b32 v39, 2, v3
	v_add_co_u32 v10, vcc_lo, s7, v105
	s_mul_hi_i32 s27, s8, s22
	s_mul_i32 s26, s8, s22
	v_add_co_ci_u32_e64 v13, s2, s6, v104, s2
	v_add_co_u32 v6, s3, v127, s4
	v_add_co_ci_u32_e32 v41, vcc_lo, s6, v106, vcc_lo
	s_lshl_b64 s[6:7], s[26:27], 2
	v_add_co_ci_u32_e64 v7, vcc_lo, s5, v128, s3
	v_lshlrev_b32_e32 v38, 2, v4
	v_add_co_u32 v4, s2, v127, s6
	v_add_co_u32 v12, s6, v11, v129
	v_add_co_u32 v10, vcc_lo, v10, v129
	v_lshlrev_b32_e32 v37, 2, v5
	v_add_co_ci_u32_e64 v5, s2, s7, v128, s2
	v_add_co_ci_u32_e64 v13, s2, 0, v13, s6
	v_add_co_ci_u32_e32 v11, vcc_lo, 0, v41, vcc_lo
	s_clause 0x1
	global_load_b128 v[41:44], v[12:13], off
	global_load_b128 v[50:53], v[10:11], off
	v_dual_mov_b32 v32, 0 :: v_dual_mov_b32 v33, 0
	v_dual_mov_b32 v34, 0 :: v_dual_mov_b32 v35, 0
	s_or_b32 s9, s13, 16
	s_or_b32 s10, s13, 24
	;; [unrolled: 1-line block ×3, first 2 shown]
	s_mul_hi_i32 s37, s9, s22
	s_mul_i32 s36, s9, s22
	s_mul_hi_i32 s9, s10, s22
	s_mul_i32 s8, s10, s22
	;; [unrolled: 2-line block ×3, first 2 shown]
	v_lshlrev_b32_e32 v36, 2, v8
	s_lshl_b64 s[10:11], s[10:11], 2
	v_dual_mov_b32 v30, v108 :: v_dual_mov_b32 v31, v107
	v_add_co_u32 v48, s5, v127, s10
	s_delay_alu instid0(VALU_DEP_1)
	v_add_co_ci_u32_e64 v49, vcc_lo, s11, v128, s5
	s_lshl_b64 s[26:27], s[36:37], 2
	s_lshl_b64 s[8:9], s[8:9], 2
	s_or_b32 s20, s13, 40
	s_waitcnt vmcnt(1)
	ds_store_b128 v119, v[41:44]
	s_waitcnt vmcnt(0)
	ds_store_b128 v120, v[50:53]
	s_waitcnt lgkmcnt(0)
	s_barrier
	buffer_gl0_inv
	ds_load_b128 v[41:44], v121 offset:18432
	ds_load_b128 v[50:53], v122
	ds_load_b128 v[54:57], v122 offset:1152
	ds_load_b128 v[58:61], v121 offset:23040
	s_waitcnt lgkmcnt(2)
	;;#ASMSTART
	v_dot2_f32_f16 v32, v41, v50, v32
	;;#ASMEND
	;;#ASMSTART
	v_dot2_f32_f16 v32, v42, v51, v32
	;;#ASMEND
	;;#ASMSTART
	v_dot2_f32_f16 v32, v43, v52, v32
	;;#ASMEND
	;;#ASMSTART
	v_dot2_f32_f16 v32, v44, v53, v32
	;;#ASMEND
	s_waitcnt lgkmcnt(1)
	;;#ASMSTART
	v_dot2_f32_f16 v33, v41, v54, v33
	;;#ASMEND
	;;#ASMSTART
	v_dot2_f32_f16 v33, v42, v55, v33
	;;#ASMEND
	;;#ASMSTART
	v_dot2_f32_f16 v33, v43, v56, v33
	;;#ASMEND
	;;#ASMSTART
	v_dot2_f32_f16 v33, v44, v57, v33
	;;#ASMEND
	s_waitcnt lgkmcnt(0)
	;;#ASMSTART
	v_dot2_f32_f16 v34, v58, v50, v34
	;;#ASMEND
	;;#ASMSTART
	v_dot2_f32_f16 v34, v59, v51, v34
	;;#ASMEND
	;;#ASMSTART
	v_dot2_f32_f16 v34, v60, v52, v34
	;;#ASMEND
	;;#ASMSTART
	v_dot2_f32_f16 v34, v61, v53, v34
	;;#ASMEND
	;;#ASMSTART
	v_dot2_f32_f16 v35, v58, v54, v35
	;;#ASMEND
	;;#ASMSTART
	v_dot2_f32_f16 v35, v59, v55, v35
	;;#ASMEND
	;;#ASMSTART
	v_dot2_f32_f16 v35, v60, v56, v35
	;;#ASMEND
	;;#ASMSTART
	v_dot2_f32_f16 v35, v61, v57, v35
	;;#ASMEND
	ds_load_b128 v[41:44], v121 offset:18448
	ds_load_b128 v[50:53], v122 offset:16
	ds_load_b128 v[54:57], v122 offset:1168
	ds_load_b128 v[58:61], v121 offset:23056
	s_waitcnt lgkmcnt(2)
	;;#ASMSTART
	v_dot2_f32_f16 v32, v41, v50, v32
	;;#ASMEND
	;;#ASMSTART
	v_dot2_f32_f16 v32, v42, v51, v32
	;;#ASMEND
	;;#ASMSTART
	v_dot2_f32_f16 v32, v43, v52, v32
	;;#ASMEND
	;;#ASMSTART
	v_dot2_f32_f16 v32, v44, v53, v32
	;;#ASMEND
	s_waitcnt lgkmcnt(1)
	;;#ASMSTART
	v_dot2_f32_f16 v33, v41, v54, v33
	;;#ASMEND
	;;#ASMSTART
	v_dot2_f32_f16 v33, v42, v55, v33
	;;#ASMEND
	;;#ASMSTART
	v_dot2_f32_f16 v33, v43, v56, v33
	;;#ASMEND
	;;#ASMSTART
	v_dot2_f32_f16 v33, v44, v57, v33
	;;#ASMEND
	s_waitcnt lgkmcnt(0)
	;;#ASMSTART
	v_dot2_f32_f16 v34, v58, v50, v34
	;;#ASMEND
	;;#ASMSTART
	v_dot2_f32_f16 v34, v59, v51, v34
	;;#ASMEND
	;;#ASMSTART
	v_dot2_f32_f16 v34, v60, v52, v34
	;;#ASMEND
	;;#ASMSTART
	v_dot2_f32_f16 v34, v61, v53, v34
	;;#ASMEND
	;;#ASMSTART
	v_dot2_f32_f16 v35, v58, v54, v35
	;;#ASMEND
	;;#ASMSTART
	v_dot2_f32_f16 v35, v59, v55, v35
	;;#ASMEND
	;;#ASMSTART
	v_dot2_f32_f16 v35, v60, v56, v35
	;;#ASMEND
	;;#ASMSTART
	v_dot2_f32_f16 v35, v61, v57, v35
	;;#ASMEND
	ds_load_b128 v[41:44], v121 offset:18464
	ds_load_b128 v[50:53], v122 offset:32
	;; [unrolled: 55-line block ×7, first 2 shown]
	ds_load_b128 v[54:57], v122 offset:1264
	ds_load_b128 v[58:61], v121 offset:23152
	s_waitcnt lgkmcnt(2)
	;;#ASMSTART
	v_dot2_f32_f16 v32, v41, v50, v32
	;;#ASMEND
	;;#ASMSTART
	v_dot2_f32_f16 v32, v42, v51, v32
	;;#ASMEND
	;;#ASMSTART
	v_dot2_f32_f16 v32, v43, v52, v32
	;;#ASMEND
	;;#ASMSTART
	v_dot2_f32_f16 v32, v44, v53, v32
	;;#ASMEND
	s_waitcnt lgkmcnt(1)
	;;#ASMSTART
	v_dot2_f32_f16 v33, v41, v54, v33
	;;#ASMEND
	;;#ASMSTART
	v_dot2_f32_f16 v33, v42, v55, v33
	;;#ASMEND
	;;#ASMSTART
	v_dot2_f32_f16 v33, v43, v56, v33
	;;#ASMEND
	;;#ASMSTART
	v_dot2_f32_f16 v33, v44, v57, v33
	;;#ASMEND
	;; [unrolled: 13-line block ×3, first 2 shown]
	;;#ASMSTART
	v_dot2_f32_f16 v35, v58, v54, v35
	;;#ASMEND
	;;#ASMSTART
	v_dot2_f32_f16 v35, v59, v55, v35
	;;#ASMEND
	;; [unrolled: 3-line block ×4, first 2 shown]
	s_barrier
	buffer_gl0_inv
	s_clause 0x1
	global_load_b128 v[41:44], v[12:13], off offset:128
	global_load_b128 v[50:53], v[10:11], off offset:128
	s_waitcnt vmcnt(1)
	ds_store_b128 v119, v[41:44]
	s_waitcnt vmcnt(0)
	ds_store_b128 v120, v[50:53]
	s_waitcnt lgkmcnt(0)
	s_barrier
	buffer_gl0_inv
	ds_load_b128 v[41:44], v121 offset:18432
	ds_load_b128 v[50:53], v122 offset:128
	ds_load_b128 v[54:57], v122 offset:1280
	ds_load_b128 v[58:61], v121 offset:23040
	s_waitcnt lgkmcnt(2)
	;;#ASMSTART
	v_dot2_f32_f16 v32, v41, v50, v32
	;;#ASMEND
	;;#ASMSTART
	v_dot2_f32_f16 v32, v42, v51, v32
	;;#ASMEND
	;;#ASMSTART
	v_dot2_f32_f16 v32, v43, v52, v32
	;;#ASMEND
	;;#ASMSTART
	v_dot2_f32_f16 v32, v44, v53, v32
	;;#ASMEND
	s_waitcnt lgkmcnt(1)
	;;#ASMSTART
	v_dot2_f32_f16 v33, v41, v54, v33
	;;#ASMEND
	;;#ASMSTART
	v_dot2_f32_f16 v33, v42, v55, v33
	;;#ASMEND
	;;#ASMSTART
	v_dot2_f32_f16 v33, v43, v56, v33
	;;#ASMEND
	;;#ASMSTART
	v_dot2_f32_f16 v33, v44, v57, v33
	;;#ASMEND
	s_waitcnt lgkmcnt(0)
	;;#ASMSTART
	v_dot2_f32_f16 v34, v58, v50, v34
	;;#ASMEND
	;;#ASMSTART
	v_dot2_f32_f16 v34, v59, v51, v34
	;;#ASMEND
	;;#ASMSTART
	v_dot2_f32_f16 v34, v60, v52, v34
	;;#ASMEND
	;;#ASMSTART
	v_dot2_f32_f16 v34, v61, v53, v34
	;;#ASMEND
	;;#ASMSTART
	v_dot2_f32_f16 v35, v58, v54, v35
	;;#ASMEND
	;;#ASMSTART
	v_dot2_f32_f16 v35, v59, v55, v35
	;;#ASMEND
	;;#ASMSTART
	v_dot2_f32_f16 v35, v60, v56, v35
	;;#ASMEND
	;;#ASMSTART
	v_dot2_f32_f16 v35, v61, v57, v35
	;;#ASMEND
	ds_load_b128 v[41:44], v121 offset:18448
	ds_load_b128 v[50:53], v122 offset:144
	ds_load_b128 v[54:57], v122 offset:1296
	ds_load_b128 v[58:61], v121 offset:23056
	s_waitcnt lgkmcnt(2)
	;;#ASMSTART
	v_dot2_f32_f16 v32, v41, v50, v32
	;;#ASMEND
	;;#ASMSTART
	v_dot2_f32_f16 v32, v42, v51, v32
	;;#ASMEND
	;;#ASMSTART
	v_dot2_f32_f16 v32, v43, v52, v32
	;;#ASMEND
	;;#ASMSTART
	v_dot2_f32_f16 v32, v44, v53, v32
	;;#ASMEND
	s_waitcnt lgkmcnt(1)
	;;#ASMSTART
	v_dot2_f32_f16 v33, v41, v54, v33
	;;#ASMEND
	;;#ASMSTART
	v_dot2_f32_f16 v33, v42, v55, v33
	;;#ASMEND
	;;#ASMSTART
	v_dot2_f32_f16 v33, v43, v56, v33
	;;#ASMEND
	;;#ASMSTART
	v_dot2_f32_f16 v33, v44, v57, v33
	;;#ASMEND
	s_waitcnt lgkmcnt(0)
	;;#ASMSTART
	v_dot2_f32_f16 v34, v58, v50, v34
	;;#ASMEND
	;;#ASMSTART
	v_dot2_f32_f16 v34, v59, v51, v34
	;;#ASMEND
	;;#ASMSTART
	v_dot2_f32_f16 v34, v60, v52, v34
	;;#ASMEND
	;;#ASMSTART
	v_dot2_f32_f16 v34, v61, v53, v34
	;;#ASMEND
	;;#ASMSTART
	v_dot2_f32_f16 v35, v58, v54, v35
	;;#ASMEND
	;;#ASMSTART
	v_dot2_f32_f16 v35, v59, v55, v35
	;;#ASMEND
	;;#ASMSTART
	v_dot2_f32_f16 v35, v60, v56, v35
	;;#ASMEND
	;;#ASMSTART
	v_dot2_f32_f16 v35, v61, v57, v35
	;;#ASMEND
	;; [unrolled: 55-line block ×8, first 2 shown]
	s_barrier
	buffer_gl0_inv
	s_clause 0x1
	global_load_b128 v[41:44], v[12:13], off offset:256
	global_load_b128 v[50:53], v[10:11], off offset:256
	s_waitcnt vmcnt(1)
	ds_store_b128 v119, v[41:44]
	s_waitcnt vmcnt(0)
	ds_store_b128 v120, v[50:53]
	s_waitcnt lgkmcnt(0)
	s_barrier
	buffer_gl0_inv
	ds_load_b128 v[41:44], v121 offset:18432
	ds_load_b128 v[50:53], v122 offset:256
	ds_load_b128 v[54:57], v122 offset:1408
	ds_load_b128 v[58:61], v121 offset:23040
	s_waitcnt lgkmcnt(2)
	;;#ASMSTART
	v_dot2_f32_f16 v32, v41, v50, v32
	;;#ASMEND
	;;#ASMSTART
	v_dot2_f32_f16 v32, v42, v51, v32
	;;#ASMEND
	;;#ASMSTART
	v_dot2_f32_f16 v32, v43, v52, v32
	;;#ASMEND
	;;#ASMSTART
	v_dot2_f32_f16 v32, v44, v53, v32
	;;#ASMEND
	s_waitcnt lgkmcnt(1)
	;;#ASMSTART
	v_dot2_f32_f16 v33, v41, v54, v33
	;;#ASMEND
	;;#ASMSTART
	v_dot2_f32_f16 v33, v42, v55, v33
	;;#ASMEND
	;;#ASMSTART
	v_dot2_f32_f16 v33, v43, v56, v33
	;;#ASMEND
	;;#ASMSTART
	v_dot2_f32_f16 v33, v44, v57, v33
	;;#ASMEND
	s_waitcnt lgkmcnt(0)
	;;#ASMSTART
	v_dot2_f32_f16 v34, v58, v50, v34
	;;#ASMEND
	;;#ASMSTART
	v_dot2_f32_f16 v34, v59, v51, v34
	;;#ASMEND
	;;#ASMSTART
	v_dot2_f32_f16 v34, v60, v52, v34
	;;#ASMEND
	;;#ASMSTART
	v_dot2_f32_f16 v34, v61, v53, v34
	;;#ASMEND
	;;#ASMSTART
	v_dot2_f32_f16 v35, v58, v54, v35
	;;#ASMEND
	;;#ASMSTART
	v_dot2_f32_f16 v35, v59, v55, v35
	;;#ASMEND
	;;#ASMSTART
	v_dot2_f32_f16 v35, v60, v56, v35
	;;#ASMEND
	;;#ASMSTART
	v_dot2_f32_f16 v35, v61, v57, v35
	;;#ASMEND
	ds_load_b128 v[41:44], v121 offset:18448
	ds_load_b128 v[50:53], v122 offset:272
	ds_load_b128 v[54:57], v122 offset:1424
	ds_load_b128 v[58:61], v121 offset:23056
	s_waitcnt lgkmcnt(2)
	;;#ASMSTART
	v_dot2_f32_f16 v32, v41, v50, v32
	;;#ASMEND
	;;#ASMSTART
	v_dot2_f32_f16 v32, v42, v51, v32
	;;#ASMEND
	;;#ASMSTART
	v_dot2_f32_f16 v32, v43, v52, v32
	;;#ASMEND
	;;#ASMSTART
	v_dot2_f32_f16 v32, v44, v53, v32
	;;#ASMEND
	s_waitcnt lgkmcnt(1)
	;;#ASMSTART
	v_dot2_f32_f16 v33, v41, v54, v33
	;;#ASMEND
	;;#ASMSTART
	v_dot2_f32_f16 v33, v42, v55, v33
	;;#ASMEND
	;;#ASMSTART
	v_dot2_f32_f16 v33, v43, v56, v33
	;;#ASMEND
	;;#ASMSTART
	v_dot2_f32_f16 v33, v44, v57, v33
	;;#ASMEND
	s_waitcnt lgkmcnt(0)
	;;#ASMSTART
	v_dot2_f32_f16 v34, v58, v50, v34
	;;#ASMEND
	;;#ASMSTART
	v_dot2_f32_f16 v34, v59, v51, v34
	;;#ASMEND
	;;#ASMSTART
	v_dot2_f32_f16 v34, v60, v52, v34
	;;#ASMEND
	;;#ASMSTART
	v_dot2_f32_f16 v34, v61, v53, v34
	;;#ASMEND
	;;#ASMSTART
	v_dot2_f32_f16 v35, v58, v54, v35
	;;#ASMEND
	;;#ASMSTART
	v_dot2_f32_f16 v35, v59, v55, v35
	;;#ASMEND
	;;#ASMSTART
	v_dot2_f32_f16 v35, v60, v56, v35
	;;#ASMEND
	;;#ASMSTART
	v_dot2_f32_f16 v35, v61, v57, v35
	;;#ASMEND
	;; [unrolled: 55-line block ×8, first 2 shown]
	s_barrier
	buffer_gl0_inv
	s_clause 0x1
	global_load_b128 v[41:44], v[12:13], off offset:384
	global_load_b128 v[50:53], v[10:11], off offset:384
	s_waitcnt vmcnt(1)
	ds_store_b128 v119, v[41:44]
	s_waitcnt vmcnt(0)
	ds_store_b128 v120, v[50:53]
	s_waitcnt lgkmcnt(0)
	s_barrier
	buffer_gl0_inv
	ds_load_b128 v[41:44], v121 offset:18432
	ds_load_b128 v[50:53], v122 offset:384
	ds_load_b128 v[54:57], v122 offset:1536
	ds_load_b128 v[58:61], v121 offset:23040
	s_waitcnt lgkmcnt(2)
	;;#ASMSTART
	v_dot2_f32_f16 v32, v41, v50, v32
	;;#ASMEND
	;;#ASMSTART
	v_dot2_f32_f16 v32, v42, v51, v32
	;;#ASMEND
	;;#ASMSTART
	v_dot2_f32_f16 v32, v43, v52, v32
	;;#ASMEND
	;;#ASMSTART
	v_dot2_f32_f16 v32, v44, v53, v32
	;;#ASMEND
	s_waitcnt lgkmcnt(1)
	;;#ASMSTART
	v_dot2_f32_f16 v33, v41, v54, v33
	;;#ASMEND
	;;#ASMSTART
	v_dot2_f32_f16 v33, v42, v55, v33
	;;#ASMEND
	;;#ASMSTART
	v_dot2_f32_f16 v33, v43, v56, v33
	;;#ASMEND
	;;#ASMSTART
	v_dot2_f32_f16 v33, v44, v57, v33
	;;#ASMEND
	s_waitcnt lgkmcnt(0)
	;;#ASMSTART
	v_dot2_f32_f16 v34, v58, v50, v34
	;;#ASMEND
	;;#ASMSTART
	v_dot2_f32_f16 v34, v59, v51, v34
	;;#ASMEND
	;;#ASMSTART
	v_dot2_f32_f16 v34, v60, v52, v34
	;;#ASMEND
	;;#ASMSTART
	v_dot2_f32_f16 v34, v61, v53, v34
	;;#ASMEND
	;;#ASMSTART
	v_dot2_f32_f16 v35, v58, v54, v35
	;;#ASMEND
	;;#ASMSTART
	v_dot2_f32_f16 v35, v59, v55, v35
	;;#ASMEND
	;;#ASMSTART
	v_dot2_f32_f16 v35, v60, v56, v35
	;;#ASMEND
	;;#ASMSTART
	v_dot2_f32_f16 v35, v61, v57, v35
	;;#ASMEND
	ds_load_b128 v[41:44], v121 offset:18448
	ds_load_b128 v[50:53], v122 offset:400
	ds_load_b128 v[54:57], v122 offset:1552
	ds_load_b128 v[58:61], v121 offset:23056
	s_waitcnt lgkmcnt(2)
	;;#ASMSTART
	v_dot2_f32_f16 v32, v41, v50, v32
	;;#ASMEND
	;;#ASMSTART
	v_dot2_f32_f16 v32, v42, v51, v32
	;;#ASMEND
	;;#ASMSTART
	v_dot2_f32_f16 v32, v43, v52, v32
	;;#ASMEND
	;;#ASMSTART
	v_dot2_f32_f16 v32, v44, v53, v32
	;;#ASMEND
	s_waitcnt lgkmcnt(1)
	;;#ASMSTART
	v_dot2_f32_f16 v33, v41, v54, v33
	;;#ASMEND
	;;#ASMSTART
	v_dot2_f32_f16 v33, v42, v55, v33
	;;#ASMEND
	;;#ASMSTART
	v_dot2_f32_f16 v33, v43, v56, v33
	;;#ASMEND
	;;#ASMSTART
	v_dot2_f32_f16 v33, v44, v57, v33
	;;#ASMEND
	s_waitcnt lgkmcnt(0)
	;;#ASMSTART
	v_dot2_f32_f16 v34, v58, v50, v34
	;;#ASMEND
	;;#ASMSTART
	v_dot2_f32_f16 v34, v59, v51, v34
	;;#ASMEND
	;;#ASMSTART
	v_dot2_f32_f16 v34, v60, v52, v34
	;;#ASMEND
	;;#ASMSTART
	v_dot2_f32_f16 v34, v61, v53, v34
	;;#ASMEND
	;;#ASMSTART
	v_dot2_f32_f16 v35, v58, v54, v35
	;;#ASMEND
	;;#ASMSTART
	v_dot2_f32_f16 v35, v59, v55, v35
	;;#ASMEND
	;;#ASMSTART
	v_dot2_f32_f16 v35, v60, v56, v35
	;;#ASMEND
	;;#ASMSTART
	v_dot2_f32_f16 v35, v61, v57, v35
	;;#ASMEND
	;; [unrolled: 55-line block ×8, first 2 shown]
	s_barrier
	buffer_gl0_inv
	s_clause 0x1
	global_load_b128 v[41:44], v[12:13], off offset:512
	global_load_b128 v[50:53], v[10:11], off offset:512
	s_waitcnt vmcnt(1)
	ds_store_b128 v119, v[41:44]
	s_waitcnt vmcnt(0)
	ds_store_b128 v120, v[50:53]
	s_waitcnt lgkmcnt(0)
	s_barrier
	buffer_gl0_inv
	ds_load_b128 v[41:44], v121 offset:18432
	ds_load_b128 v[50:53], v122 offset:512
	ds_load_b128 v[54:57], v122 offset:1664
	ds_load_b128 v[58:61], v121 offset:23040
	s_waitcnt lgkmcnt(2)
	;;#ASMSTART
	v_dot2_f32_f16 v32, v41, v50, v32
	;;#ASMEND
	;;#ASMSTART
	v_dot2_f32_f16 v32, v42, v51, v32
	;;#ASMEND
	;;#ASMSTART
	v_dot2_f32_f16 v32, v43, v52, v32
	;;#ASMEND
	;;#ASMSTART
	v_dot2_f32_f16 v32, v44, v53, v32
	;;#ASMEND
	s_waitcnt lgkmcnt(1)
	;;#ASMSTART
	v_dot2_f32_f16 v33, v41, v54, v33
	;;#ASMEND
	;;#ASMSTART
	v_dot2_f32_f16 v33, v42, v55, v33
	;;#ASMEND
	;;#ASMSTART
	v_dot2_f32_f16 v33, v43, v56, v33
	;;#ASMEND
	;;#ASMSTART
	v_dot2_f32_f16 v33, v44, v57, v33
	;;#ASMEND
	s_waitcnt lgkmcnt(0)
	;;#ASMSTART
	v_dot2_f32_f16 v34, v58, v50, v34
	;;#ASMEND
	;;#ASMSTART
	v_dot2_f32_f16 v34, v59, v51, v34
	;;#ASMEND
	;;#ASMSTART
	v_dot2_f32_f16 v34, v60, v52, v34
	;;#ASMEND
	;;#ASMSTART
	v_dot2_f32_f16 v34, v61, v53, v34
	;;#ASMEND
	;;#ASMSTART
	v_dot2_f32_f16 v35, v58, v54, v35
	;;#ASMEND
	;;#ASMSTART
	v_dot2_f32_f16 v35, v59, v55, v35
	;;#ASMEND
	;;#ASMSTART
	v_dot2_f32_f16 v35, v60, v56, v35
	;;#ASMEND
	;;#ASMSTART
	v_dot2_f32_f16 v35, v61, v57, v35
	;;#ASMEND
	ds_load_b128 v[41:44], v121 offset:18448
	ds_load_b128 v[50:53], v122 offset:528
	ds_load_b128 v[54:57], v122 offset:1680
	ds_load_b128 v[58:61], v121 offset:23056
	s_waitcnt lgkmcnt(2)
	;;#ASMSTART
	v_dot2_f32_f16 v32, v41, v50, v32
	;;#ASMEND
	;;#ASMSTART
	v_dot2_f32_f16 v32, v42, v51, v32
	;;#ASMEND
	;;#ASMSTART
	v_dot2_f32_f16 v32, v43, v52, v32
	;;#ASMEND
	;;#ASMSTART
	v_dot2_f32_f16 v32, v44, v53, v32
	;;#ASMEND
	s_waitcnt lgkmcnt(1)
	;;#ASMSTART
	v_dot2_f32_f16 v33, v41, v54, v33
	;;#ASMEND
	;;#ASMSTART
	v_dot2_f32_f16 v33, v42, v55, v33
	;;#ASMEND
	;;#ASMSTART
	v_dot2_f32_f16 v33, v43, v56, v33
	;;#ASMEND
	;;#ASMSTART
	v_dot2_f32_f16 v33, v44, v57, v33
	;;#ASMEND
	s_waitcnt lgkmcnt(0)
	;;#ASMSTART
	v_dot2_f32_f16 v34, v58, v50, v34
	;;#ASMEND
	;;#ASMSTART
	v_dot2_f32_f16 v34, v59, v51, v34
	;;#ASMEND
	;;#ASMSTART
	v_dot2_f32_f16 v34, v60, v52, v34
	;;#ASMEND
	;;#ASMSTART
	v_dot2_f32_f16 v34, v61, v53, v34
	;;#ASMEND
	;;#ASMSTART
	v_dot2_f32_f16 v35, v58, v54, v35
	;;#ASMEND
	;;#ASMSTART
	v_dot2_f32_f16 v35, v59, v55, v35
	;;#ASMEND
	;;#ASMSTART
	v_dot2_f32_f16 v35, v60, v56, v35
	;;#ASMEND
	;;#ASMSTART
	v_dot2_f32_f16 v35, v61, v57, v35
	;;#ASMEND
	;; [unrolled: 55-line block ×8, first 2 shown]
	s_barrier
	buffer_gl0_inv
	s_clause 0x1
	global_load_b128 v[41:44], v[12:13], off offset:640
	global_load_b128 v[50:53], v[10:11], off offset:640
	s_waitcnt vmcnt(1)
	ds_store_b128 v119, v[41:44]
	s_waitcnt vmcnt(0)
	ds_store_b128 v120, v[50:53]
	s_waitcnt lgkmcnt(0)
	s_barrier
	buffer_gl0_inv
	ds_load_b128 v[41:44], v121 offset:18432
	ds_load_b128 v[50:53], v122 offset:640
	ds_load_b128 v[54:57], v122 offset:1792
	ds_load_b128 v[58:61], v121 offset:23040
	s_waitcnt lgkmcnt(2)
	;;#ASMSTART
	v_dot2_f32_f16 v32, v41, v50, v32
	;;#ASMEND
	;;#ASMSTART
	v_dot2_f32_f16 v32, v42, v51, v32
	;;#ASMEND
	;;#ASMSTART
	v_dot2_f32_f16 v32, v43, v52, v32
	;;#ASMEND
	;;#ASMSTART
	v_dot2_f32_f16 v32, v44, v53, v32
	;;#ASMEND
	s_waitcnt lgkmcnt(1)
	;;#ASMSTART
	v_dot2_f32_f16 v33, v41, v54, v33
	;;#ASMEND
	;;#ASMSTART
	v_dot2_f32_f16 v33, v42, v55, v33
	;;#ASMEND
	;;#ASMSTART
	v_dot2_f32_f16 v33, v43, v56, v33
	;;#ASMEND
	;;#ASMSTART
	v_dot2_f32_f16 v33, v44, v57, v33
	;;#ASMEND
	s_waitcnt lgkmcnt(0)
	;;#ASMSTART
	v_dot2_f32_f16 v34, v58, v50, v34
	;;#ASMEND
	;;#ASMSTART
	v_dot2_f32_f16 v34, v59, v51, v34
	;;#ASMEND
	;;#ASMSTART
	v_dot2_f32_f16 v34, v60, v52, v34
	;;#ASMEND
	;;#ASMSTART
	v_dot2_f32_f16 v34, v61, v53, v34
	;;#ASMEND
	;;#ASMSTART
	v_dot2_f32_f16 v35, v58, v54, v35
	;;#ASMEND
	;;#ASMSTART
	v_dot2_f32_f16 v35, v59, v55, v35
	;;#ASMEND
	;;#ASMSTART
	v_dot2_f32_f16 v35, v60, v56, v35
	;;#ASMEND
	;;#ASMSTART
	v_dot2_f32_f16 v35, v61, v57, v35
	;;#ASMEND
	ds_load_b128 v[41:44], v121 offset:18448
	ds_load_b128 v[50:53], v122 offset:656
	ds_load_b128 v[54:57], v122 offset:1808
	ds_load_b128 v[58:61], v121 offset:23056
	s_waitcnt lgkmcnt(2)
	;;#ASMSTART
	v_dot2_f32_f16 v32, v41, v50, v32
	;;#ASMEND
	;;#ASMSTART
	v_dot2_f32_f16 v32, v42, v51, v32
	;;#ASMEND
	;;#ASMSTART
	v_dot2_f32_f16 v32, v43, v52, v32
	;;#ASMEND
	;;#ASMSTART
	v_dot2_f32_f16 v32, v44, v53, v32
	;;#ASMEND
	s_waitcnt lgkmcnt(1)
	;;#ASMSTART
	v_dot2_f32_f16 v33, v41, v54, v33
	;;#ASMEND
	;;#ASMSTART
	v_dot2_f32_f16 v33, v42, v55, v33
	;;#ASMEND
	;;#ASMSTART
	v_dot2_f32_f16 v33, v43, v56, v33
	;;#ASMEND
	;;#ASMSTART
	v_dot2_f32_f16 v33, v44, v57, v33
	;;#ASMEND
	s_waitcnt lgkmcnt(0)
	;;#ASMSTART
	v_dot2_f32_f16 v34, v58, v50, v34
	;;#ASMEND
	;;#ASMSTART
	v_dot2_f32_f16 v34, v59, v51, v34
	;;#ASMEND
	;;#ASMSTART
	v_dot2_f32_f16 v34, v60, v52, v34
	;;#ASMEND
	;;#ASMSTART
	v_dot2_f32_f16 v34, v61, v53, v34
	;;#ASMEND
	;;#ASMSTART
	v_dot2_f32_f16 v35, v58, v54, v35
	;;#ASMEND
	;;#ASMSTART
	v_dot2_f32_f16 v35, v59, v55, v35
	;;#ASMEND
	;;#ASMSTART
	v_dot2_f32_f16 v35, v60, v56, v35
	;;#ASMEND
	;;#ASMSTART
	v_dot2_f32_f16 v35, v61, v57, v35
	;;#ASMEND
	;; [unrolled: 55-line block ×8, first 2 shown]
	s_barrier
	buffer_gl0_inv
	s_clause 0x1
	global_load_b128 v[41:44], v[12:13], off offset:768
	global_load_b128 v[50:53], v[10:11], off offset:768
	s_waitcnt vmcnt(1)
	ds_store_b128 v119, v[41:44]
	s_waitcnt vmcnt(0)
	ds_store_b128 v120, v[50:53]
	s_waitcnt lgkmcnt(0)
	s_barrier
	buffer_gl0_inv
	ds_load_b128 v[41:44], v121 offset:18432
	ds_load_b128 v[50:53], v122 offset:768
	ds_load_b128 v[54:57], v122 offset:1920
	ds_load_b128 v[58:61], v121 offset:23040
	s_waitcnt lgkmcnt(2)
	;;#ASMSTART
	v_dot2_f32_f16 v32, v41, v50, v32
	;;#ASMEND
	;;#ASMSTART
	v_dot2_f32_f16 v32, v42, v51, v32
	;;#ASMEND
	;;#ASMSTART
	v_dot2_f32_f16 v32, v43, v52, v32
	;;#ASMEND
	;;#ASMSTART
	v_dot2_f32_f16 v32, v44, v53, v32
	;;#ASMEND
	s_waitcnt lgkmcnt(1)
	;;#ASMSTART
	v_dot2_f32_f16 v33, v41, v54, v33
	;;#ASMEND
	;;#ASMSTART
	v_dot2_f32_f16 v33, v42, v55, v33
	;;#ASMEND
	;;#ASMSTART
	v_dot2_f32_f16 v33, v43, v56, v33
	;;#ASMEND
	;;#ASMSTART
	v_dot2_f32_f16 v33, v44, v57, v33
	;;#ASMEND
	s_waitcnt lgkmcnt(0)
	;;#ASMSTART
	v_dot2_f32_f16 v34, v58, v50, v34
	;;#ASMEND
	;;#ASMSTART
	v_dot2_f32_f16 v34, v59, v51, v34
	;;#ASMEND
	;;#ASMSTART
	v_dot2_f32_f16 v34, v60, v52, v34
	;;#ASMEND
	;;#ASMSTART
	v_dot2_f32_f16 v34, v61, v53, v34
	;;#ASMEND
	;;#ASMSTART
	v_dot2_f32_f16 v35, v58, v54, v35
	;;#ASMEND
	;;#ASMSTART
	v_dot2_f32_f16 v35, v59, v55, v35
	;;#ASMEND
	;;#ASMSTART
	v_dot2_f32_f16 v35, v60, v56, v35
	;;#ASMEND
	;;#ASMSTART
	v_dot2_f32_f16 v35, v61, v57, v35
	;;#ASMEND
	ds_load_b128 v[41:44], v121 offset:18448
	ds_load_b128 v[50:53], v122 offset:784
	ds_load_b128 v[54:57], v122 offset:1936
	ds_load_b128 v[58:61], v121 offset:23056
	s_waitcnt lgkmcnt(2)
	;;#ASMSTART
	v_dot2_f32_f16 v32, v41, v50, v32
	;;#ASMEND
	;;#ASMSTART
	v_dot2_f32_f16 v32, v42, v51, v32
	;;#ASMEND
	;;#ASMSTART
	v_dot2_f32_f16 v32, v43, v52, v32
	;;#ASMEND
	;;#ASMSTART
	v_dot2_f32_f16 v32, v44, v53, v32
	;;#ASMEND
	s_waitcnt lgkmcnt(1)
	;;#ASMSTART
	v_dot2_f32_f16 v33, v41, v54, v33
	;;#ASMEND
	;;#ASMSTART
	v_dot2_f32_f16 v33, v42, v55, v33
	;;#ASMEND
	;;#ASMSTART
	v_dot2_f32_f16 v33, v43, v56, v33
	;;#ASMEND
	;;#ASMSTART
	v_dot2_f32_f16 v33, v44, v57, v33
	;;#ASMEND
	s_waitcnt lgkmcnt(0)
	;;#ASMSTART
	v_dot2_f32_f16 v34, v58, v50, v34
	;;#ASMEND
	;;#ASMSTART
	v_dot2_f32_f16 v34, v59, v51, v34
	;;#ASMEND
	;;#ASMSTART
	v_dot2_f32_f16 v34, v60, v52, v34
	;;#ASMEND
	;;#ASMSTART
	v_dot2_f32_f16 v34, v61, v53, v34
	;;#ASMEND
	;;#ASMSTART
	v_dot2_f32_f16 v35, v58, v54, v35
	;;#ASMEND
	;;#ASMSTART
	v_dot2_f32_f16 v35, v59, v55, v35
	;;#ASMEND
	;;#ASMSTART
	v_dot2_f32_f16 v35, v60, v56, v35
	;;#ASMEND
	;;#ASMSTART
	v_dot2_f32_f16 v35, v61, v57, v35
	;;#ASMEND
	;; [unrolled: 55-line block ×8, first 2 shown]
	s_barrier
	buffer_gl0_inv
	s_clause 0x1
	global_load_b128 v[41:44], v[12:13], off offset:896
	global_load_b128 v[50:53], v[10:11], off offset:896
	s_waitcnt vmcnt(1)
	ds_store_b128 v119, v[41:44]
	s_waitcnt vmcnt(0)
	ds_store_b128 v120, v[50:53]
	s_waitcnt lgkmcnt(0)
	s_barrier
	buffer_gl0_inv
	ds_load_b128 v[41:44], v121 offset:18432
	ds_load_b128 v[50:53], v122 offset:896
	ds_load_b128 v[54:57], v122 offset:2048
	ds_load_b128 v[58:61], v121 offset:23040
	s_waitcnt lgkmcnt(2)
	;;#ASMSTART
	v_dot2_f32_f16 v32, v41, v50, v32
	;;#ASMEND
	;;#ASMSTART
	v_dot2_f32_f16 v32, v42, v51, v32
	;;#ASMEND
	;;#ASMSTART
	v_dot2_f32_f16 v32, v43, v52, v32
	;;#ASMEND
	;;#ASMSTART
	v_dot2_f32_f16 v32, v44, v53, v32
	;;#ASMEND
	s_waitcnt lgkmcnt(1)
	;;#ASMSTART
	v_dot2_f32_f16 v33, v41, v54, v33
	;;#ASMEND
	;;#ASMSTART
	v_dot2_f32_f16 v33, v42, v55, v33
	;;#ASMEND
	;;#ASMSTART
	v_dot2_f32_f16 v33, v43, v56, v33
	;;#ASMEND
	;;#ASMSTART
	v_dot2_f32_f16 v33, v44, v57, v33
	;;#ASMEND
	s_waitcnt lgkmcnt(0)
	;;#ASMSTART
	v_dot2_f32_f16 v34, v58, v50, v34
	;;#ASMEND
	;;#ASMSTART
	v_dot2_f32_f16 v34, v59, v51, v34
	;;#ASMEND
	;;#ASMSTART
	v_dot2_f32_f16 v34, v60, v52, v34
	;;#ASMEND
	;;#ASMSTART
	v_dot2_f32_f16 v34, v61, v53, v34
	;;#ASMEND
	;;#ASMSTART
	v_dot2_f32_f16 v35, v58, v54, v35
	;;#ASMEND
	;;#ASMSTART
	v_dot2_f32_f16 v35, v59, v55, v35
	;;#ASMEND
	;;#ASMSTART
	v_dot2_f32_f16 v35, v60, v56, v35
	;;#ASMEND
	;;#ASMSTART
	v_dot2_f32_f16 v35, v61, v57, v35
	;;#ASMEND
	ds_load_b128 v[41:44], v121 offset:18448
	ds_load_b128 v[50:53], v122 offset:912
	ds_load_b128 v[54:57], v122 offset:2064
	ds_load_b128 v[58:61], v121 offset:23056
	s_waitcnt lgkmcnt(2)
	;;#ASMSTART
	v_dot2_f32_f16 v32, v41, v50, v32
	;;#ASMEND
	;;#ASMSTART
	v_dot2_f32_f16 v32, v42, v51, v32
	;;#ASMEND
	;;#ASMSTART
	v_dot2_f32_f16 v32, v43, v52, v32
	;;#ASMEND
	;;#ASMSTART
	v_dot2_f32_f16 v32, v44, v53, v32
	;;#ASMEND
	s_waitcnt lgkmcnt(1)
	;;#ASMSTART
	v_dot2_f32_f16 v33, v41, v54, v33
	;;#ASMEND
	;;#ASMSTART
	v_dot2_f32_f16 v33, v42, v55, v33
	;;#ASMEND
	;;#ASMSTART
	v_dot2_f32_f16 v33, v43, v56, v33
	;;#ASMEND
	;;#ASMSTART
	v_dot2_f32_f16 v33, v44, v57, v33
	;;#ASMEND
	s_waitcnt lgkmcnt(0)
	;;#ASMSTART
	v_dot2_f32_f16 v34, v58, v50, v34
	;;#ASMEND
	;;#ASMSTART
	v_dot2_f32_f16 v34, v59, v51, v34
	;;#ASMEND
	;;#ASMSTART
	v_dot2_f32_f16 v34, v60, v52, v34
	;;#ASMEND
	;;#ASMSTART
	v_dot2_f32_f16 v34, v61, v53, v34
	;;#ASMEND
	;;#ASMSTART
	v_dot2_f32_f16 v35, v58, v54, v35
	;;#ASMEND
	;;#ASMSTART
	v_dot2_f32_f16 v35, v59, v55, v35
	;;#ASMEND
	;;#ASMSTART
	v_dot2_f32_f16 v35, v60, v56, v35
	;;#ASMEND
	;;#ASMSTART
	v_dot2_f32_f16 v35, v61, v57, v35
	;;#ASMEND
	;; [unrolled: 55-line block ×8, first 2 shown]
	s_barrier
	buffer_gl0_inv
	s_clause 0x1
	global_load_b128 v[41:44], v[12:13], off offset:1024
	global_load_b128 v[10:13], v[10:11], off offset:1024
	s_waitcnt vmcnt(1)
	ds_store_b128 v119, v[41:44]
	s_waitcnt vmcnt(0)
	ds_store_b128 v120, v[10:13]
	s_waitcnt lgkmcnt(0)
	s_barrier
	buffer_gl0_inv
	ds_load_b128 v[10:13], v121 offset:18432
	ds_load_b128 v[41:44], v122 offset:1024
	ds_load_b128 v[50:53], v122 offset:2176
	ds_load_b128 v[54:57], v121 offset:23040
	s_waitcnt lgkmcnt(2)
	;;#ASMSTART
	v_dot2_f32_f16 v32, v10, v41, v32
	;;#ASMEND
	;;#ASMSTART
	v_dot2_f32_f16 v32, v11, v42, v32
	;;#ASMEND
	;;#ASMSTART
	v_dot2_f32_f16 v32, v12, v43, v32
	;;#ASMEND
	;;#ASMSTART
	v_dot2_f32_f16 v32, v13, v44, v32
	;;#ASMEND
	s_waitcnt lgkmcnt(1)
	;;#ASMSTART
	v_dot2_f32_f16 v33, v10, v50, v33
	;;#ASMEND
	;;#ASMSTART
	v_dot2_f32_f16 v33, v11, v51, v33
	;;#ASMEND
	;;#ASMSTART
	v_dot2_f32_f16 v33, v12, v52, v33
	;;#ASMEND
	;;#ASMSTART
	v_dot2_f32_f16 v33, v13, v53, v33
	;;#ASMEND
	s_waitcnt lgkmcnt(0)
	;;#ASMSTART
	v_dot2_f32_f16 v34, v54, v41, v34
	;;#ASMEND
	;;#ASMSTART
	v_dot2_f32_f16 v34, v55, v42, v34
	;;#ASMEND
	;;#ASMSTART
	v_dot2_f32_f16 v34, v56, v43, v34
	;;#ASMEND
	;;#ASMSTART
	v_dot2_f32_f16 v34, v57, v44, v34
	;;#ASMEND
	;;#ASMSTART
	v_dot2_f32_f16 v35, v54, v50, v35
	;;#ASMEND
	;;#ASMSTART
	v_dot2_f32_f16 v35, v55, v51, v35
	;;#ASMEND
	;;#ASMSTART
	v_dot2_f32_f16 v35, v56, v52, v35
	;;#ASMEND
	;;#ASMSTART
	v_dot2_f32_f16 v35, v57, v53, v35
	;;#ASMEND
	ds_load_b128 v[10:13], v121 offset:18448
	ds_load_b128 v[41:44], v122 offset:1040
	ds_load_b128 v[50:53], v122 offset:2192
	ds_load_b128 v[54:57], v121 offset:23056
	s_waitcnt lgkmcnt(2)
	;;#ASMSTART
	v_dot2_f32_f16 v32, v10, v41, v32
	;;#ASMEND
	;;#ASMSTART
	v_dot2_f32_f16 v32, v11, v42, v32
	;;#ASMEND
	;;#ASMSTART
	v_dot2_f32_f16 v32, v12, v43, v32
	;;#ASMEND
	;;#ASMSTART
	v_dot2_f32_f16 v32, v13, v44, v32
	;;#ASMEND
	s_waitcnt lgkmcnt(1)
	;;#ASMSTART
	v_dot2_f32_f16 v33, v10, v50, v33
	;;#ASMEND
	;;#ASMSTART
	v_dot2_f32_f16 v33, v11, v51, v33
	;;#ASMEND
	;;#ASMSTART
	v_dot2_f32_f16 v33, v12, v52, v33
	;;#ASMEND
	;;#ASMSTART
	v_dot2_f32_f16 v33, v13, v53, v33
	;;#ASMEND
	s_waitcnt lgkmcnt(0)
	;;#ASMSTART
	v_dot2_f32_f16 v34, v54, v41, v34
	;;#ASMEND
	;;#ASMSTART
	v_dot2_f32_f16 v34, v55, v42, v34
	;;#ASMEND
	;;#ASMSTART
	v_dot2_f32_f16 v34, v56, v43, v34
	;;#ASMEND
	;;#ASMSTART
	v_dot2_f32_f16 v34, v57, v44, v34
	;;#ASMEND
	;;#ASMSTART
	v_dot2_f32_f16 v35, v54, v50, v35
	;;#ASMEND
	;;#ASMSTART
	v_dot2_f32_f16 v35, v55, v51, v35
	;;#ASMEND
	;;#ASMSTART
	v_dot2_f32_f16 v35, v56, v52, v35
	;;#ASMEND
	;;#ASMSTART
	v_dot2_f32_f16 v35, v57, v53, v35
	;;#ASMEND
	;; [unrolled: 55-line block ×7, first 2 shown]
	ds_load_b128 v[10:13], v121 offset:18544
	ds_load_b128 v[41:44], v122 offset:1136
	;; [unrolled: 1-line block ×4, first 2 shown]
	s_waitcnt lgkmcnt(2)
	;;#ASMSTART
	v_dot2_f32_f16 v32, v10, v41, v32
	;;#ASMEND
	;;#ASMSTART
	v_dot2_f32_f16 v32, v11, v42, v32
	;;#ASMEND
	;;#ASMSTART
	v_dot2_f32_f16 v32, v12, v43, v32
	;;#ASMEND
	;;#ASMSTART
	v_dot2_f32_f16 v32, v13, v44, v32
	;;#ASMEND
	s_waitcnt lgkmcnt(1)
	;;#ASMSTART
	v_dot2_f32_f16 v33, v10, v50, v33
	;;#ASMEND
	;;#ASMSTART
	v_dot2_f32_f16 v33, v11, v51, v33
	;;#ASMEND
	;;#ASMSTART
	v_dot2_f32_f16 v33, v12, v52, v33
	;;#ASMEND
	;;#ASMSTART
	v_dot2_f32_f16 v33, v13, v53, v33
	;;#ASMEND
	;; [unrolled: 13-line block ×3, first 2 shown]
	v_add_nc_u32_e32 v0, s13, v102
	;;#ASMSTART
	v_dot2_f32_f16 v35, v54, v50, v35
	;;#ASMEND
	;;#ASMSTART
	v_dot2_f32_f16 v35, v55, v51, v35
	;;#ASMEND
	;; [unrolled: 3-line block ×4, first 2 shown]
	v_ashrrev_i32_e32 v1, 31, v0
	v_mov_b32_e32 v183, v118
	s_delay_alu instid0(VALU_DEP_2) | instskip(SKIP_1) | instid1(VALU_DEP_1)
	v_lshlrev_b64 v[8:9], 1, v[0:1]
	v_add_co_u32 v0, s4, v127, s8
	v_add_co_ci_u32_e64 v1, s2, s9, v128, s4
	s_delay_alu instid0(VALU_DEP_3) | instskip(NEXT) | instid1(VALU_DEP_4)
	v_add_co_u32 v8, vcc_lo, s40, v8
	v_add_co_ci_u32_e32 v9, vcc_lo, s41, v9, vcc_lo
	s_clause 0x1
	flat_load_u16 v12, v[8:9]
	flat_load_u16 v13, v[8:9] offset:64
	s_waitcnt vmcnt(0) lgkmcnt(0)
	s_barrier
	buffer_gl0_inv
	s_clause 0x1
	global_load_b128 v[8:11], v[6:7], off
	global_load_b128 v[41:44], v[6:7], off offset:512
	v_cvt_f32_f16_e32 v6, v12
	v_cvt_f32_f16_e32 v7, v13
	v_lshlrev_b32_e32 v40, 2, v2
	v_add_co_u32 v2, s3, v127, s26
	s_delay_alu instid0(VALU_DEP_3) | instskip(SKIP_2) | instid1(VALU_DEP_3)
	v_dual_add_f32 v12, v32, v6 :: v_dual_add_f32 v13, v34, v7
	v_dual_add_f32 v7, v35, v7 :: v_dual_add_f32 v6, v33, v6
	v_add_co_ci_u32_e64 v3, s2, s27, v128, s3
	v_dual_add_f32 v32, 0x40051340, v12 :: v_dual_add_f32 v33, 0x40051340, v13
	s_delay_alu instid0(VALU_DEP_3) | instskip(NEXT) | instid1(VALU_DEP_2)
	v_dual_add_f32 v34, 0x40051340, v6 :: v_dual_add_f32 v35, 0x40051340, v7
	v_max3_f32 v32, v31, v32, v33
	s_delay_alu instid0(VALU_DEP_2) | instskip(SKIP_4) | instid1(VALU_DEP_1)
	v_max3_f32 v33, v30, v34, v35
	ds_bpermute_b32 v34, v40, v32
	ds_bpermute_b32 v35, v40, v33
	s_waitcnt lgkmcnt(0)
	v_max_f32_e32 v35, v35, v35
	v_max_f32_e32 v33, v33, v35
	ds_bpermute_b32 v35, v39, v33
	s_waitcnt lgkmcnt(0)
	v_dual_max_f32 v35, v35, v35 :: v_dual_max_f32 v34, v34, v34
	s_delay_alu instid0(VALU_DEP_1)
	v_max_f32_e32 v33, v33, v35
	ds_bpermute_b32 v35, v38, v33
	s_waitcnt lgkmcnt(0)
	v_dual_max_f32 v32, v32, v34 :: v_dual_max_f32 v35, v35, v35
	ds_bpermute_b32 v34, v39, v32
	v_max_f32_e32 v33, v33, v35
	ds_bpermute_b32 v35, v37, v33
	s_waitcnt lgkmcnt(1)
	v_max_f32_e32 v34, v34, v34
	s_waitcnt lgkmcnt(0)
	s_delay_alu instid0(VALU_DEP_1)
	v_dual_max_f32 v32, v32, v34 :: v_dual_max_f32 v35, v35, v35
	ds_bpermute_b32 v34, v38, v32
	v_max_f32_e32 v33, v33, v35
	ds_bpermute_b32 v35, v36, v33
	s_waitcnt lgkmcnt(1)
	v_max_f32_e32 v34, v34, v34
	s_waitcnt lgkmcnt(0)
	s_delay_alu instid0(VALU_DEP_1) | instskip(SKIP_2) | instid1(VALU_DEP_1)
	v_dual_max_f32 v32, v32, v34 :: v_dual_max_f32 v35, v35, v35
	ds_bpermute_b32 v34, v37, v32
	v_max_f32_e32 v108, v33, v35
	v_sub_f32_e32 v6, v6, v108
	v_sub_f32_e32 v7, v7, v108
	s_delay_alu instid0(VALU_DEP_2) | instskip(SKIP_1) | instid1(VALU_DEP_3)
	v_mul_f32_e32 v33, 0x3fb8aa3b, v6
	v_cmp_ngt_f32_e32 vcc_lo, 0xc2ce8ed0, v6
	v_cmp_ngt_f32_e64 s4, 0xc2ce8ed0, v7
	v_cmp_nlt_f32_e64 s7, 0x42b17218, v6
	v_cmp_nlt_f32_e64 s10, 0x42b17218, v7
	v_fma_f32 v40, 0x3fb8aa3b, v6, -v33
	s_waitcnt lgkmcnt(0)
	v_max_f32_e32 v34, v34, v34
	v_rndne_f32_e32 v45, v33
	s_delay_alu instid0(VALU_DEP_2) | instskip(SKIP_3) | instid1(VALU_DEP_1)
	v_max_f32_e32 v32, v32, v34
	ds_bpermute_b32 v34, v36, v32
	s_waitcnt lgkmcnt(0)
	v_max_f32_e32 v34, v34, v34
	v_max_f32_e32 v107, v32, v34
	s_delay_alu instid0(VALU_DEP_1) | instskip(SKIP_1) | instid1(VALU_DEP_2)
	v_dual_sub_f32 v31, v31, v107 :: v_dual_sub_f32 v30, v30, v108
	v_sub_f32_e32 v13, v13, v107
	v_mul_f32_e32 v35, 0x3fb8aa3b, v31
	s_delay_alu instid0(VALU_DEP_3) | instskip(SKIP_2) | instid1(VALU_DEP_4)
	v_dual_sub_f32 v12, v12, v107 :: v_dual_mul_f32 v37, 0x3fb8aa3b, v30
	v_cmp_ngt_f32_e64 s5, 0xc2ce8ed0, v30
	v_cmp_nlt_f32_e64 s11, 0x42b17218, v30
	v_fma_f32 v50, 0x3fb8aa3b, v31, -v35
	v_rndne_f32_e32 v51, v35
	v_fma_f32 v54, 0x3fb8aa3b, v30, -v37
	v_rndne_f32_e32 v55, v37
	v_mul_f32_e32 v32, 0x3fb8aa3b, v13
	v_cmp_ngt_f32_e64 s3, 0xc2ce8ed0, v31
	v_cmp_nlt_f32_e64 s9, 0x42b17218, v31
	v_fmac_f32_e32 v54, 0x32a5705f, v30
	v_sub_f32_e32 v30, v37, v55
	v_fmac_f32_e32 v50, 0x32a5705f, v31
	v_sub_f32_e32 v31, v35, v51
	v_fma_f32 v38, 0x3fb8aa3b, v13, -v32
	v_rndne_f32_e32 v39, v32
	v_add_f32_e32 v30, v30, v54
	v_cvt_i32_f32_e32 v37, v55
	v_mul_f32_e32 v34, 0x3fb8aa3b, v12
	v_cmp_ngt_f32_e64 s6, 0xc2ce8ed0, v13
	v_cmp_nlt_f32_e64 s12, 0x42b17218, v13
	v_exp_f32_e32 v30, v30
	v_dual_fmac_f32 v38, 0x32a5705f, v13 :: v_dual_add_f32 v31, v31, v50
	v_sub_f32_e32 v13, v32, v39
	v_mul_f32_e32 v36, 0x3fb8aa3b, v7
	v_fma_f32 v46, 0x3fb8aa3b, v12, -v34
	v_rndne_f32_e32 v47, v34
	v_cmp_ngt_f32_e64 s2, 0xc2ce8ed0, v12
	v_add_f32_e32 v13, v13, v38
	v_fma_f32 v52, 0x3fb8aa3b, v7, -v36
	s_delay_alu instid0(TRANS32_DEP_1)
	v_ldexp_f32 v30, v30, v37
	v_rndne_f32_e32 v53, v36
	v_cmp_nlt_f32_e64 s8, 0x42b17218, v12
	v_fmac_f32_e32 v40, 0x32a5705f, v6
	v_fmac_f32_e32 v46, 0x32a5705f, v12
	v_cndmask_b32_e64 v30, 0, v30, s5
	v_sub_f32_e32 v12, v34, v47
	v_exp_f32_e32 v13, v13
	v_cvt_i32_f32_e32 v32, v39
	v_cvt_i32_f32_e32 v34, v47
	v_cndmask_b32_e64 v134, 0x7f800000, v30, s11
	v_dual_fmac_f32 v52, 0x32a5705f, v7 :: v_dual_sub_f32 v7, v36, v53
	v_sub_f32_e32 v6, v33, v45
	v_add_f32_e32 v12, v12, v46
	v_cvt_i32_f32_e32 v33, v45
	v_cvt_i32_f32_e32 v36, v53
	v_add_f32_e32 v7, v7, v52
	v_add_f32_e32 v6, v6, v40
	v_exp_f32_e32 v12, v12
	v_exp_f32_e32 v31, v31
	v_cvt_i32_f32_e32 v35, v51
	v_exp_f32_e32 v7, v7
	v_exp_f32_e32 v6, v6
	v_ldexp_f32 v13, v13, v32
	v_cvt_f16_f32_e64 v94, v134
	v_ldexp_f32 v12, v12, v34
	s_delay_alu instid0(TRANS32_DEP_3) | instskip(NEXT) | instid1(VALU_DEP_4)
	v_ldexp_f32 v31, v31, v35
	v_cndmask_b32_e64 v13, 0, v13, s6
	s_delay_alu instid0(TRANS32_DEP_2) | instskip(NEXT) | instid1(TRANS32_DEP_1)
	v_ldexp_f32 v7, v7, v36
	v_ldexp_f32 v6, v6, v33
	v_cndmask_b32_e64 v12, 0, v12, s2
	v_cndmask_b32_e64 v31, 0, v31, s3
	;; [unrolled: 1-line block ×4, first 2 shown]
	v_cndmask_b32_e32 v6, 0, v6, vcc_lo
	v_cndmask_b32_e64 v139, 0x7f800000, v12, s8
	v_cndmask_b32_e64 v135, 0x7f800000, v31, s9
	v_pk_mul_f16 v99, v94, v21 op_sel_hi:[0,1]
	v_cndmask_b32_e64 v137, 0x7f800000, v7, s10
	v_cndmask_b32_e64 v136, 0x7f800000, v6, s7
	v_cvt_f16_f32_e64 v6, v138
	v_cvt_f16_f32_e64 v12, v139
	;; [unrolled: 1-line block ×5, first 2 shown]
	v_pk_mul_f16 v140, v94, v19 op_sel_hi:[0,1]
	v_pk_mul_f16 v141, v94, v20 op_sel_hi:[0,1]
	;; [unrolled: 1-line block ×3, first 2 shown]
	v_pack_b32_f16 v6, v6, v13
	v_pack_b32_f16 v7, v12, v7
	v_pk_mul_f16 v96, v47, v29 op_sel_hi:[0,1]
	v_pk_mul_f16 v97, v47, v27 op_sel_hi:[0,1]
	;; [unrolled: 1-line block ×7, first 2 shown]
	ds_store_2addr_b32 v130, v7, v6 offset1:32
	s_waitcnt vmcnt(1)
	ds_store_b128 v124, v[8:11]
	s_waitcnt vmcnt(0)
	ds_store_b128 v125, v[41:44]
	s_waitcnt lgkmcnt(0)
	s_barrier
	buffer_gl0_inv
	ds_load_2addr_b64 v[6:9], v126 offset1:32
	ds_load_2addr_b64 v[10:13], v126 offset0:64 offset1:96
	ds_load_b128 v[14:17], v123
	ds_load_b128 v[19:22], v123 offset:16
	ds_load_2addr_b64 v[27:30], v126 offset0:128 offset1:160
	ds_load_2addr_b64 v[31:34], v126 offset0:192 offset1:224
	ds_load_2addr_b64 v[35:38], v131 offset1:32
	ds_load_2addr_b64 v[39:42], v131 offset0:64 offset1:96
	ds_load_2addr_b64 v[43:46], v131 offset0:128 offset1:160
	ds_load_2addr_b64 v[50:53], v131 offset0:192 offset1:224
	ds_load_2addr_b64 v[54:57], v132 offset1:32
	ds_load_2addr_b64 v[58:61], v132 offset0:64 offset1:96
	;; [unrolled: 4-line block ×3, first 2 shown]
	ds_load_2addr_b64 v[78:81], v133 offset0:128 offset1:160
	ds_load_2addr_b64 v[82:85], v133 offset0:192 offset1:224
	s_waitcnt lgkmcnt(0)
	s_barrier
	buffer_gl0_inv
	s_clause 0x1
	global_load_b128 v[86:89], v[4:5], off
	global_load_b128 v[90:93], v[4:5], off offset:512
	v_pk_mul_f16 v25, v47, v25 op_sel_hi:[0,1]
	v_pk_mul_f16 v23, v47, v23 op_sel_hi:[0,1]
	;; [unrolled: 1-line block ×3, first 2 shown]
	v_pk_mul_f16 v5, v6, v14 op_sel:[0,1]
	v_pk_mul_f16 v6, v7, v14 op_sel_hi:[1,0]
	v_pk_fma_f16 v7, v7, v14, v99 op_sel:[0,1,0]
	v_pk_fma_f16 v95, v8, v14, v95 op_sel_hi:[1,0,1]
	v_pk_fma_f16 v8, v8, v14, v140 op_sel:[0,1,0]
	v_pk_fma_f16 v96, v9, v14, v96 op_sel_hi:[1,0,1]
	;; [unrolled: 2-line block ×7, first 2 shown]
	v_pk_fma_f16 v5, v94, v18, v5 op_sel_hi:[0,1,1]
	v_pk_fma_f16 v6, v47, v26, v6 op_sel_hi:[0,1,1]
	v_pk_fma_f16 v7, v28, v15, v7 op_sel:[0,1,0]
	v_pk_fma_f16 v14, v29, v15, v95 op_sel_hi:[1,0,1]
	v_pk_fma_f16 v8, v29, v15, v8 op_sel:[0,1,0]
	;; [unrolled: 2-line block ×48, first 2 shown]
	v_pk_fma_f16 v21, v71, v21, v6 op_sel_hi:[1,0,1]
	s_waitcnt vmcnt(1)
	ds_store_b128 v124, v[86:89]
	s_waitcnt vmcnt(0)
	ds_store_b128 v125, v[90:93]
	s_waitcnt lgkmcnt(0)
	s_barrier
	buffer_gl0_inv
	ds_load_2addr_b64 v[4:7], v126 offset1:32
	ds_load_2addr_b64 v[8:11], v126 offset0:64 offset1:96
	ds_load_b128 v[12:15], v123 offset:32
	ds_load_b128 v[16:19], v123 offset:48
	ds_load_2addr_b64 v[23:26], v126 offset0:128 offset1:160
	ds_load_2addr_b64 v[27:30], v126 offset0:192 offset1:224
	ds_load_2addr_b64 v[31:34], v131 offset1:32
	ds_load_2addr_b64 v[35:38], v131 offset0:64 offset1:96
	ds_load_2addr_b64 v[39:42], v131 offset0:128 offset1:160
	ds_load_2addr_b64 v[43:46], v131 offset0:192 offset1:224
	ds_load_2addr_b64 v[50:53], v132 offset1:32
	ds_load_2addr_b64 v[54:57], v132 offset0:64 offset1:96
	;; [unrolled: 4-line block ×3, first 2 shown]
	ds_load_2addr_b64 v[74:77], v133 offset0:128 offset1:160
	ds_load_2addr_b64 v[86:89], v133 offset0:192 offset1:224
	s_waitcnt lgkmcnt(0)
	s_barrier
	buffer_gl0_inv
	s_clause 0x1
	global_load_b128 v[90:93], v[2:3], off
	global_load_b128 v[94:97], v[2:3], off offset:512
	v_pk_fma_f16 v2, v79, v22, v20 op_sel:[0,1,0]
	v_pk_fma_f16 v3, v80, v22, v47 op_sel_hi:[1,0,1]
	v_pk_fma_f16 v20, v80, v22, v98 op_sel:[0,1,0]
	v_pk_fma_f16 v47, v81, v22, v99 op_sel_hi:[1,0,1]
	;; [unrolled: 2-line block ×3, first 2 shown]
	v_pk_fma_f16 v141, v78, v22, v149 op_sel_hi:[1,0,1]
	v_pk_fma_f16 v78, v78, v22, v150 op_sel:[0,1,0]
	v_pk_fma_f16 v82, v82, v22, v142 op_sel:[0,1,0]
	v_pk_fma_f16 v98, v83, v22, v143 op_sel_hi:[1,0,1]
	v_pk_fma_f16 v83, v83, v22, v144 op_sel:[0,1,0]
	v_pk_fma_f16 v99, v84, v22, v145 op_sel_hi:[1,0,1]
	;; [unrolled: 2-line block ×4, first 2 shown]
	v_pk_fma_f16 v22, v4, v12, v141 op_sel_hi:[1,0,1]
	v_pk_fma_f16 v4, v4, v12, v78 op_sel:[0,1,0]
	v_pk_fma_f16 v2, v5, v12, v2 op_sel:[0,1,0]
	v_pk_fma_f16 v3, v6, v12, v3 op_sel_hi:[1,0,1]
	v_pk_fma_f16 v21, v5, v12, v21 op_sel_hi:[1,0,1]
	v_pk_fma_f16 v5, v6, v12, v20 op_sel:[0,1,0]
	v_pk_fma_f16 v6, v7, v12, v47 op_sel_hi:[1,0,1]
	v_pk_fma_f16 v7, v7, v12, v80 op_sel:[0,1,0]
	;; [unrolled: 2-line block ×31, first 2 shown]
	s_waitcnt vmcnt(1)
	ds_store_b128 v124, v[90:93]
	s_waitcnt vmcnt(0)
	ds_store_b128 v125, v[94:97]
	s_waitcnt lgkmcnt(0)
	s_barrier
	buffer_gl0_inv
	ds_load_2addr_b64 v[2:5], v126 offset1:32
	ds_load_2addr_b64 v[6:9], v126 offset0:64 offset1:96
	ds_load_b128 v[78:81], v123 offset:64
	ds_load_b128 v[82:85], v123 offset:80
	ds_load_2addr_b64 v[10:13], v126 offset0:128 offset1:160
	ds_load_2addr_b64 v[20:23], v126 offset0:192 offset1:224
	ds_load_2addr_b64 v[24:27], v131 offset1:32
	ds_load_2addr_b64 v[28:31], v131 offset0:64 offset1:96
	ds_load_2addr_b64 v[90:93], v131 offset0:128 offset1:160
	ds_load_2addr_b64 v[94:97], v131 offset0:192 offset1:224
	ds_load_2addr_b64 v[140:143], v132 offset1:32
	ds_load_2addr_b64 v[144:147], v132 offset0:64 offset1:96
	;; [unrolled: 4-line block ×3, first 2 shown]
	ds_load_2addr_b64 v[164:167], v133 offset0:128 offset1:160
	ds_load_2addr_b64 v[168:171], v133 offset0:192 offset1:224
	s_waitcnt lgkmcnt(0)
	s_barrier
	buffer_gl0_inv
	s_clause 0x1
	global_load_b128 v[32:35], v[0:1], off
	global_load_b128 v[36:39], v[0:1], off offset:512
	v_pk_fma_f16 v0, v51, v16, v14 op_sel_hi:[1,0,1]
	v_pk_fma_f16 v1, v51, v16, v40 op_sel:[0,1,0]
	v_pk_fma_f16 v14, v52, v16, v47 op_sel_hi:[1,0,1]
	v_pk_fma_f16 v40, v52, v16, v41 op_sel:[0,1,0]
	;; [unrolled: 2-line block ×55, first 2 shown]
	s_waitcnt vmcnt(1)
	ds_store_b128 v124, v[32:35]
	s_waitcnt vmcnt(0)
	ds_store_b128 v125, v[36:39]
	s_waitcnt lgkmcnt(0)
	s_barrier
	buffer_gl0_inv
	ds_load_2addr_b64 v[50:53], v126 offset1:32
	ds_load_2addr_b64 v[54:57], v126 offset0:64 offset1:96
	ds_load_b128 v[32:35], v123 offset:96
	ds_load_b128 v[0:3], v123 offset:112
	ds_load_2addr_b64 v[58:61], v126 offset0:128 offset1:160
	ds_load_2addr_b64 v[62:65], v126 offset0:192 offset1:224
	ds_load_2addr_b64 v[66:69], v131 offset1:32
	ds_load_2addr_b64 v[70:73], v131 offset0:64 offset1:96
	ds_load_2addr_b64 v[44:47], v131 offset0:128 offset1:160
	ds_load_2addr_b64 v[40:43], v131 offset0:192 offset1:224
	ds_load_2addr_b64 v[36:39], v132 offset1:32
	ds_load_2addr_b64 v[28:31], v132 offset0:64 offset1:96
	;; [unrolled: 4-line block ×3, first 2 shown]
	ds_load_2addr_b64 v[8:11], v133 offset0:128 offset1:160
	ds_load_2addr_b64 v[4:7], v133 offset0:192 offset1:224
	s_waitcnt lgkmcnt(0)
	s_barrier
	buffer_gl0_inv
	s_clause 0x1
	global_load_b128 v[74:77], v[48:49], off
	global_load_b128 v[86:89], v[48:49], off offset:512
	v_pk_fma_f16 v48, v90, v81, v78 op_sel_hi:[1,0,1]
	v_pk_fma_f16 v49, v90, v81, v79 op_sel:[0,1,0]
	v_pk_fma_f16 v78, v91, v81, v98 op_sel_hi:[1,0,1]
	v_pk_fma_f16 v79, v91, v81, v99 op_sel:[0,1,0]
	;; [unrolled: 2-line block ×40, first 2 shown]
	s_mul_hi_i32 s3, s20, s22
	s_mul_i32 s2, s20, s22
	v_pk_fma_f16 v48, v50, v32, v48 op_sel_hi:[1,0,1]
	v_pk_fma_f16 v49, v50, v32, v49 op_sel:[0,1,0]
	v_pk_fma_f16 v50, v51, v32, v78 op_sel_hi:[1,0,1]
	v_pk_fma_f16 v51, v51, v32, v79 op_sel:[0,1,0]
	;; [unrolled: 2-line block ×8, first 2 shown]
	s_lshl_b64 s[2:3], s[2:3], 2
	v_pk_fma_f16 v48, v58, v33, v48 op_sel_hi:[1,0,1]
	v_add_co_u32 v172, vcc_lo, v127, s2
	v_add_co_ci_u32_e32 v173, vcc_lo, s3, v128, vcc_lo
	v_pk_fma_f16 v49, v58, v33, v49 op_sel:[0,1,0]
	v_pk_fma_f16 v50, v59, v33, v50 op_sel_hi:[1,0,1]
	v_pk_fma_f16 v51, v59, v33, v51 op_sel:[0,1,0]
	v_pk_fma_f16 v57, v60, v33, v78 op_sel_hi:[1,0,1]
	;; [unrolled: 2-line block ×15, first 2 shown]
	v_pk_fma_f16 v34, v73, v34, v63 op_sel:[0,1,0]
	s_waitcnt vmcnt(1)
	ds_store_b128 v124, v[74:77]
	s_waitcnt vmcnt(0)
	ds_store_b128 v125, v[86:89]
	s_waitcnt lgkmcnt(0)
	s_barrier
	buffer_gl0_inv
	ds_load_2addr_b64 v[146:149], v126 offset1:32
	ds_load_2addr_b64 v[150:153], v126 offset0:64 offset1:96
	ds_load_b128 v[80:83], v123 offset:128
	ds_load_b128 v[48:51], v123 offset:144
	ds_load_2addr_b64 v[154:157], v126 offset0:128 offset1:160
	ds_load_2addr_b64 v[158:161], v126 offset0:192 offset1:224
	ds_load_2addr_b64 v[162:165], v131 offset1:32
	ds_load_2addr_b64 v[96:99], v131 offset0:64 offset1:96
	ds_load_2addr_b64 v[92:95], v131 offset0:128 offset1:160
	ds_load_2addr_b64 v[88:91], v131 offset0:192 offset1:224
	ds_load_2addr_b64 v[84:87], v132 offset1:32
	ds_load_2addr_b64 v[76:79], v132 offset0:64 offset1:96
	ds_load_2addr_b64 v[72:75], v132 offset0:128 offset1:160
	ds_load_2addr_b64 v[68:71], v132 offset0:192 offset1:224
	ds_load_2addr_b64 v[64:67], v133 offset1:32
	ds_load_2addr_b64 v[60:63], v133 offset0:64 offset1:96
	ds_load_2addr_b64 v[56:59], v133 offset0:128 offset1:160
	ds_load_2addr_b64 v[52:55], v133 offset0:192 offset1:224
	s_waitcnt lgkmcnt(0)
	s_barrier
	buffer_gl0_inv
	s_clause 0x1
	global_load_b128 v[166:169], v[172:173], off
	global_load_b128 v[170:173], v[172:173], off offset:512
	v_add_f32_e32 v118, v139, v138
	v_add_f32_e32 v184, v136, v137
	v_pk_fma_f16 v32, v44, v35, v32 op_sel_hi:[1,0,1]
	v_pk_fma_f16 v33, v44, v35, v33 op_sel:[0,1,0]
	v_pk_fma_f16 v44, v45, v35, v140 op_sel_hi:[1,0,1]
	v_fmac_f32_e32 v118, v183, v135
	v_pk_fma_f16 v45, v45, v35, v141 op_sel:[0,1,0]
	v_pk_fma_f16 v135, v46, v35, v142 op_sel_hi:[1,0,1]
	v_pk_fma_f16 v46, v46, v35, v143 op_sel:[0,1,0]
	v_pk_fma_f16 v136, v47, v35, v144 op_sel_hi:[1,0,1]
	;; [unrolled: 2-line block ×34, first 2 shown]
	v_pk_fma_f16 v11, v11, v3, v19 op_sel:[0,1,0]
	s_or_b32 s2, s13, 48
	v_pk_fma_f16 v17, v4, v3, v26 op_sel_hi:[1,0,1]
	s_mul_hi_i32 s3, s2, s22
	s_mul_i32 s2, s2, s22
	v_pk_fma_f16 v4, v4, v3, v12 op_sel:[0,1,0]
	v_pk_fma_f16 v12, v5, v3, v20 op_sel_hi:[1,0,1]
	v_pk_fma_f16 v5, v5, v3, v13 op_sel:[0,1,0]
	v_pk_fma_f16 v13, v6, v3, v21 op_sel_hi:[1,0,1]
	;; [unrolled: 2-line block ×7, first 2 shown]
	v_pk_fma_f16 v11, v149, v80, v11 op_sel:[0,1,0]
	s_lshl_b64 s[2:3], s[2:3], 2
	v_pk_fma_f16 v15, v150, v80, v17 op_sel_hi:[1,0,1]
	v_add_co_u32 v174, vcc_lo, v127, s2
	v_add_co_ci_u32_e32 v175, vcc_lo, s3, v128, vcc_lo
	v_pk_fma_f16 v4, v150, v80, v4 op_sel:[0,1,0]
	v_pk_fma_f16 v12, v151, v80, v12 op_sel_hi:[1,0,1]
	v_pk_fma_f16 v5, v151, v80, v5 op_sel:[0,1,0]
	v_pk_fma_f16 v13, v152, v80, v13 op_sel_hi:[1,0,1]
	;; [unrolled: 2-line block ×15, first 2 shown]
	v_pk_fma_f16 v190, v165, v82, v11 op_sel:[0,1,0]
	s_waitcnt vmcnt(1)
	ds_store_b128 v124, v[166:169]
	s_waitcnt vmcnt(0)
	ds_store_b128 v125, v[170:173]
	s_waitcnt lgkmcnt(0)
	s_barrier
	buffer_gl0_inv
	ds_load_2addr_b64 v[0:3], v126 offset1:32
	ds_load_2addr_b64 v[4:7], v126 offset0:64 offset1:96
	ds_load_b128 v[8:11], v123 offset:160
	ds_load_b128 v[12:15], v123 offset:176
	ds_load_2addr_b64 v[16:19], v126 offset0:128 offset1:160
	ds_load_2addr_b64 v[20:23], v126 offset0:192 offset1:224
	ds_load_2addr_b64 v[24:27], v131 offset1:32
	ds_load_2addr_b64 v[28:31], v131 offset0:64 offset1:96
	ds_load_2addr_b64 v[32:35], v131 offset0:128 offset1:160
	ds_load_2addr_b64 v[36:39], v131 offset0:192 offset1:224
	ds_load_2addr_b64 v[40:43], v132 offset1:32
	ds_load_2addr_b64 v[44:47], v132 offset0:64 offset1:96
	;; [unrolled: 4-line block ×3, first 2 shown]
	ds_load_2addr_b64 v[151:154], v133 offset0:128 offset1:160
	ds_load_2addr_b64 v[155:158], v133 offset0:192 offset1:224
	s_waitcnt lgkmcnt(0)
	s_barrier
	buffer_gl0_inv
	s_clause 0x1
	global_load_b128 v[159:162], v[174:175], off
	global_load_b128 v[163:166], v[174:175], off offset:512
	v_mov_b32_e32 v167, v117
	v_mov_b32_e32 v117, v184
	v_pk_fma_f16 v80, v96, v82, v80 op_sel_hi:[1,0,1]
	v_pk_fma_f16 v96, v96, v82, v176 op_sel:[0,1,0]
	v_pk_fma_f16 v169, v98, v82, v179 op_sel_hi:[1,0,1]
	v_pk_fma_f16 v98, v98, v82, v180 op_sel:[0,1,0]
	v_fmac_f32_e32 v117, v167, v134
	v_pk_fma_f16 v134, v97, v82, v177 op_sel_hi:[1,0,1]
	v_pk_fma_f16 v97, v97, v82, v178 op_sel:[0,1,0]
	v_pk_fma_f16 v170, v99, v82, v181 op_sel_hi:[1,0,1]
	v_pk_fma_f16 v81, v99, v82, v81 op_sel:[0,1,0]
	v_pk_fma_f16 v82, v92, v83, v182 op_sel_hi:[1,0,1]
	v_pk_fma_f16 v92, v92, v83, v183 op_sel:[0,1,0]
	v_pk_fma_f16 v99, v93, v83, v185 op_sel_hi:[1,0,1]
	v_pk_fma_f16 v93, v93, v83, v186 op_sel:[0,1,0]
	v_pk_fma_f16 v171, v94, v83, v187 op_sel_hi:[1,0,1]
	v_pk_fma_f16 v94, v94, v83, v188 op_sel:[0,1,0]
	v_pk_fma_f16 v172, v95, v83, v189 op_sel_hi:[1,0,1]
	v_pk_fma_f16 v95, v95, v83, v190 op_sel:[0,1,0]
	v_pk_fma_f16 v80, v88, v83, v80 op_sel_hi:[1,0,1]
	v_pk_fma_f16 v88, v88, v83, v96 op_sel:[0,1,0]
	v_pk_fma_f16 v96, v89, v83, v134 op_sel_hi:[1,0,1]
	v_pk_fma_f16 v89, v89, v83, v97 op_sel:[0,1,0]
	v_pk_fma_f16 v97, v90, v83, v169 op_sel_hi:[1,0,1]
	v_pk_fma_f16 v90, v90, v83, v98 op_sel:[0,1,0]
	v_pk_fma_f16 v98, v91, v83, v170 op_sel_hi:[1,0,1]
	v_pk_fma_f16 v81, v91, v83, v81 op_sel:[0,1,0]
	v_pk_fma_f16 v82, v84, v48, v82 op_sel_hi:[1,0,1]
	v_pk_fma_f16 v83, v84, v48, v92 op_sel:[0,1,0]
	v_pk_fma_f16 v84, v85, v48, v99 op_sel_hi:[1,0,1]
	v_pk_fma_f16 v85, v85, v48, v93 op_sel:[0,1,0]
	v_pk_fma_f16 v91, v86, v48, v171 op_sel_hi:[1,0,1]
	v_pk_fma_f16 v86, v86, v48, v94 op_sel:[0,1,0]
	v_pk_fma_f16 v92, v87, v48, v172 op_sel_hi:[1,0,1]
	v_pk_fma_f16 v87, v87, v48, v95 op_sel:[0,1,0]
	v_pk_fma_f16 v80, v76, v48, v80 op_sel_hi:[1,0,1]
	v_pk_fma_f16 v76, v76, v48, v88 op_sel:[0,1,0]
	v_pk_fma_f16 v88, v77, v48, v96 op_sel_hi:[1,0,1]
	v_pk_fma_f16 v77, v77, v48, v89 op_sel:[0,1,0]
	v_pk_fma_f16 v89, v78, v48, v97 op_sel_hi:[1,0,1]
	v_pk_fma_f16 v78, v78, v48, v90 op_sel:[0,1,0]
	v_pk_fma_f16 v90, v79, v48, v98 op_sel_hi:[1,0,1]
	v_pk_fma_f16 v48, v79, v48, v81 op_sel:[0,1,0]
	v_pk_fma_f16 v79, v72, v49, v82 op_sel_hi:[1,0,1]
	v_pk_fma_f16 v72, v72, v49, v83 op_sel:[0,1,0]
	v_pk_fma_f16 v81, v73, v49, v84 op_sel_hi:[1,0,1]
	v_pk_fma_f16 v73, v73, v49, v85 op_sel:[0,1,0]
	v_pk_fma_f16 v82, v74, v49, v91 op_sel_hi:[1,0,1]
	v_pk_fma_f16 v74, v74, v49, v86 op_sel:[0,1,0]
	v_pk_fma_f16 v83, v75, v49, v92 op_sel_hi:[1,0,1]
	v_pk_fma_f16 v75, v75, v49, v87 op_sel:[0,1,0]
	v_pk_fma_f16 v80, v68, v49, v80 op_sel_hi:[1,0,1]
	v_pk_fma_f16 v68, v68, v49, v76 op_sel:[0,1,0]
	v_pk_fma_f16 v76, v69, v49, v88 op_sel_hi:[1,0,1]
	v_pk_fma_f16 v69, v69, v49, v77 op_sel:[0,1,0]
	v_pk_fma_f16 v77, v70, v49, v89 op_sel_hi:[1,0,1]
	v_pk_fma_f16 v70, v70, v49, v78 op_sel:[0,1,0]
	v_pk_fma_f16 v78, v71, v49, v90 op_sel_hi:[1,0,1]
	v_pk_fma_f16 v48, v71, v49, v48 op_sel:[0,1,0]
	v_pk_fma_f16 v49, v64, v50, v79 op_sel_hi:[1,0,1]
	v_pk_fma_f16 v64, v64, v50, v72 op_sel:[0,1,0]
	v_pk_fma_f16 v71, v65, v50, v81 op_sel_hi:[1,0,1]
	v_pk_fma_f16 v65, v65, v50, v73 op_sel:[0,1,0]
	v_pk_fma_f16 v72, v66, v50, v82 op_sel_hi:[1,0,1]
	v_pk_fma_f16 v66, v66, v50, v74 op_sel:[0,1,0]
	v_pk_fma_f16 v73, v67, v50, v83 op_sel_hi:[1,0,1]
	v_pk_fma_f16 v67, v67, v50, v75 op_sel:[0,1,0]
	v_pk_fma_f16 v74, v60, v50, v80 op_sel_hi:[1,0,1]
	v_pk_fma_f16 v60, v60, v50, v68 op_sel:[0,1,0]
	v_pk_fma_f16 v68, v61, v50, v76 op_sel_hi:[1,0,1]
	v_pk_fma_f16 v61, v61, v50, v69 op_sel:[0,1,0]
	v_pk_fma_f16 v69, v62, v50, v77 op_sel_hi:[1,0,1]
	v_pk_fma_f16 v62, v62, v50, v70 op_sel:[0,1,0]
	v_pk_fma_f16 v70, v63, v50, v78 op_sel_hi:[1,0,1]
	v_pk_fma_f16 v48, v63, v50, v48 op_sel:[0,1,0]
	v_pk_fma_f16 v49, v56, v51, v49 op_sel_hi:[1,0,1]
	v_pk_fma_f16 v50, v56, v51, v64 op_sel:[0,1,0]
	v_pk_fma_f16 v56, v57, v51, v71 op_sel_hi:[1,0,1]
	v_pk_fma_f16 v57, v57, v51, v65 op_sel:[0,1,0]
	v_pk_fma_f16 v63, v58, v51, v72 op_sel_hi:[1,0,1]
	v_pk_fma_f16 v58, v58, v51, v66 op_sel:[0,1,0]
	v_pk_fma_f16 v64, v59, v51, v73 op_sel_hi:[1,0,1]
	v_pk_fma_f16 v59, v59, v51, v67 op_sel:[0,1,0]
	v_pk_fma_f16 v65, v52, v51, v74 op_sel_hi:[1,0,1]
	v_pk_fma_f16 v52, v52, v51, v60 op_sel:[0,1,0]
	s_or_b32 s2, s13, 56
	v_pk_fma_f16 v60, v53, v51, v68 op_sel_hi:[1,0,1]
	s_mul_hi_i32 s3, s2, s22
	s_mul_i32 s2, s2, s22
	v_pk_fma_f16 v53, v53, v51, v61 op_sel:[0,1,0]
	v_pk_fma_f16 v61, v54, v51, v69 op_sel_hi:[1,0,1]
	v_pk_fma_f16 v54, v54, v51, v62 op_sel:[0,1,0]
	v_pk_fma_f16 v62, v55, v51, v70 op_sel_hi:[1,0,1]
	;; [unrolled: 2-line block ×7, first 2 shown]
	v_pk_fma_f16 v4, v4, v8, v52 op_sel:[0,1,0]
	s_lshl_b64 s[2:3], s[2:3], 2
	v_pk_fma_f16 v52, v5, v8, v60 op_sel_hi:[1,0,1]
	v_add_co_u32 v167, vcc_lo, v127, s2
	v_add_co_ci_u32_e32 v168, vcc_lo, s3, v128, vcc_lo
	v_pk_fma_f16 v5, v5, v8, v53 op_sel:[0,1,0]
	v_pk_fma_f16 v53, v6, v8, v61 op_sel_hi:[1,0,1]
	v_pk_fma_f16 v6, v6, v8, v54 op_sel:[0,1,0]
	v_pk_fma_f16 v54, v7, v8, v62 op_sel_hi:[1,0,1]
	;; [unrolled: 2-line block ×15, first 2 shown]
	v_pk_fma_f16 v28, v28, v10, v4 op_sel:[0,1,0]
	s_waitcnt vmcnt(1)
	ds_store_b128 v124, v[159:162]
	s_waitcnt vmcnt(0)
	ds_store_b128 v125, v[163:166]
	s_waitcnt lgkmcnt(0)
	s_barrier
	buffer_gl0_inv
	ds_load_2addr_b64 v[0:3], v126 offset1:32
	ds_load_2addr_b64 v[4:7], v126 offset0:64 offset1:96
	ds_load_b128 v[16:19], v123 offset:192
	ds_load_b128 v[20:23], v123 offset:208
	ds_load_2addr_b64 v[24:27], v126 offset0:128 offset1:160
	ds_load_2addr_b64 v[48:51], v126 offset0:192 offset1:224
	ds_load_2addr_b64 v[52:55], v131 offset1:32
	ds_load_2addr_b64 v[56:59], v131 offset0:64 offset1:96
	ds_load_2addr_b64 v[60:63], v131 offset0:128 offset1:160
	ds_load_2addr_b64 v[64:67], v131 offset0:192 offset1:224
	ds_load_2addr_b64 v[68:71], v132 offset1:32
	ds_load_2addr_b64 v[72:75], v132 offset0:64 offset1:96
	;; [unrolled: 4-line block ×3, first 2 shown]
	ds_load_2addr_b64 v[92:95], v133 offset0:128 offset1:160
	ds_load_2addr_b64 v[96:99], v133 offset0:192 offset1:224
	s_waitcnt lgkmcnt(0)
	s_barrier
	buffer_gl0_inv
	s_clause 0x1
	global_load_b128 v[159:162], v[167:168], off
	global_load_b128 v[163:166], v[167:168], off offset:512
	v_pk_fma_f16 v134, v29, v10, v134 op_sel_hi:[1,0,1]
	v_pk_fma_f16 v29, v29, v10, v169 op_sel:[0,1,0]
	v_pk_fma_f16 v167, v30, v10, v170 op_sel_hi:[1,0,1]
	v_pk_fma_f16 v30, v30, v10, v171 op_sel:[0,1,0]
	;; [unrolled: 2-line block ×107, first 2 shown]
	s_waitcnt vmcnt(1)
	ds_store_b128 v124, v[159:162]
	s_waitcnt vmcnt(0)
	ds_store_b128 v125, v[163:166]
	s_waitcnt lgkmcnt(0)
	s_barrier
	buffer_gl0_inv
	ds_load_2addr_b64 v[0:3], v126 offset1:32
	ds_load_2addr_b64 v[4:7], v126 offset0:64 offset1:96
	ds_load_b128 v[8:11], v123 offset:224
	ds_load_b128 v[27:30], v123 offset:240
	ds_load_2addr_b64 v[12:15], v126 offset0:128 offset1:160
	ds_load_2addr_b64 v[16:19], v126 offset0:192 offset1:224
	ds_load_2addr_b64 v[20:23], v131 offset1:32
	ds_load_2addr_b64 v[31:34], v131 offset0:64 offset1:96
	ds_load_2addr_b64 v[35:38], v131 offset0:128 offset1:160
	ds_load_2addr_b64 v[39:42], v131 offset0:192 offset1:224
	ds_load_2addr_b64 v[43:46], v132 offset1:32
	ds_load_2addr_b64 v[47:50], v132 offset0:64 offset1:96
	;; [unrolled: 4-line block ×3, first 2 shown]
	ds_load_2addr_b64 v[67:70], v133 offset0:128 offset1:160
	ds_load_2addr_b64 v[71:74], v133 offset0:192 offset1:224
	s_waitcnt lgkmcnt(0)
	s_barrier
	buffer_gl0_inv
	s_load_b32 s2, s[16:17], 0x4
	v_pk_fma_f16 v24, v0, v8, v24 op_sel_hi:[1,0,1]
	v_pk_fma_f16 v0, v0, v8, v25 op_sel:[0,1,0]
	v_pk_fma_f16 v25, v1, v8, v26 op_sel_hi:[1,0,1]
	v_pk_fma_f16 v1, v1, v8, v75 op_sel:[0,1,0]
	v_pk_fma_f16 v26, v2, v8, v76 op_sel_hi:[1,0,1]
	v_pk_fma_f16 v2, v2, v8, v77 op_sel:[0,1,0]
	v_pk_fma_f16 v75, v3, v8, v78 op_sel_hi:[1,0,1]
	v_pk_fma_f16 v3, v3, v8, v79 op_sel:[0,1,0]
	v_pk_fma_f16 v76, v4, v8, v80 op_sel_hi:[1,0,1]
	v_pk_fma_f16 v4, v4, v8, v81 op_sel:[0,1,0]
	v_pk_fma_f16 v77, v5, v8, v82 op_sel_hi:[1,0,1]
	v_pk_fma_f16 v5, v5, v8, v83 op_sel:[0,1,0]
	v_pk_fma_f16 v78, v6, v8, v84 op_sel_hi:[1,0,1]
	v_pk_fma_f16 v6, v6, v8, v85 op_sel:[0,1,0]
	v_pk_fma_f16 v79, v7, v8, v86 op_sel_hi:[1,0,1]
	v_pk_fma_f16 v7, v7, v8, v87 op_sel:[0,1,0]
	v_pk_fma_f16 v8, v12, v9, v24 op_sel_hi:[1,0,1]
	v_pk_fma_f16 v0, v12, v9, v0 op_sel:[0,1,0]
	v_pk_fma_f16 v12, v13, v9, v25 op_sel_hi:[1,0,1]
	v_pk_fma_f16 v1, v13, v9, v1 op_sel:[0,1,0]
	v_pk_fma_f16 v13, v14, v9, v26 op_sel_hi:[1,0,1]
	v_pk_fma_f16 v2, v14, v9, v2 op_sel:[0,1,0]
	v_pk_fma_f16 v14, v15, v9, v75 op_sel_hi:[1,0,1]
	v_pk_fma_f16 v3, v15, v9, v3 op_sel:[0,1,0]
	v_pk_fma_f16 v15, v16, v9, v76 op_sel_hi:[1,0,1]
	v_pk_fma_f16 v4, v16, v9, v4 op_sel:[0,1,0]
	v_pk_fma_f16 v16, v17, v9, v77 op_sel_hi:[1,0,1]
	v_pk_fma_f16 v5, v17, v9, v5 op_sel:[0,1,0]
	v_pk_fma_f16 v17, v18, v9, v78 op_sel_hi:[1,0,1]
	v_pk_fma_f16 v6, v18, v9, v6 op_sel:[0,1,0]
	v_pk_fma_f16 v18, v19, v9, v79 op_sel_hi:[1,0,1]
	v_pk_fma_f16 v7, v19, v9, v7 op_sel:[0,1,0]
	v_pk_fma_f16 v8, v20, v10, v8 op_sel_hi:[1,0,1]
	v_pk_fma_f16 v0, v20, v10, v0 op_sel:[0,1,0]
	v_pk_fma_f16 v9, v21, v10, v12 op_sel_hi:[1,0,1]
	v_pk_fma_f16 v1, v21, v10, v1 op_sel:[0,1,0]
	v_pk_fma_f16 v12, v22, v10, v13 op_sel_hi:[1,0,1]
	v_pk_fma_f16 v2, v22, v10, v2 op_sel:[0,1,0]
	v_pk_fma_f16 v13, v23, v10, v14 op_sel_hi:[1,0,1]
	v_pk_fma_f16 v3, v23, v10, v3 op_sel:[0,1,0]
	v_pk_fma_f16 v14, v31, v10, v15 op_sel_hi:[1,0,1]
	v_pk_fma_f16 v4, v31, v10, v4 op_sel:[0,1,0]
	v_pk_fma_f16 v15, v32, v10, v16 op_sel_hi:[1,0,1]
	v_pk_fma_f16 v5, v32, v10, v5 op_sel:[0,1,0]
	v_pk_fma_f16 v16, v33, v10, v17 op_sel_hi:[1,0,1]
	v_pk_fma_f16 v6, v33, v10, v6 op_sel:[0,1,0]
	v_pk_fma_f16 v17, v34, v10, v18 op_sel_hi:[1,0,1]
	v_pk_fma_f16 v7, v34, v10, v7 op_sel:[0,1,0]
	v_pk_fma_f16 v8, v35, v11, v8 op_sel_hi:[1,0,1]
	v_pk_fma_f16 v0, v35, v11, v0 op_sel:[0,1,0]
	v_pk_fma_f16 v9, v36, v11, v9 op_sel_hi:[1,0,1]
	v_pk_fma_f16 v1, v36, v11, v1 op_sel:[0,1,0]
	v_pk_fma_f16 v10, v37, v11, v12 op_sel_hi:[1,0,1]
	v_pk_fma_f16 v2, v37, v11, v2 op_sel:[0,1,0]
	v_pk_fma_f16 v12, v38, v11, v13 op_sel_hi:[1,0,1]
	v_pk_fma_f16 v3, v38, v11, v3 op_sel:[0,1,0]
	v_pk_fma_f16 v13, v39, v11, v14 op_sel_hi:[1,0,1]
	v_pk_fma_f16 v4, v39, v11, v4 op_sel:[0,1,0]
	v_pk_fma_f16 v14, v40, v11, v15 op_sel_hi:[1,0,1]
	v_pk_fma_f16 v5, v40, v11, v5 op_sel:[0,1,0]
	v_pk_fma_f16 v15, v41, v11, v16 op_sel_hi:[1,0,1]
	v_pk_fma_f16 v6, v41, v11, v6 op_sel:[0,1,0]
	v_pk_fma_f16 v16, v42, v11, v17 op_sel_hi:[1,0,1]
	v_pk_fma_f16 v7, v42, v11, v7 op_sel:[0,1,0]
	v_pk_fma_f16 v8, v43, v27, v8 op_sel_hi:[1,0,1]
	v_pk_fma_f16 v0, v43, v27, v0 op_sel:[0,1,0]
	v_pk_fma_f16 v9, v44, v27, v9 op_sel_hi:[1,0,1]
	v_pk_fma_f16 v1, v44, v27, v1 op_sel:[0,1,0]
	v_pk_fma_f16 v10, v45, v27, v10 op_sel_hi:[1,0,1]
	v_pk_fma_f16 v2, v45, v27, v2 op_sel:[0,1,0]
	v_pk_fma_f16 v11, v46, v27, v12 op_sel_hi:[1,0,1]
	v_pk_fma_f16 v3, v46, v27, v3 op_sel:[0,1,0]
	v_pk_fma_f16 v12, v47, v27, v13 op_sel_hi:[1,0,1]
	v_pk_fma_f16 v4, v47, v27, v4 op_sel:[0,1,0]
	v_pk_fma_f16 v13, v48, v27, v14 op_sel_hi:[1,0,1]
	v_pk_fma_f16 v5, v48, v27, v5 op_sel:[0,1,0]
	v_pk_fma_f16 v14, v49, v27, v15 op_sel_hi:[1,0,1]
	v_pk_fma_f16 v6, v49, v27, v6 op_sel:[0,1,0]
	v_pk_fma_f16 v15, v50, v27, v16 op_sel_hi:[1,0,1]
	v_pk_fma_f16 v7, v50, v27, v7 op_sel:[0,1,0]
	v_pk_fma_f16 v8, v51, v28, v8 op_sel_hi:[1,0,1]
	v_pk_fma_f16 v0, v51, v28, v0 op_sel:[0,1,0]
	v_pk_fma_f16 v9, v52, v28, v9 op_sel_hi:[1,0,1]
	v_pk_fma_f16 v1, v52, v28, v1 op_sel:[0,1,0]
	v_pk_fma_f16 v10, v53, v28, v10 op_sel_hi:[1,0,1]
	v_pk_fma_f16 v2, v53, v28, v2 op_sel:[0,1,0]
	v_pk_fma_f16 v11, v54, v28, v11 op_sel_hi:[1,0,1]
	v_pk_fma_f16 v3, v54, v28, v3 op_sel:[0,1,0]
	v_pk_fma_f16 v12, v55, v28, v12 op_sel_hi:[1,0,1]
	v_pk_fma_f16 v4, v55, v28, v4 op_sel:[0,1,0]
	v_pk_fma_f16 v13, v56, v28, v13 op_sel_hi:[1,0,1]
	v_pk_fma_f16 v5, v56, v28, v5 op_sel:[0,1,0]
	v_pk_fma_f16 v14, v57, v28, v14 op_sel_hi:[1,0,1]
	v_pk_fma_f16 v6, v57, v28, v6 op_sel:[0,1,0]
	v_pk_fma_f16 v15, v58, v28, v15 op_sel_hi:[1,0,1]
	v_pk_fma_f16 v7, v58, v28, v7 op_sel:[0,1,0]
	v_pk_fma_f16 v8, v59, v29, v8 op_sel_hi:[1,0,1]
	v_pk_fma_f16 v0, v59, v29, v0 op_sel:[0,1,0]
	v_pk_fma_f16 v9, v60, v29, v9 op_sel_hi:[1,0,1]
	v_pk_fma_f16 v1, v60, v29, v1 op_sel:[0,1,0]
	v_pk_fma_f16 v10, v61, v29, v10 op_sel_hi:[1,0,1]
	v_pk_fma_f16 v2, v61, v29, v2 op_sel:[0,1,0]
	v_pk_fma_f16 v11, v62, v29, v11 op_sel_hi:[1,0,1]
	v_pk_fma_f16 v3, v62, v29, v3 op_sel:[0,1,0]
	v_pk_fma_f16 v12, v63, v29, v12 op_sel_hi:[1,0,1]
	v_pk_fma_f16 v4, v63, v29, v4 op_sel:[0,1,0]
	v_pk_fma_f16 v13, v64, v29, v13 op_sel_hi:[1,0,1]
	v_pk_fma_f16 v5, v64, v29, v5 op_sel:[0,1,0]
	v_pk_fma_f16 v14, v65, v29, v14 op_sel_hi:[1,0,1]
	v_pk_fma_f16 v6, v65, v29, v6 op_sel:[0,1,0]
	v_pk_fma_f16 v23, v66, v29, v15 op_sel_hi:[1,0,1]
	v_pk_fma_f16 v7, v66, v29, v7 op_sel:[0,1,0]
	s_waitcnt lgkmcnt(0)
	s_lshl_b32 s2, s2, 6
	v_pk_fma_f16 v24, v67, v30, v8 op_sel_hi:[1,0,1]
	v_pk_fma_f16 v18, v67, v30, v0 op_sel:[0,1,0]
	v_pk_fma_f16 v26, v68, v30, v9 op_sel_hi:[1,0,1]
	v_pk_fma_f16 v21, v68, v30, v1 op_sel:[0,1,0]
	;; [unrolled: 2-line block ×8, first 2 shown]
	s_add_i32 s13, s2, s13
	s_delay_alu instid0(SALU_CYCLE_1)
	s_cmp_ge_i32 s13, s34
	s_cbranch_scc0 .LBB13_13
; %bb.14:
	v_dual_mov_b32 v0, 32 :: v_dual_mov_b32 v1, v111
.LBB13_15:
	s_delay_alu instid0(VALU_DEP_1)
	v_cmp_lt_i32_e32 vcc_lo, v116, v0
	s_cmp_lg_u64 s[24:25], 0
	s_cselect_b32 s2, -1, 0
	s_cmp_eq_u32 s14, 0
	v_cndmask_b32_e32 v2, v1, v116, vcc_lo
	v_cmp_lt_i32_e32 vcc_lo, v115, v0
	s_cselect_b32 s3, -1, 0
	s_delay_alu instid0(SALU_CYCLE_1) | instskip(NEXT) | instid1(VALU_DEP_2)
	s_and_b32 s2, s3, s2
	v_lshlrev_b32_e32 v2, 2, v2
	v_cndmask_b32_e32 v4, v1, v115, vcc_lo
	v_cmp_lt_i32_e32 vcc_lo, v114, v0
	ds_bpermute_b32 v3, v2, v118
	v_lshlrev_b32_e32 v4, 2, v4
	v_cndmask_b32_e32 v6, v1, v114, vcc_lo
	v_cmp_lt_i32_e32 vcc_lo, v113, v0
	s_waitcnt lgkmcnt(0)
	s_delay_alu instid0(VALU_DEP_2)
	v_dual_add_f32 v3, v118, v3 :: v_dual_lshlrev_b32 v6, 2, v6
	ds_bpermute_b32 v5, v4, v3
	s_waitcnt lgkmcnt(0)
	v_add_f32_e32 v3, v3, v5
	ds_bpermute_b32 v2, v2, v117
	s_waitcnt lgkmcnt(0)
	v_add_f32_e32 v2, v117, v2
	;; [unrolled: 3-line block ×3, first 2 shown]
	ds_bpermute_b32 v4, v6, v3
	ds_bpermute_b32 v5, v6, v2
	v_cndmask_b32_e32 v6, v1, v113, vcc_lo
	v_cmp_lt_i32_e32 vcc_lo, v112, v0
	s_delay_alu instid0(VALU_DEP_2) | instskip(SKIP_2) | instid1(VALU_DEP_1)
	v_lshlrev_b32_e32 v6, 2, v6
	v_cndmask_b32_e32 v0, v1, v112, vcc_lo
	s_and_b32 vcc_lo, exec_lo, s2
	v_lshlrev_b32_e32 v0, 2, v0
	s_waitcnt lgkmcnt(0)
	v_dual_add_f32 v3, v3, v4 :: v_dual_add_f32 v2, v2, v5
	ds_bpermute_b32 v4, v6, v3
	ds_bpermute_b32 v5, v6, v2
	s_waitcnt lgkmcnt(1)
	v_add_f32_e32 v1, v3, v4
	s_waitcnt lgkmcnt(0)
	v_add_f32_e32 v3, v2, v5
	ds_bpermute_b32 v2, v0, v1
	ds_bpermute_b32 v0, v0, v3
	s_waitcnt lgkmcnt(0)
	v_dual_add_f32 v2, v1, v2 :: v_dual_add_f32 v3, v3, v0
	s_cbranch_vccz .LBB13_18
; %bb.16:
	v_max_f32_e32 v6, v108, v108
	v_add_nc_u32_e32 v0, s15, v109
	s_delay_alu instid0(VALU_DEP_1) | instskip(NEXT) | instid1(VALU_DEP_1)
	v_ashrrev_i32_e32 v1, 31, v0
	v_lshlrev_b64 v[0:1], 2, v[0:1]
	s_delay_alu instid0(VALU_DEP_1) | instskip(NEXT) | instid1(VALU_DEP_2)
	v_add_co_u32 v0, vcc_lo, s24, v0
	v_add_co_ci_u32_e32 v1, vcc_lo, s25, v1, vcc_lo
	global_load_b64 v[0:1], v[0:1], off
	s_waitcnt vmcnt(0)
	v_dual_max_f32 v4, v107, v107 :: v_dual_max_f32 v5, v0, v0
	v_max_f32_e32 v7, v1, v1
	s_delay_alu instid0(VALU_DEP_1) | instskip(NEXT) | instid1(VALU_DEP_1)
	v_dual_max_f32 v4, v4, v5 :: v_dual_max_f32 v5, v6, v7
	v_dual_sub_f32 v0, v0, v4 :: v_dual_sub_f32 v1, v1, v5
	v_sub_f32_e32 v7, v108, v5
	s_delay_alu instid0(VALU_DEP_2) | instskip(SKIP_1) | instid1(VALU_DEP_4)
	v_mul_f32_e32 v9, 0x3fb8aa3b, v0
	v_sub_f32_e32 v6, v107, v4
	v_dual_mov_b32 v108, v5 :: v_dual_mul_f32 v11, 0x3fb8aa3b, v1
	v_mov_b32_e32 v107, v4
	s_delay_alu instid0(VALU_DEP_4) | instskip(NEXT) | instid1(VALU_DEP_4)
	v_fma_f32 v30, 0x3fb8aa3b, v0, -v9
	v_mul_f32_e32 v8, 0x3fb8aa3b, v6
	v_rndne_f32_e32 v31, v9
	v_fma_f32 v34, 0x3fb8aa3b, v1, -v11
	v_rndne_f32_e32 v35, v11
	v_cmp_ngt_f32_e32 vcc_lo, 0xc2ce8ed0, v6
	v_fma_f32 v12, 0x3fb8aa3b, v6, -v8
	v_rndne_f32_e32 v13, v8
	v_dual_sub_f32 v9, v9, v31 :: v_dual_fmac_f32 v34, 0x32a5705f, v1
	s_delay_alu instid0(VALU_DEP_3) | instskip(NEXT) | instid1(VALU_DEP_3)
	v_dual_sub_f32 v11, v11, v35 :: v_dual_fmac_f32 v12, 0x32a5705f, v6
	v_sub_f32_e32 v8, v8, v13
	s_delay_alu instid0(VALU_DEP_2) | instskip(SKIP_1) | instid1(VALU_DEP_2)
	v_dual_fmac_f32 v30, 0x32a5705f, v0 :: v_dual_add_f32 v11, v11, v34
	v_mul_f32_e32 v10, 0x3fb8aa3b, v7
	v_dual_add_f32 v8, v8, v12 :: v_dual_add_f32 v9, v9, v30
	v_cvt_i32_f32_e32 v12, v13
	s_delay_alu instid0(VALU_DEP_4) | instskip(NEXT) | instid1(VALU_DEP_3)
	v_exp_f32_e32 v11, v11
	v_fma_f32 v32, 0x3fb8aa3b, v7, -v10
	s_delay_alu instid0(VALU_DEP_3) | instskip(SKIP_4) | instid1(VALU_DEP_3)
	v_exp_f32_e32 v8, v8
	v_exp_f32_e32 v9, v9
	v_rndne_f32_e32 v33, v10
	v_cvt_i32_f32_e32 v13, v31
	v_cvt_i32_f32_e32 v31, v35
	;; [unrolled: 1-line block ×3, first 2 shown]
	s_delay_alu instid0(TRANS32_DEP_3) | instid1(VALU_DEP_2)
	v_ldexp_f32 v11, v11, v31
	s_delay_alu instid0(TRANS32_DEP_2) | instskip(SKIP_1) | instid1(TRANS32_DEP_1)
	v_ldexp_f32 v8, v8, v12
	v_sub_f32_e32 v10, v10, v33
	v_ldexp_f32 v9, v9, v13
	s_delay_alu instid0(VALU_DEP_3) | instskip(SKIP_1) | instid1(VALU_DEP_3)
	v_cndmask_b32_e32 v8, 0, v8, vcc_lo
	v_cmp_ngt_f32_e32 vcc_lo, 0xc2ce8ed0, v0
	v_dual_fmac_f32 v32, 0x32a5705f, v7 :: v_dual_cndmask_b32 v9, 0, v9
	s_delay_alu instid0(VALU_DEP_1) | instskip(SKIP_1) | instid1(VALU_DEP_2)
	v_add_f32_e32 v10, v10, v32
	v_cmp_ngt_f32_e32 vcc_lo, 0xc2ce8ed0, v7
	v_exp_f32_e32 v10, v10
	s_waitcnt_depctr 0xfff
	v_ldexp_f32 v10, v10, v30
	s_delay_alu instid0(VALU_DEP_1)
	v_cndmask_b32_e32 v10, 0, v10, vcc_lo
	v_cmp_ngt_f32_e32 vcc_lo, 0xc2ce8ed0, v1
	v_cndmask_b32_e32 v11, 0, v11, vcc_lo
	v_cmp_nlt_f32_e32 vcc_lo, 0x42b17218, v6
	v_cndmask_b32_e32 v6, 0x7f800000, v8, vcc_lo
	v_cmp_nlt_f32_e32 vcc_lo, 0x42b17218, v0
	s_delay_alu instid0(VALU_DEP_2) | instskip(SKIP_2) | instid1(VALU_DEP_3)
	v_cvt_f16_f32_e32 v8, v6
	v_cndmask_b32_e32 v0, 0x7f800000, v9, vcc_lo
	v_cmp_nlt_f32_e32 vcc_lo, 0x42b17218, v7
	v_pk_mul_f16 v24, v8, v24 op_sel_hi:[0,1]
	s_delay_alu instid0(VALU_DEP_3)
	v_fmac_f32_e32 v0, v2, v6
	v_cndmask_b32_e32 v7, 0x7f800000, v10, vcc_lo
	v_cmp_nlt_f32_e32 vcc_lo, 0x42b17218, v1
	v_pk_mul_f16 v26, v8, v26 op_sel_hi:[0,1]
	v_pk_mul_f16 v28, v8, v28 op_sel_hi:[0,1]
	;; [unrolled: 1-line block ×3, first 2 shown]
	v_cvt_f16_f32_e32 v2, v7
	v_cndmask_b32_e32 v1, 0x7f800000, v11, vcc_lo
	v_pk_mul_f16 v25, v8, v25 op_sel_hi:[0,1]
	v_pk_mul_f16 v27, v8, v27 op_sel_hi:[0,1]
	;; [unrolled: 1-line block ×4, first 2 shown]
	v_fmac_f32_e32 v1, v3, v7
	v_pk_mul_f16 v18, v2, v18 op_sel_hi:[0,1]
	v_pk_mul_f16 v21, v2, v21 op_sel_hi:[0,1]
	;; [unrolled: 1-line block ×4, first 2 shown]
	v_mov_b32_e32 v3, v1
	v_pk_mul_f16 v16, v2, v16 op_sel_hi:[0,1]
	v_pk_mul_f16 v17, v2, v17 op_sel_hi:[0,1]
	;; [unrolled: 1-line block ×4, first 2 shown]
	v_mov_b32_e32 v2, v0
	s_mov_b32 s2, exec_lo
	v_cmpx_gt_i32_e64 s38, v100
	s_cbranch_execnz .LBB13_19
.LBB13_17:
	s_nop 0
	s_sendmsg sendmsg(MSG_DEALLOC_VGPRS)
	s_endpgm
.LBB13_18:
	s_delay_alu instid0(VALU_DEP_1)
	v_dual_mov_b32 v0, v2 :: v_dual_mov_b32 v1, v3
	s_mov_b32 s2, exec_lo
	v_cmpx_gt_i32_e64 s38, v100
	s_cbranch_execz .LBB13_17
.LBB13_19:
	s_load_b32 s1, s[0:1], 0xd4
	v_mov_b32_e32 v6, 1.0
	s_waitcnt lgkmcnt(0)
	s_cmp_lg_u32 s1, 1
	s_cselect_b32 s3, -1, 0
	s_cmp_eq_u32 s1, 1
	s_cselect_b32 s2, -1, 0
	s_and_b32 vcc_lo, exec_lo, s3
	s_cbranch_vccnz .LBB13_21
; %bb.20:
	v_div_scale_f32 v4, null, v2, v2, 1.0
	s_delay_alu instid0(VALU_DEP_1) | instskip(SKIP_2) | instid1(VALU_DEP_1)
	v_rcp_f32_e32 v5, v4
	s_waitcnt_depctr 0xfff
	v_fma_f32 v6, -v4, v5, 1.0
	v_fmac_f32_e32 v5, v6, v5
	v_div_scale_f32 v6, vcc_lo, 1.0, v2, 1.0
	s_delay_alu instid0(VALU_DEP_1) | instskip(NEXT) | instid1(VALU_DEP_1)
	v_mul_f32_e32 v7, v6, v5
	v_fma_f32 v8, -v4, v7, v6
	s_delay_alu instid0(VALU_DEP_1) | instskip(NEXT) | instid1(VALU_DEP_1)
	v_fmac_f32_e32 v7, v8, v5
	v_fma_f32 v4, -v4, v7, v6
	s_delay_alu instid0(VALU_DEP_1) | instskip(NEXT) | instid1(VALU_DEP_1)
	v_div_fmas_f32 v4, v4, v5, v7
	v_div_fixup_f32 v6, v4, v2, 1.0
.LBB13_21:
	v_mad_u64_u32 v[4:5], null, s33, s38, v[100:101]
	v_lshrrev_b32_e32 v11, 16, v29
	v_cvt_f32_f16_e32 v7, v26
	v_cvt_f32_f16_e32 v10, v24
	v_mov_b32_e32 v12, 0
	v_cvt_f32_f16_e32 v13, v29
	v_lshrrev_b32_e32 v29, 16, v27
	v_mul_lo_u32 v4, v4, s39
	v_cvt_f32_f16_e32 v40, v27
	v_cvt_f32_f16_e32 v27, v11
	v_lshrrev_b32_e32 v8, 16, v24
	v_lshrrev_b32_e32 v24, 16, v28
	;; [unrolled: 1-line block ×3, first 2 shown]
	v_cvt_f32_f16_e32 v26, v28
	v_lshrrev_b32_e32 v41, 16, v25
	v_add3_u32 v9, s15, v109, v4
	v_cmp_eq_u32_e32 vcc_lo, 0, v101
	v_cvt_f32_f16_e32 v2, v2
	s_delay_alu instid0(VALU_DEP_3)
	v_mad_u64_u32 v[4:5], null, s1, v9, s[14:15]
	v_mul_f32_e32 v9, v6, v7
	v_dual_mul_f32 v28, v6, v13 :: v_dual_mov_b32 v31, v12
	v_cvt_f32_f16_e32 v5, v8
	v_cvt_f32_f16_e32 v13, v24
	v_dual_mul_f32 v26, v6, v26 :: v_dual_mov_b32 v35, v12
	v_lshl_add_u32 v11, v4, 9, v110
	v_mul_f32_e32 v7, v6, v10
	v_mul_f32_e32 v8, v6, v5
	v_cvt_f32_f16_e32 v5, v25
	v_cvt_f32_f16_e32 v24, v29
	v_add_nc_u32_e32 v30, 0x80, v11
	v_lshlrev_b64 v[32:33], 2, v[11:12]
	v_mul_f32_e32 v29, v6, v27
	v_dual_mul_f32 v27, v6, v13 :: v_dual_add_nc_u32 v34, 0x100, v11
	s_delay_alu instid0(VALU_DEP_4)
	v_lshlrev_b64 v[30:31], 2, v[30:31]
	v_dual_mul_f32 v10, v6, v2 :: v_dual_add_nc_u32 v11, 0x180, v11
	v_add_co_u32 v36, s0, s28, v32
	v_cvt_f32_f16_e32 v2, v41
	v_add_co_ci_u32_e64 v37, s0, s29, v33, s0
	v_add_co_u32 v38, s0, s28, v30
	v_mul_f32_e32 v30, v6, v5
	v_lshrrev_b32_e32 v5, 16, v22
	v_mul_f32_e32 v33, v6, v24
	v_lshlrev_b64 v[24:25], 2, v[34:35]
	v_add_co_ci_u32_e64 v39, s0, s29, v31, s0
	v_mul_f32_e32 v31, v6, v2
	v_lshrrev_b32_e32 v2, 16, v23
	v_lshlrev_b64 v[11:12], 2, v[11:12]
	v_cvt_f32_f16_e32 v5, v5
	v_add_co_u32 v34, s0, s28, v24
	s_delay_alu instid0(VALU_DEP_4)
	v_cvt_f32_f16_e32 v2, v2
	v_cvt_f32_f16_e32 v13, v23
	;; [unrolled: 1-line block ×3, first 2 shown]
	v_add_co_ci_u32_e64 v35, s0, s29, v25, s0
	v_mul_f32_e32 v23, v6, v5
	v_add_co_u32 v5, s0, s28, v11
	v_mul_f32_e32 v32, v6, v40
	v_mul_f32_e32 v25, v6, v2
	;; [unrolled: 1-line block ×4, first 2 shown]
	v_add_co_ci_u32_e64 v6, s0, s29, v12, s0
	s_and_b32 s0, vcc_lo, s3
	s_clause 0x3
	global_store_b128 v[36:37], v[7:10], off
	global_store_b128 v[38:39], v[26:29], off
	;; [unrolled: 1-line block ×4, first 2 shown]
	s_and_saveexec_b32 s3, s0
	s_cbranch_execz .LBB13_23
; %bb.22:
	v_ashrrev_i32_e32 v5, 31, v4
	v_dual_mov_b32 v7, v107 :: v_dual_mov_b32 v8, v0
	s_delay_alu instid0(VALU_DEP_2) | instskip(NEXT) | instid1(VALU_DEP_1)
	v_lshlrev_b64 v[5:6], 3, v[4:5]
	v_add_co_u32 v5, vcc_lo, s30, v5
	s_delay_alu instid0(VALU_DEP_2)
	v_add_co_ci_u32_e32 v6, vcc_lo, s31, v6, vcc_lo
	global_store_b64 v[5:6], v[7:8], off
.LBB13_23:
	s_or_b32 exec_lo, exec_lo, s3
	v_mov_b32_e32 v0, 1.0
	s_and_not1_b32 vcc_lo, exec_lo, s2
	s_cbranch_vccnz .LBB13_25
; %bb.24:
	v_div_scale_f32 v0, null, v3, v3, 1.0
	s_delay_alu instid0(VALU_DEP_1) | instskip(SKIP_2) | instid1(VALU_DEP_1)
	v_rcp_f32_e32 v2, v0
	s_waitcnt_depctr 0xfff
	v_fma_f32 v5, -v0, v2, 1.0
	v_fmac_f32_e32 v2, v5, v2
	v_div_scale_f32 v5, vcc_lo, 1.0, v3, 1.0
	s_delay_alu instid0(VALU_DEP_1) | instskip(NEXT) | instid1(VALU_DEP_1)
	v_mul_f32_e32 v6, v5, v2
	v_fma_f32 v7, -v0, v6, v5
	s_delay_alu instid0(VALU_DEP_1) | instskip(NEXT) | instid1(VALU_DEP_1)
	v_fmac_f32_e32 v6, v7, v2
	v_fma_f32 v0, -v0, v6, v5
	s_delay_alu instid0(VALU_DEP_1) | instskip(NEXT) | instid1(VALU_DEP_1)
	v_div_fmas_f32 v0, v0, v2, v6
	v_div_fixup_f32 v0, v0, v3, 1.0
.LBB13_25:
	v_lshrrev_b32_e32 v3, 16, v21
	v_cvt_f32_f16_e32 v6, v18
	v_add_nc_u32_e32 v2, s1, v4
	v_cvt_f32_f16_e32 v4, v21
	v_lshrrev_b32_e32 v5, 16, v18
	v_mov_b32_e32 v12, 0
	v_cvt_f32_f16_e32 v10, v3
	v_mul_f32_e32 v3, v0, v6
	v_lshl_add_u32 v11, v2, 9, v110
	v_cvt_f32_f16_e32 v13, v5
	v_mul_f32_e32 v5, v0, v4
	v_mul_f32_e32 v6, v0, v10
	v_lshrrev_b32_e32 v9, 16, v20
	v_lshlrev_b64 v[7:8], 2, v[11:12]
	v_dual_mul_f32 v4, v0, v13 :: v_dual_add_nc_u32 v25, 0x100, v11
	v_lshrrev_b32_e32 v10, 16, v19
	v_cvt_f32_f16_e32 v23, v19
	v_cvt_f32_f16_e32 v9, v9
	v_add_co_u32 v21, vcc_lo, s28, v7
	v_add_co_ci_u32_e32 v22, vcc_lo, s29, v8, vcc_lo
	v_dual_mov_b32 v8, v12 :: v_dual_add_nc_u32 v7, 0x80, v11
	v_add_nc_u32_e32 v11, 0x180, v11
	v_cvt_f32_f16_e32 v13, v20
	v_cvt_f32_f16_e32 v20, v10
	v_mul_f32_e32 v10, v0, v9
	v_lshlrev_b64 v[18:19], 2, v[7:8]
	v_mul_f32_e32 v7, v0, v23
	v_mul_f32_e32 v9, v0, v13
	v_lshrrev_b32_e32 v13, 16, v17
	v_mov_b32_e32 v26, v12
	v_mul_f32_e32 v8, v0, v20
	v_add_co_u32 v23, vcc_lo, s28, v18
	v_lshrrev_b32_e32 v18, 16, v16
	v_cvt_f32_f16_e32 v13, v13
	v_cvt_f32_f16_e32 v17, v17
	v_lshlrev_b64 v[25:26], 2, v[25:26]
	v_add_co_ci_u32_e32 v24, vcc_lo, s29, v19, vcc_lo
	v_cvt_f32_f16_e32 v20, v18
	v_mul_f32_e32 v19, v0, v13
	v_mul_f32_e32 v18, v0, v17
	v_lshrrev_b32_e32 v13, 16, v14
	v_lshlrev_b64 v[27:28], 2, v[11:12]
	v_mul_f32_e32 v17, v0, v20
	v_lshrrev_b32_e32 v20, 16, v15
	v_cvt_f32_f16_e32 v16, v16
	v_add_co_u32 v25, vcc_lo, s28, v25
	v_cvt_f32_f16_e32 v13, v13
	v_cvt_f32_f16_e32 v29, v14
	;; [unrolled: 1-line block ×4, first 2 shown]
	v_add_co_ci_u32_e32 v26, vcc_lo, s29, v26, vcc_lo
	v_add_co_u32 v27, vcc_lo, s28, v27
	v_mul_f32_e32 v16, v0, v16
	v_mul_f32_e32 v14, v0, v13
	;; [unrolled: 1-line block ×5, first 2 shown]
	v_add_co_ci_u32_e32 v28, vcc_lo, s29, v28, vcc_lo
	s_clause 0x3
	global_store_b128 v[21:22], v[3:6], off
	global_store_b128 v[23:24], v[7:10], off
	;; [unrolled: 1-line block ×4, first 2 shown]
	s_and_b32 exec_lo, exec_lo, s0
	s_cbranch_execz .LBB13_17
; %bb.26:
	v_ashrrev_i32_e32 v3, 31, v2
	v_mov_b32_e32 v0, v108
	s_delay_alu instid0(VALU_DEP_2) | instskip(NEXT) | instid1(VALU_DEP_1)
	v_lshlrev_b64 v[2:3], 3, v[2:3]
	v_add_co_u32 v2, vcc_lo, s30, v2
	s_delay_alu instid0(VALU_DEP_2)
	v_add_co_ci_u32_e32 v3, vcc_lo, s31, v3, vcc_lo
	global_store_b64 v[2:3], v[0:1], off
	s_nop 0
	s_sendmsg sendmsg(MSG_DEALLOC_VGPRS)
	s_endpgm
	.section	.rodata,"a",@progbits
	.p2align	6, 0x0
	.amdhsa_kernel _ZL15flash_attn_tileILi576ELi512ELi4ELi4ELb0EEvPKcS1_S1_S1_S1_PKiPfP15HIP_vector_typeIfLj2EEffffjfiS5_IjLj3EEiiiiiiiiiiiliiliiiiil
		.amdhsa_group_segment_fixed_size 29696
		.amdhsa_private_segment_fixed_size 0
		.amdhsa_kernarg_size 464
		.amdhsa_user_sgpr_count 13
		.amdhsa_user_sgpr_dispatch_ptr 0
		.amdhsa_user_sgpr_queue_ptr 0
		.amdhsa_user_sgpr_kernarg_segment_ptr 1
		.amdhsa_user_sgpr_dispatch_id 0
		.amdhsa_user_sgpr_private_segment_size 0
		.amdhsa_wavefront_size32 1
		.amdhsa_uses_dynamic_stack 0
		.amdhsa_enable_private_segment 0
		.amdhsa_system_sgpr_workgroup_id_x 1
		.amdhsa_system_sgpr_workgroup_id_y 1
		.amdhsa_system_sgpr_workgroup_id_z 1
		.amdhsa_system_sgpr_workgroup_info 0
		.amdhsa_system_vgpr_workitem_id 1
		.amdhsa_next_free_vgpr 191
		.amdhsa_next_free_sgpr 42
		.amdhsa_reserve_vcc 1
		.amdhsa_float_round_mode_32 0
		.amdhsa_float_round_mode_16_64 0
		.amdhsa_float_denorm_mode_32 3
		.amdhsa_float_denorm_mode_16_64 3
		.amdhsa_dx10_clamp 1
		.amdhsa_ieee_mode 1
		.amdhsa_fp16_overflow 0
		.amdhsa_workgroup_processor_mode 1
		.amdhsa_memory_ordered 1
		.amdhsa_forward_progress 0
		.amdhsa_shared_vgpr_count 0
		.amdhsa_exception_fp_ieee_invalid_op 0
		.amdhsa_exception_fp_denorm_src 0
		.amdhsa_exception_fp_ieee_div_zero 0
		.amdhsa_exception_fp_ieee_overflow 0
		.amdhsa_exception_fp_ieee_underflow 0
		.amdhsa_exception_fp_ieee_inexact 0
		.amdhsa_exception_int_div_zero 0
	.end_amdhsa_kernel
	.section	.text._ZL15flash_attn_tileILi576ELi512ELi4ELi4ELb0EEvPKcS1_S1_S1_S1_PKiPfP15HIP_vector_typeIfLj2EEffffjfiS5_IjLj3EEiiiiiiiiiiiliiliiiiil,"axG",@progbits,_ZL15flash_attn_tileILi576ELi512ELi4ELi4ELb0EEvPKcS1_S1_S1_S1_PKiPfP15HIP_vector_typeIfLj2EEffffjfiS5_IjLj3EEiiiiiiiiiiiliiliiiiil,comdat
.Lfunc_end13:
	.size	_ZL15flash_attn_tileILi576ELi512ELi4ELi4ELb0EEvPKcS1_S1_S1_S1_PKiPfP15HIP_vector_typeIfLj2EEffffjfiS5_IjLj3EEiiiiiiiiiiiliiliiiiil, .Lfunc_end13-_ZL15flash_attn_tileILi576ELi512ELi4ELi4ELb0EEvPKcS1_S1_S1_S1_PKiPfP15HIP_vector_typeIfLj2EEffffjfiS5_IjLj3EEiiiiiiiiiiiliiliiiiil
                                        ; -- End function
	.section	.AMDGPU.csdata,"",@progbits
; Kernel info:
; codeLenInByte = 42860
; NumSgprs: 44
; NumVgprs: 191
; ScratchSize: 0
; MemoryBound: 0
; FloatMode: 240
; IeeeMode: 1
; LDSByteSize: 29696 bytes/workgroup (compile time only)
; SGPRBlocks: 5
; VGPRBlocks: 23
; NumSGPRsForWavesPerEU: 44
; NumVGPRsForWavesPerEU: 191
; Occupancy: 8
; WaveLimiterHint : 1
; COMPUTE_PGM_RSRC2:SCRATCH_EN: 0
; COMPUTE_PGM_RSRC2:USER_SGPR: 13
; COMPUTE_PGM_RSRC2:TRAP_HANDLER: 0
; COMPUTE_PGM_RSRC2:TGID_X_EN: 1
; COMPUTE_PGM_RSRC2:TGID_Y_EN: 1
; COMPUTE_PGM_RSRC2:TGID_Z_EN: 1
; COMPUTE_PGM_RSRC2:TIDIG_COMP_CNT: 1
	.section	.text._ZL25flash_attn_mask_to_KV_maxILi4EEvPK7__half2Piiii,"axG",@progbits,_ZL25flash_attn_mask_to_KV_maxILi4EEvPK7__half2Piiii,comdat
	.globl	_ZL25flash_attn_mask_to_KV_maxILi4EEvPK7__half2Piiii ; -- Begin function _ZL25flash_attn_mask_to_KV_maxILi4EEvPK7__half2Piiii
	.p2align	8
	.type	_ZL25flash_attn_mask_to_KV_maxILi4EEvPK7__half2Piiii,@function
_ZL25flash_attn_mask_to_KV_maxILi4EEvPK7__half2Piiii: ; @_ZL25flash_attn_mask_to_KV_maxILi4EEvPK7__half2Piiii
; %bb.0:
	s_load_b128 s[4:7], s[0:1], 0x0
	s_mov_b32 s2, exec_lo
	v_cmpx_gt_u32_e32 32, v0
	s_cbranch_execz .LBB14_2
; %bb.1:
	v_dual_mov_b32 v2, 1 :: v_dual_lshlrev_b32 v1, 2, v0
	ds_store_b32 v1, v2
.LBB14_2:
	s_or_b32 exec_lo, exec_lo, s2
	s_clause 0x1
	s_load_b128 s[8:11], s[0:1], 0x10
	s_load_b32 s1, s[0:1], 0x20
	v_dual_mov_b32 v2, 0 :: v_dual_and_b32 v1, 31, v0
	v_lshrrev_b32_e32 v5, 3, v0
	s_waitcnt lgkmcnt(0)
	s_barrier
	s_delay_alu instid0(VALU_DEP_2) | instskip(SKIP_4) | instid1(SALU_CYCLE_1)
	v_lshlrev_b32_e32 v6, 2, v1
	buffer_gl0_inv
	s_mul_i32 s0, s14, s9
	s_mul_i32 s2, s15, s10
	s_lshl_b32 s0, s0, 2
	s_add_i32 s2, s2, s0
	v_cmp_eq_u32_e64 s0, 0, v1
	s_ashr_i32 s3, s2, 31
	s_delay_alu instid0(SALU_CYCLE_1) | instskip(NEXT) | instid1(SALU_CYCLE_1)
	s_lshl_b64 s[10:11], s[2:3], 2
	s_add_u32 s3, s4, s10
	s_addc_u32 s4, s5, s11
	s_lshl_b32 s5, s8, 8
	s_branch .LBB14_4
.LBB14_3:                               ;   in Loop: Header=BB14_4 Depth=1
	s_or_b32 exec_lo, exec_lo, s10
	s_waitcnt lgkmcnt(0)
	s_barrier
	buffer_gl0_inv
	ds_load_b32 v1, v6
	s_waitcnt lgkmcnt(0)
	s_barrier
	buffer_gl0_inv
	;;#ASMSTART
	;;#ASMEND
	v_cmp_ne_u32_e32 vcc_lo, 0, v1
	s_cmp_lg_u32 vcc_lo, exec_lo
	s_cselect_b32 s8, -1, 0
	s_delay_alu instid0(SALU_CYCLE_1)
	s_and_b32 vcc_lo, exec_lo, s8
	s_cbranch_vccnz .LBB14_20
.LBB14_4:                               ; =>This Inner Loop Header: Depth=1
	s_mov_b32 s2, s5
	s_addk_i32 s5, 0xff00
	s_delay_alu instid0(SALU_CYCLE_1)
	s_cmp_lt_i32 s5, 0
	s_cbranch_scc1 .LBB14_19
; %bb.5:                                ;   in Loop: Header=BB14_4 Depth=1
	s_lshr_b32 s8, s5, 1
	s_mov_b32 s10, 0
	v_add_nc_u32_e32 v1, s8, v0
	s_delay_alu instid0(VALU_DEP_1) | instskip(NEXT) | instid1(VALU_DEP_1)
	v_lshlrev_b64 v[3:4], 2, v[1:2]
	v_add_co_u32 v3, vcc_lo, s3, v3
	s_delay_alu instid0(VALU_DEP_2) | instskip(SKIP_4) | instid1(VALU_DEP_2)
	v_add_co_ci_u32_e32 v4, vcc_lo, s4, v4, vcc_lo
	global_load_b32 v3, v[3:4], off
	s_waitcnt vmcnt(0)
	v_lshrrev_b32_e32 v4, 16, v3
	v_cmp_class_f16_e64 s8, v3, 0x204
	v_and_b32_e32 v4, 0x7fff, v4
	s_delay_alu instid0(VALU_DEP_1) | instskip(NEXT) | instid1(VALU_DEP_3)
	v_cmp_eq_f16_e32 vcc_lo, 0x7c00, v4
	s_and_b32 s11, s8, vcc_lo
	s_delay_alu instid0(SALU_CYCLE_1)
	s_and_saveexec_b32 s8, s11
	s_cbranch_execz .LBB14_17
; %bb.6:                                ;   in Loop: Header=BB14_4 Depth=1
	v_add_nc_u32_e32 v3, s9, v1
	s_mov_b32 s11, 0
	s_delay_alu instid0(VALU_DEP_1) | instskip(NEXT) | instid1(VALU_DEP_1)
	v_ashrrev_i32_e32 v4, 31, v3
	v_lshlrev_b64 v[7:8], 2, v[3:4]
	s_delay_alu instid0(VALU_DEP_1) | instskip(NEXT) | instid1(VALU_DEP_2)
	v_add_co_u32 v7, vcc_lo, s3, v7
	v_add_co_ci_u32_e32 v8, vcc_lo, s4, v8, vcc_lo
	global_load_b32 v1, v[7:8], off
	s_waitcnt vmcnt(0)
	v_cmp_class_f16_e64 s12, v1, 0x204
	s_delay_alu instid0(VALU_DEP_1)
	s_and_saveexec_b32 s10, s12
	s_cbranch_execz .LBB14_16
; %bb.7:                                ;   in Loop: Header=BB14_4 Depth=1
	v_lshrrev_b32_e32 v1, 16, v1
	s_mov_b32 s12, 0
	s_delay_alu instid0(VALU_DEP_1) | instskip(NEXT) | instid1(VALU_DEP_1)
	v_cmp_class_f16_e64 s13, v1, 0x204
	s_and_saveexec_b32 s11, s13
	s_cbranch_execz .LBB14_15
; %bb.8:                                ;   in Loop: Header=BB14_4 Depth=1
	v_add_nc_u32_e32 v3, s9, v3
	s_mov_b32 s13, 0
	s_delay_alu instid0(VALU_DEP_1) | instskip(NEXT) | instid1(VALU_DEP_1)
	v_ashrrev_i32_e32 v4, 31, v3
	v_lshlrev_b64 v[7:8], 2, v[3:4]
	s_delay_alu instid0(VALU_DEP_1) | instskip(NEXT) | instid1(VALU_DEP_2)
	v_add_co_u32 v7, vcc_lo, s3, v7
	v_add_co_ci_u32_e32 v8, vcc_lo, s4, v8, vcc_lo
	global_load_b32 v1, v[7:8], off
	s_waitcnt vmcnt(0)
	v_cmp_class_f16_e64 s16, v1, 0x204
	s_delay_alu instid0(VALU_DEP_1)
	s_and_saveexec_b32 s12, s16
	s_cbranch_execz .LBB14_14
; %bb.9:                                ;   in Loop: Header=BB14_4 Depth=1
	v_lshrrev_b32_e32 v1, 16, v1
	s_mov_b32 s16, 0
	s_delay_alu instid0(VALU_DEP_1) | instskip(NEXT) | instid1(VALU_DEP_1)
	v_cmp_class_f16_e64 s17, v1, 0x204
	s_and_saveexec_b32 s13, s17
	s_cbranch_execz .LBB14_13
; %bb.10:                               ;   in Loop: Header=BB14_4 Depth=1
	v_add_nc_u32_e32 v3, s9, v3
	s_delay_alu instid0(VALU_DEP_1) | instskip(NEXT) | instid1(VALU_DEP_1)
	v_ashrrev_i32_e32 v4, 31, v3
	v_lshlrev_b64 v[3:4], 2, v[3:4]
	s_delay_alu instid0(VALU_DEP_1) | instskip(NEXT) | instid1(VALU_DEP_2)
	v_add_co_u32 v3, vcc_lo, s3, v3
	v_add_co_ci_u32_e32 v4, vcc_lo, s4, v4, vcc_lo
	global_load_b32 v1, v[3:4], off
	s_waitcnt vmcnt(0)
	v_cmp_class_f16_e64 s18, v1, 0x204
	s_delay_alu instid0(VALU_DEP_1)
	s_and_saveexec_b32 s17, s18
; %bb.11:                               ;   in Loop: Header=BB14_4 Depth=1
	v_lshrrev_b32_e32 v1, 16, v1
	s_delay_alu instid0(VALU_DEP_1) | instskip(NEXT) | instid1(VALU_DEP_1)
	v_cmp_class_f16_e64 s16, v1, 0x204
	s_and_b32 s16, s16, exec_lo
; %bb.12:                               ;   in Loop: Header=BB14_4 Depth=1
	s_or_b32 exec_lo, exec_lo, s17
	s_delay_alu instid0(SALU_CYCLE_1)
	s_and_b32 s16, s16, exec_lo
.LBB14_13:                              ;   in Loop: Header=BB14_4 Depth=1
	s_or_b32 exec_lo, exec_lo, s13
	s_delay_alu instid0(SALU_CYCLE_1)
	s_and_b32 s13, s16, exec_lo
.LBB14_14:                              ;   in Loop: Header=BB14_4 Depth=1
	s_or_b32 exec_lo, exec_lo, s12
	s_delay_alu instid0(SALU_CYCLE_1)
	s_and_b32 s12, s13, exec_lo
.LBB14_15:                              ;   in Loop: Header=BB14_4 Depth=1
	s_or_b32 exec_lo, exec_lo, s11
	s_delay_alu instid0(SALU_CYCLE_1)
	s_and_b32 s11, s12, exec_lo
.LBB14_16:                              ;   in Loop: Header=BB14_4 Depth=1
	s_or_b32 exec_lo, exec_lo, s10
	s_delay_alu instid0(SALU_CYCLE_1)
	s_and_b32 s10, s11, exec_lo
.LBB14_17:                              ;   in Loop: Header=BB14_4 Depth=1
	s_or_b32 exec_lo, exec_lo, s8
	v_cndmask_b32_e64 v1, 0, 1, s10
	;;#ASMSTART
	;;#ASMEND
	s_delay_alu instid0(VALU_DEP_1)
	v_cmp_ne_u32_e32 vcc_lo, 0, v1
	s_mov_b32 s8, exec_lo
	s_and_saveexec_b32 s10, s0
	s_cbranch_execz .LBB14_3
; %bb.18:                               ;   in Loop: Header=BB14_4 Depth=1
	s_cmp_eq_u32 vcc_lo, s8
	s_cselect_b32 s8, -1, 0
	s_delay_alu instid0(SALU_CYCLE_1)
	v_cndmask_b32_e64 v1, 0, 1, s8
	ds_store_b32 v5, v1
	s_branch .LBB14_3
.LBB14_19:                              ;   in Loop: Header=BB14_4 Depth=1
                                        ; implicit-def: $sgpr5
	s_cbranch_execz .LBB14_4
.LBB14_20:
	s_mov_b32 s0, exec_lo
	v_cmpx_eq_u32_e32 0, v0
	s_cbranch_execz .LBB14_22
; %bb.21:
	s_mul_i32 s0, s1, s15
	v_dual_mov_b32 v0, 0 :: v_dual_mov_b32 v1, s2
	s_add_i32 s0, s0, s14
	s_delay_alu instid0(SALU_CYCLE_1) | instskip(NEXT) | instid1(SALU_CYCLE_1)
	s_ashr_i32 s1, s0, 31
	s_lshl_b64 s[0:1], s[0:1], 2
	s_delay_alu instid0(SALU_CYCLE_1)
	s_add_u32 s0, s6, s0
	s_addc_u32 s1, s7, s1
	global_store_b32 v0, v1, s[0:1]
.LBB14_22:
	s_nop 0
	s_sendmsg sendmsg(MSG_DEALLOC_VGPRS)
	s_endpgm
	.section	.rodata,"a",@progbits
	.p2align	6, 0x0
	.amdhsa_kernel _ZL25flash_attn_mask_to_KV_maxILi4EEvPK7__half2Piiii
		.amdhsa_group_segment_fixed_size 128
		.amdhsa_private_segment_fixed_size 0
		.amdhsa_kernarg_size 288
		.amdhsa_user_sgpr_count 14
		.amdhsa_user_sgpr_dispatch_ptr 0
		.amdhsa_user_sgpr_queue_ptr 0
		.amdhsa_user_sgpr_kernarg_segment_ptr 1
		.amdhsa_user_sgpr_dispatch_id 0
		.amdhsa_user_sgpr_private_segment_size 0
		.amdhsa_wavefront_size32 1
		.amdhsa_uses_dynamic_stack 0
		.amdhsa_enable_private_segment 0
		.amdhsa_system_sgpr_workgroup_id_x 1
		.amdhsa_system_sgpr_workgroup_id_y 1
		.amdhsa_system_sgpr_workgroup_id_z 0
		.amdhsa_system_sgpr_workgroup_info 0
		.amdhsa_system_vgpr_workitem_id 0
		.amdhsa_next_free_vgpr 9
		.amdhsa_next_free_sgpr 19
		.amdhsa_reserve_vcc 1
		.amdhsa_float_round_mode_32 0
		.amdhsa_float_round_mode_16_64 0
		.amdhsa_float_denorm_mode_32 3
		.amdhsa_float_denorm_mode_16_64 3
		.amdhsa_dx10_clamp 1
		.amdhsa_ieee_mode 1
		.amdhsa_fp16_overflow 0
		.amdhsa_workgroup_processor_mode 1
		.amdhsa_memory_ordered 1
		.amdhsa_forward_progress 0
		.amdhsa_shared_vgpr_count 0
		.amdhsa_exception_fp_ieee_invalid_op 0
		.amdhsa_exception_fp_denorm_src 0
		.amdhsa_exception_fp_ieee_div_zero 0
		.amdhsa_exception_fp_ieee_overflow 0
		.amdhsa_exception_fp_ieee_underflow 0
		.amdhsa_exception_fp_ieee_inexact 0
		.amdhsa_exception_int_div_zero 0
	.end_amdhsa_kernel
	.section	.text._ZL25flash_attn_mask_to_KV_maxILi4EEvPK7__half2Piiii,"axG",@progbits,_ZL25flash_attn_mask_to_KV_maxILi4EEvPK7__half2Piiii,comdat
.Lfunc_end14:
	.size	_ZL25flash_attn_mask_to_KV_maxILi4EEvPK7__half2Piiii, .Lfunc_end14-_ZL25flash_attn_mask_to_KV_maxILi4EEvPK7__half2Piiii
                                        ; -- End function
	.section	.AMDGPU.csdata,"",@progbits
; Kernel info:
; codeLenInByte = 848
; NumSgprs: 21
; NumVgprs: 9
; ScratchSize: 0
; MemoryBound: 0
; FloatMode: 240
; IeeeMode: 1
; LDSByteSize: 128 bytes/workgroup (compile time only)
; SGPRBlocks: 2
; VGPRBlocks: 1
; NumSGPRsForWavesPerEU: 21
; NumVGPRsForWavesPerEU: 9
; Occupancy: 16
; WaveLimiterHint : 0
; COMPUTE_PGM_RSRC2:SCRATCH_EN: 0
; COMPUTE_PGM_RSRC2:USER_SGPR: 14
; COMPUTE_PGM_RSRC2:TRAP_HANDLER: 0
; COMPUTE_PGM_RSRC2:TGID_X_EN: 1
; COMPUTE_PGM_RSRC2:TGID_Y_EN: 1
; COMPUTE_PGM_RSRC2:TGID_Z_EN: 0
; COMPUTE_PGM_RSRC2:TIDIG_COMP_CNT: 0
	.section	.text._ZL33flash_attn_stream_k_fixup_uniformILi512ELi4ELi4EEvPfPK15HIP_vector_typeIfLj2EEiiiiiiS1_IjLj3EES5_S5_,"axG",@progbits,_ZL33flash_attn_stream_k_fixup_uniformILi512ELi4ELi4EEvPfPK15HIP_vector_typeIfLj2EEiiiiiiS1_IjLj3EES5_S5_,comdat
	.globl	_ZL33flash_attn_stream_k_fixup_uniformILi512ELi4ELi4EEvPfPK15HIP_vector_typeIfLj2EEiiiiiiS1_IjLj3EES5_S5_ ; -- Begin function _ZL33flash_attn_stream_k_fixup_uniformILi512ELi4ELi4EEvPfPK15HIP_vector_typeIfLj2EEiiiiiiS1_IjLj3EES5_S5_
	.p2align	8
	.type	_ZL33flash_attn_stream_k_fixup_uniformILi512ELi4ELi4EEvPfPK15HIP_vector_typeIfLj2EEiiiiiiS1_IjLj3EES5_S5_,@function
_ZL33flash_attn_stream_k_fixup_uniformILi512ELi4ELi4EEvPfPK15HIP_vector_typeIfLj2EEiiiiiiS1_IjLj3EES5_S5_: ; @_ZL33flash_attn_stream_k_fixup_uniformILi512ELi4ELi4EEvPfPK15HIP_vector_typeIfLj2EEiiiiiiS1_IjLj3EES5_S5_
; %bb.0:
	s_clause 0x1
	s_load_b256 s[4:11], s[0:1], 0x1c
	s_load_b128 s[16:19], s[0:1], 0x3c
	s_waitcnt lgkmcnt(0)
	s_mul_hi_u32 s2, s7, s13
	s_delay_alu instid0(SALU_CYCLE_1) | instskip(NEXT) | instid1(SALU_CYCLE_1)
	s_add_i32 s2, s13, s2
	s_lshr_b32 s2, s2, s8
	s_delay_alu instid0(SALU_CYCLE_1) | instskip(SKIP_2) | instid1(SALU_CYCLE_1)
	s_mul_i32 s3, s2, s9
	s_load_b64 s[8:9], s[0:1], 0x10
	s_sub_i32 s7, s13, s3
	s_mul_hi_u32 s3, s7, s10
	s_delay_alu instid0(SALU_CYCLE_1) | instskip(NEXT) | instid1(SALU_CYCLE_1)
	s_add_i32 s3, s7, s3
	s_lshr_b32 s3, s3, s11
	s_delay_alu instid0(SALU_CYCLE_1) | instskip(NEXT) | instid1(SALU_CYCLE_1)
	s_mul_i32 s10, s3, s16
	s_sub_i32 s7, s7, s10
	s_delay_alu instid0(SALU_CYCLE_1) | instskip(NEXT) | instid1(SALU_CYCLE_1)
	s_mul_hi_u32 s10, s7, s17
	s_add_i32 s10, s7, s10
	s_delay_alu instid0(SALU_CYCLE_1) | instskip(NEXT) | instid1(SALU_CYCLE_1)
	s_lshr_b32 s10, s10, s18
	s_mul_i32 s11, s10, s19
	s_lshl_b32 s10, s10, 2
	s_sub_i32 s7, s7, s11
	s_delay_alu instid0(SALU_CYCLE_1) | instskip(NEXT) | instid1(SALU_CYCLE_1)
	s_lshl_b32 s11, s7, 2
	s_add_i32 s11, s11, s14
	s_waitcnt lgkmcnt(0)
	s_cmp_lt_i32 s11, s8
	s_cselect_b32 s11, -1, 0
	s_add_i32 s12, s10, s15
	s_delay_alu instid0(SALU_CYCLE_1) | instskip(SKIP_1) | instid1(SALU_CYCLE_1)
	s_cmp_lt_i32 s12, s5
	s_cselect_b32 s12, -1, 0
	s_and_b32 s11, s11, s12
	s_delay_alu instid0(SALU_CYCLE_1)
	s_and_not1_b32 vcc_lo, exec_lo, s11
	s_cbranch_vccnz .LBB15_6
; %bb.1:
	s_mul_i32 s2, s2, s8
	s_mul_i32 s5, s3, s5
	s_add_i32 s2, s2, s14
	s_mul_i32 s7, s9, s7
	s_mul_i32 s2, s2, s9
	s_lshl_b32 s7, s7, 11
	s_add_i32 s8, s2, s15
	s_load_b128 s[0:3], s[0:1], 0x0
	s_add_i32 s5, s8, s5
	s_lshl_b32 s9, s14, 2
	s_add_i32 s5, s5, s10
	s_delay_alu instid0(SALU_CYCLE_1) | instskip(NEXT) | instid1(SALU_CYCLE_1)
	s_lshl_b32 s5, s5, 9
	s_add_i32 s7, s7, s5
	s_mul_i32 s5, s13, s6
	v_or_b32_e32 v1, s7, v0
	s_add_i32 s10, s5, s6
	s_delay_alu instid0(VALU_DEP_1) | instskip(NEXT) | instid1(VALU_DEP_1)
	v_ashrrev_i32_e32 v2, 31, v1
	v_lshlrev_b64 v[1:2], 2, v[1:2]
	s_waitcnt lgkmcnt(0)
	s_delay_alu instid0(VALU_DEP_1) | instskip(NEXT) | instid1(VALU_DEP_2)
	v_add_co_u32 v1, vcc_lo, s0, v1
	v_add_co_ci_u32_e32 v2, vcc_lo, s1, v2, vcc_lo
	s_add_i32 s0, s9, s15
	s_lshl_b32 s1, s10, 4
	s_delay_alu instid0(SALU_CYCLE_1) | instskip(SKIP_2) | instid1(SALU_CYCLE_1)
	s_add_i32 s0, s0, s1
	global_load_b32 v5, v[1:2], off
	s_add_i32 s0, s0, -16
	s_ashr_i32 s1, s0, 31
	s_delay_alu instid0(SALU_CYCLE_1) | instskip(NEXT) | instid1(SALU_CYCLE_1)
	s_lshl_b64 s[0:1], s[0:1], 3
	s_add_u32 s0, s2, s0
	s_addc_u32 s1, s3, s1
	s_add_i32 s7, s10, -2
	s_load_b32 s11, s[0:1], 0x4
	s_cmp_lt_i32 s7, s5
	s_cbranch_scc1 .LBB15_4
; %bb.2:
	s_lshl_b32 s16, s4, 6
	s_load_b32 s12, s[0:1], 0x0
	s_ashr_i32 s17, s16, 31
	s_delay_alu instid0(SALU_CYCLE_1) | instskip(NEXT) | instid1(SALU_CYCLE_1)
	s_lshl_b64 s[0:1], s[16:17], 2
	s_add_u32 s7, s2, s0
	s_addc_u32 s8, s3, s1
	s_add_i32 s13, s13, 1
	s_lshl_b32 s0, s14, 11
	s_lshl_b32 s1, s15, 9
	s_mul_i32 s6, s6, s13
	s_add_i32 s0, s1, s0
	s_lshl_b32 s1, s6, 13
	s_delay_alu instid0(SALU_CYCLE_1)
	s_add_i32 s0, s0, s1
	s_lshl_b32 s1, s6, 4
	v_or_b32_e32 v0, s0, v0
	s_lshl_b32 s0, s4, 4
	s_add_i32 s1, s15, s1
	s_waitcnt lgkmcnt(0)
	v_mov_b32_e32 v6, s11
	s_add_i32 s0, s1, s0
	v_dual_mov_b32 v0, s12 :: v_dual_add_nc_u32 v3, 0xffffc000, v0
	s_add_i32 s0, s0, s9
	s_add_i32 s4, s10, -1
	s_sub_i32 s0, s0, 32
.LBB15_3:                               ; =>This Inner Loop Header: Depth=1
	s_delay_alu instid0(VALU_DEP_1) | instskip(SKIP_1) | instid1(SALU_CYCLE_1)
	v_ashrrev_i32_e32 v4, 31, v3
	s_ashr_i32 s1, s0, 31
	s_lshl_b64 s[10:11], s[0:1], 3
	s_delay_alu instid0(SALU_CYCLE_1) | instskip(NEXT) | instid1(VALU_DEP_1)
	s_add_u32 s10, s2, s10
	v_lshlrev_b64 v[7:8], 2, v[3:4]
	s_addc_u32 s11, s3, s11
	s_add_i32 s4, s4, -1
	s_add_i32 s0, s0, -16
	s_cmp_le_i32 s4, s5
	s_load_b64 s[10:11], s[10:11], 0x0
	v_add_co_u32 v7, vcc_lo, s7, v7
	v_add_co_ci_u32_e32 v8, vcc_lo, s8, v8, vcc_lo
	global_load_b32 v4, v[7:8], off
	v_max_f32_e32 v7, v0, v0
	s_waitcnt lgkmcnt(0)
	v_max_f32_e64 v8, s10, s10
	s_delay_alu instid0(VALU_DEP_1) | instskip(NEXT) | instid1(VALU_DEP_1)
	v_max_f32_e32 v7, v7, v8
	v_sub_f32_e32 v8, s10, v7
	s_delay_alu instid0(VALU_DEP_1) | instskip(NEXT) | instid1(VALU_DEP_1)
	v_dual_sub_f32 v0, v0, v7 :: v_dual_mul_f32 v9, 0x3fb8aa3b, v8
	v_fma_f32 v10, 0x3fb8aa3b, v8, -v9
	v_rndne_f32_e32 v11, v9
	s_delay_alu instid0(VALU_DEP_3) | instskip(NEXT) | instid1(VALU_DEP_2)
	v_mul_f32_e32 v12, 0x3fb8aa3b, v0
	v_dual_fmac_f32 v10, 0x32a5705f, v8 :: v_dual_sub_f32 v9, v9, v11
	v_cvt_i32_f32_e32 v11, v11
	s_delay_alu instid0(VALU_DEP_3) | instskip(SKIP_1) | instid1(VALU_DEP_4)
	v_fma_f32 v13, 0x3fb8aa3b, v0, -v12
	v_rndne_f32_e32 v14, v12
	v_add_f32_e32 v9, v9, v10
	v_cmp_ngt_f32_e32 vcc_lo, 0xc2ce8ed0, v8
	s_delay_alu instid0(VALU_DEP_3) | instskip(NEXT) | instid1(VALU_DEP_3)
	v_sub_f32_e32 v10, v12, v14
	v_exp_f32_e32 v9, v9
	s_waitcnt_depctr 0xfff
	v_ldexp_f32 v9, v9, v11
	v_cvt_i32_f32_e32 v11, v14
	s_delay_alu instid0(VALU_DEP_2) | instskip(SKIP_1) | instid1(VALU_DEP_2)
	v_cndmask_b32_e32 v9, 0, v9, vcc_lo
	v_cmp_nlt_f32_e32 vcc_lo, 0x42b17218, v8
	v_cndmask_b32_e32 v9, 0x7f800000, v9, vcc_lo
	v_cmp_ngt_f32_e32 vcc_lo, 0xc2ce8ed0, v0
	v_fmac_f32_e32 v13, 0x32a5705f, v0
	s_delay_alu instid0(VALU_DEP_1) | instskip(NEXT) | instid1(VALU_DEP_1)
	v_add_f32_e32 v10, v10, v13
	v_exp_f32_e32 v10, v10
	s_waitcnt_depctr 0xfff
	v_ldexp_f32 v10, v10, v11
	s_delay_alu instid0(VALU_DEP_1)
	v_dual_mov_b32 v11, v6 :: v_dual_cndmask_b32 v10, 0, v10
	v_cmp_le_f32_e32 vcc_lo, 0xc1a00000, v8
	s_waitcnt vmcnt(1)
	v_dual_cndmask_b32 v8, 0, v9 :: v_dual_mov_b32 v9, v5
	v_cmp_nlt_f32_e32 vcc_lo, 0x42b17218, v0
	v_cndmask_b32_e32 v5, 0x7f800000, v10, vcc_lo
	s_delay_alu instid0(VALU_DEP_3) | instskip(SKIP_2) | instid1(VALU_DEP_3)
	v_mul_f32_e32 v10, s11, v8
	v_cmp_le_f32_e32 vcc_lo, 0xc1a00000, v0
	v_mov_b32_e32 v0, v7
	v_mov_b32_e32 v6, v10
	s_waitcnt vmcnt(0)
	v_dual_cndmask_b32 v12, 0, v5 :: v_dual_mul_f32 v5, v4, v8
	s_delay_alu instid0(VALU_DEP_1) | instskip(NEXT) | instid1(VALU_DEP_2)
	v_dual_fmac_f32 v6, v11, v12 :: v_dual_add_nc_u32 v3, 0xffffe000, v3
	v_fmac_f32_e32 v5, v9, v12
	s_cbranch_scc0 .LBB15_3
	s_branch .LBB15_5
.LBB15_4:
	s_waitcnt lgkmcnt(0)
	v_mov_b32_e32 v6, s11
.LBB15_5:
	s_waitcnt vmcnt(0)
	s_delay_alu instid0(VALU_DEP_1) | instskip(NEXT) | instid1(VALU_DEP_1)
	v_div_scale_f32 v0, null, v6, v6, v5
	v_rcp_f32_e32 v3, v0
	s_waitcnt_depctr 0xfff
	v_fma_f32 v4, -v0, v3, 1.0
	s_delay_alu instid0(VALU_DEP_1) | instskip(SKIP_1) | instid1(VALU_DEP_1)
	v_fmac_f32_e32 v3, v4, v3
	v_div_scale_f32 v4, vcc_lo, v5, v6, v5
	v_mul_f32_e32 v7, v4, v3
	s_delay_alu instid0(VALU_DEP_1) | instskip(NEXT) | instid1(VALU_DEP_1)
	v_fma_f32 v8, -v0, v7, v4
	v_fmac_f32_e32 v7, v8, v3
	s_delay_alu instid0(VALU_DEP_1) | instskip(NEXT) | instid1(VALU_DEP_1)
	v_fma_f32 v0, -v0, v7, v4
	v_div_fmas_f32 v0, v0, v3, v7
	s_delay_alu instid0(VALU_DEP_1)
	v_div_fixup_f32 v0, v0, v6, v5
	global_store_b32 v[1:2], v0, off
.LBB15_6:
	s_nop 0
	s_sendmsg sendmsg(MSG_DEALLOC_VGPRS)
	s_endpgm
	.section	.rodata,"a",@progbits
	.p2align	6, 0x0
	.amdhsa_kernel _ZL33flash_attn_stream_k_fixup_uniformILi512ELi4ELi4EEvPfPK15HIP_vector_typeIfLj2EEiiiiiiS1_IjLj3EES5_S5_
		.amdhsa_group_segment_fixed_size 0
		.amdhsa_private_segment_fixed_size 0
		.amdhsa_kernarg_size 76
		.amdhsa_user_sgpr_count 13
		.amdhsa_user_sgpr_dispatch_ptr 0
		.amdhsa_user_sgpr_queue_ptr 0
		.amdhsa_user_sgpr_kernarg_segment_ptr 1
		.amdhsa_user_sgpr_dispatch_id 0
		.amdhsa_user_sgpr_private_segment_size 0
		.amdhsa_wavefront_size32 1
		.amdhsa_uses_dynamic_stack 0
		.amdhsa_enable_private_segment 0
		.amdhsa_system_sgpr_workgroup_id_x 1
		.amdhsa_system_sgpr_workgroup_id_y 1
		.amdhsa_system_sgpr_workgroup_id_z 1
		.amdhsa_system_sgpr_workgroup_info 0
		.amdhsa_system_vgpr_workitem_id 0
		.amdhsa_next_free_vgpr 15
		.amdhsa_next_free_sgpr 20
		.amdhsa_reserve_vcc 1
		.amdhsa_float_round_mode_32 0
		.amdhsa_float_round_mode_16_64 0
		.amdhsa_float_denorm_mode_32 3
		.amdhsa_float_denorm_mode_16_64 3
		.amdhsa_dx10_clamp 1
		.amdhsa_ieee_mode 1
		.amdhsa_fp16_overflow 0
		.amdhsa_workgroup_processor_mode 1
		.amdhsa_memory_ordered 1
		.amdhsa_forward_progress 0
		.amdhsa_shared_vgpr_count 0
		.amdhsa_exception_fp_ieee_invalid_op 0
		.amdhsa_exception_fp_denorm_src 0
		.amdhsa_exception_fp_ieee_div_zero 0
		.amdhsa_exception_fp_ieee_overflow 0
		.amdhsa_exception_fp_ieee_underflow 0
		.amdhsa_exception_fp_ieee_inexact 0
		.amdhsa_exception_int_div_zero 0
	.end_amdhsa_kernel
	.section	.text._ZL33flash_attn_stream_k_fixup_uniformILi512ELi4ELi4EEvPfPK15HIP_vector_typeIfLj2EEiiiiiiS1_IjLj3EES5_S5_,"axG",@progbits,_ZL33flash_attn_stream_k_fixup_uniformILi512ELi4ELi4EEvPfPK15HIP_vector_typeIfLj2EEiiiiiiS1_IjLj3EES5_S5_,comdat
.Lfunc_end15:
	.size	_ZL33flash_attn_stream_k_fixup_uniformILi512ELi4ELi4EEvPfPK15HIP_vector_typeIfLj2EEiiiiiiS1_IjLj3EES5_S5_, .Lfunc_end15-_ZL33flash_attn_stream_k_fixup_uniformILi512ELi4ELi4EEvPfPK15HIP_vector_typeIfLj2EEiiiiiiS1_IjLj3EES5_S5_
                                        ; -- End function
	.section	.AMDGPU.csdata,"",@progbits
; Kernel info:
; codeLenInByte = 996
; NumSgprs: 22
; NumVgprs: 15
; ScratchSize: 0
; MemoryBound: 0
; FloatMode: 240
; IeeeMode: 1
; LDSByteSize: 0 bytes/workgroup (compile time only)
; SGPRBlocks: 2
; VGPRBlocks: 1
; NumSGPRsForWavesPerEU: 22
; NumVGPRsForWavesPerEU: 15
; Occupancy: 16
; WaveLimiterHint : 0
; COMPUTE_PGM_RSRC2:SCRATCH_EN: 0
; COMPUTE_PGM_RSRC2:USER_SGPR: 13
; COMPUTE_PGM_RSRC2:TRAP_HANDLER: 0
; COMPUTE_PGM_RSRC2:TGID_X_EN: 1
; COMPUTE_PGM_RSRC2:TGID_Y_EN: 1
; COMPUTE_PGM_RSRC2:TGID_Z_EN: 1
; COMPUTE_PGM_RSRC2:TIDIG_COMP_CNT: 0
	.section	.text._ZL33flash_attn_stream_k_fixup_generalILi512ELi4ELi4EEvPfPK15HIP_vector_typeIfLj2EEiiiiS1_IjLj3EES5_S5_S5_,"axG",@progbits,_ZL33flash_attn_stream_k_fixup_generalILi512ELi4ELi4EEvPfPK15HIP_vector_typeIfLj2EEiiiiS1_IjLj3EES5_S5_S5_,comdat
	.globl	_ZL33flash_attn_stream_k_fixup_generalILi512ELi4ELi4EEvPfPK15HIP_vector_typeIfLj2EEiiiiS1_IjLj3EES5_S5_S5_ ; -- Begin function _ZL33flash_attn_stream_k_fixup_generalILi512ELi4ELi4EEvPfPK15HIP_vector_typeIfLj2EEiiiiS1_IjLj3EES5_S5_S5_
	.p2align	8
	.type	_ZL33flash_attn_stream_k_fixup_generalILi512ELi4ELi4EEvPfPK15HIP_vector_typeIfLj2EEiiiiS1_IjLj3EES5_S5_S5_,@function
_ZL33flash_attn_stream_k_fixup_generalILi512ELi4ELi4EEvPfPK15HIP_vector_typeIfLj2EEiiiiS1_IjLj3EES5_S5_S5_: ; @_ZL33flash_attn_stream_k_fixup_generalILi512ELi4ELi4EEvPfPK15HIP_vector_typeIfLj2EEiiiiS1_IjLj3EES5_S5_S5_
; %bb.0:
	s_clause 0x1
	s_load_b128 s[4:7], s[0:1], 0x10
	s_load_b32 s20, s[0:1], 0x50
	s_mov_b32 s2, 0
	s_waitcnt lgkmcnt(0)
	s_mul_hi_i32 s3, s7, s13
	s_mul_i32 s12, s7, s13
	s_cmp_lg_u64 s[2:3], 0
	s_cbranch_scc0 .LBB16_21
; %bb.1:
	v_cvt_f32_ubyte0_e32 v1, 0
	v_cvt_f32_u32_e32 v2, s20
	s_sub_u32 s10, 0, s20
	s_subb_u32 s11, 0, 0
	s_delay_alu instid0(VALU_DEP_1) | instskip(NEXT) | instid1(VALU_DEP_1)
	v_fmamk_f32 v1, v1, 0x4f800000, v2
	v_rcp_f32_e32 v1, v1
	s_waitcnt_depctr 0xfff
	v_mul_f32_e32 v1, 0x5f7ffffc, v1
	s_delay_alu instid0(VALU_DEP_1) | instskip(NEXT) | instid1(VALU_DEP_1)
	v_mul_f32_e32 v2, 0x2f800000, v1
	v_trunc_f32_e32 v2, v2
	s_delay_alu instid0(VALU_DEP_1) | instskip(SKIP_1) | instid1(VALU_DEP_2)
	v_fmamk_f32 v1, v2, 0xcf800000, v1
	v_cvt_u32_f32_e32 v2, v2
	v_cvt_u32_f32_e32 v1, v1
	s_delay_alu instid0(VALU_DEP_2) | instskip(NEXT) | instid1(VALU_DEP_2)
	v_readfirstlane_b32 s8, v2
	v_readfirstlane_b32 s9, v1
	s_delay_alu instid0(VALU_DEP_2) | instskip(NEXT) | instid1(VALU_DEP_1)
	s_mul_i32 s16, s10, s8
	s_mul_hi_u32 s18, s10, s9
	s_mul_i32 s17, s11, s9
	s_add_i32 s16, s18, s16
	s_mul_i32 s19, s10, s9
	s_add_i32 s16, s16, s17
	s_mul_hi_u32 s18, s9, s19
	s_mul_hi_u32 s21, s8, s19
	s_mul_i32 s17, s8, s19
	s_mul_hi_u32 s19, s9, s16
	s_mul_i32 s9, s9, s16
	s_mul_hi_u32 s22, s8, s16
	s_add_u32 s9, s18, s9
	s_addc_u32 s18, 0, s19
	s_add_u32 s9, s9, s17
	s_mul_i32 s16, s8, s16
	s_addc_u32 s9, s18, s21
	s_addc_u32 s17, s22, 0
	s_add_u32 s9, s9, s16
	s_addc_u32 s16, 0, s17
	v_add_co_u32 v1, s9, v1, s9
	s_delay_alu instid0(VALU_DEP_1) | instskip(SKIP_1) | instid1(VALU_DEP_1)
	s_cmp_lg_u32 s9, 0
	s_addc_u32 s8, s8, s16
	v_readfirstlane_b32 s9, v1
	s_mul_i32 s16, s10, s8
	s_delay_alu instid0(VALU_DEP_1)
	s_mul_hi_u32 s17, s10, s9
	s_mul_i32 s11, s11, s9
	s_add_i32 s16, s17, s16
	s_mul_i32 s10, s10, s9
	s_add_i32 s16, s16, s11
	s_mul_hi_u32 s17, s8, s10
	s_mul_i32 s18, s8, s10
	s_mul_hi_u32 s10, s9, s10
	s_mul_hi_u32 s19, s9, s16
	s_mul_i32 s9, s9, s16
	s_mul_hi_u32 s11, s8, s16
	s_add_u32 s9, s10, s9
	s_addc_u32 s10, 0, s19
	s_add_u32 s9, s9, s18
	s_mul_i32 s16, s8, s16
	s_addc_u32 s9, s10, s17
	s_addc_u32 s10, s11, 0
	s_add_u32 s9, s9, s16
	s_addc_u32 s10, 0, s10
	v_add_co_u32 v1, s9, v1, s9
	s_delay_alu instid0(VALU_DEP_1) | instskip(SKIP_2) | instid1(SALU_CYCLE_1)
	s_cmp_lg_u32 s9, 0
	s_addc_u32 s16, s8, s10
	s_ashr_i32 s8, s3, 31
	s_add_u32 s10, s12, s8
	s_addc_u32 s11, s3, s8
	v_readfirstlane_b32 s3, v1
	s_mov_b32 s9, s8
	s_delay_alu instid0(SALU_CYCLE_1) | instskip(NEXT) | instid1(SALU_CYCLE_1)
	s_xor_b64 s[10:11], s[10:11], s[8:9]
	s_mul_i32 s18, s10, s16
	s_delay_alu instid0(VALU_DEP_1)
	s_mul_hi_u32 s19, s10, s3
	s_mul_hi_u32 s17, s10, s16
	;; [unrolled: 1-line block ×3, first 2 shown]
	s_mul_i32 s3, s11, s3
	s_add_u32 s18, s19, s18
	s_addc_u32 s17, 0, s17
	s_mul_hi_u32 s21, s11, s16
	s_add_u32 s3, s18, s3
	s_mul_i32 s16, s11, s16
	s_addc_u32 s3, s17, s22
	s_addc_u32 s17, s21, 0
	s_add_u32 s3, s3, s16
	s_addc_u32 s16, 0, s17
	s_mul_i32 s18, s20, s3
	s_add_u32 s17, s3, 1
	v_sub_co_u32 v1, s10, s10, s18
	s_mul_hi_u32 s18, s20, s3
	s_addc_u32 s19, s16, 0
	s_mul_i32 s21, s20, s16
	s_delay_alu instid0(VALU_DEP_1)
	v_sub_co_u32 v2, s22, v1, s20
	s_add_u32 s23, s3, 2
	s_addc_u32 s24, s16, 0
	s_add_i32 s18, s18, s21
	s_cmp_lg_u32 s10, 0
	v_readfirstlane_b32 s10, v2
	s_subb_u32 s11, s11, s18
	s_cmp_lg_u32 s22, 0
	s_subb_u32 s18, s11, 0
	s_delay_alu instid0(VALU_DEP_1) | instskip(SKIP_4) | instid1(SALU_CYCLE_1)
	s_cmp_ge_u32 s10, s20
	s_cselect_b32 s10, -1, 0
	s_cmp_eq_u32 s18, 0
	v_readfirstlane_b32 s18, v1
	s_cselect_b32 s10, s10, -1
	s_cmp_lg_u32 s10, 0
	s_cselect_b32 s10, s23, s17
	s_cselect_b32 s17, s24, s19
	s_cmp_ge_u32 s18, s20
	s_cselect_b32 s18, -1, 0
	s_cmp_eq_u32 s11, 0
	s_cselect_b32 s11, s18, -1
	s_delay_alu instid0(SALU_CYCLE_1) | instskip(SKIP_2) | instid1(SALU_CYCLE_1)
	s_cmp_lg_u32 s11, 0
	s_cselect_b32 s11, s17, s16
	s_cselect_b32 s10, s10, s3
	s_xor_b64 s[10:11], s[10:11], s[8:9]
	s_delay_alu instid0(SALU_CYCLE_1)
	s_sub_u32 s16, s10, s8
	s_load_b128 s[8:11], s[0:1], 0x44
	s_and_not1_b32 vcc_lo, exec_lo, s2
	s_cbranch_vccnz .LBB16_3
.LBB16_2:
	v_cvt_f32_u32_e32 v1, s20
	s_sub_i32 s3, 0, s20
	s_delay_alu instid0(VALU_DEP_1) | instskip(SKIP_2) | instid1(VALU_DEP_1)
	v_rcp_iflag_f32_e32 v1, v1
	s_waitcnt_depctr 0xfff
	v_mul_f32_e32 v1, 0x4f7ffffe, v1
	v_cvt_u32_f32_e32 v1, v1
	s_delay_alu instid0(VALU_DEP_1) | instskip(NEXT) | instid1(VALU_DEP_1)
	v_readfirstlane_b32 s2, v1
	s_mul_i32 s3, s3, s2
	s_delay_alu instid0(SALU_CYCLE_1) | instskip(NEXT) | instid1(SALU_CYCLE_1)
	s_mul_hi_u32 s3, s2, s3
	s_add_i32 s2, s2, s3
	s_delay_alu instid0(SALU_CYCLE_1) | instskip(NEXT) | instid1(SALU_CYCLE_1)
	s_mul_hi_u32 s2, s12, s2
	s_mul_i32 s3, s2, s20
	s_waitcnt lgkmcnt(0)
	s_add_i32 s11, s2, 1
	s_sub_i32 s3, s12, s3
	s_delay_alu instid0(SALU_CYCLE_1)
	s_sub_i32 s12, s3, s20
	s_cmp_ge_u32 s3, s20
	s_cselect_b32 s2, s11, s2
	s_cselect_b32 s3, s12, s3
	s_add_i32 s11, s2, 1
	s_cmp_ge_u32 s3, s20
	s_cselect_b32 s16, s11, s2
.LBB16_3:
	s_waitcnt lgkmcnt(0)
	s_add_i32 s11, s13, 1
	s_mov_b32 s2, 0
	s_mul_hi_i32 s3, s7, s11
	s_mul_i32 s11, s7, s11
	s_cmp_lg_u64 s[2:3], 0
	s_cbranch_scc0 .LBB16_22
; %bb.4:
	v_cvt_f32_ubyte0_e32 v1, 0
	v_cvt_f32_u32_e32 v2, s20
	s_sub_u32 s18, 0, s20
	s_subb_u32 s19, 0, 0
	s_delay_alu instid0(VALU_DEP_1) | instskip(NEXT) | instid1(VALU_DEP_1)
	v_fmamk_f32 v1, v1, 0x4f800000, v2
	v_rcp_f32_e32 v1, v1
	s_waitcnt_depctr 0xfff
	v_mul_f32_e32 v1, 0x5f7ffffc, v1
	s_delay_alu instid0(VALU_DEP_1) | instskip(NEXT) | instid1(VALU_DEP_1)
	v_mul_f32_e32 v2, 0x2f800000, v1
	v_trunc_f32_e32 v2, v2
	s_delay_alu instid0(VALU_DEP_1) | instskip(SKIP_1) | instid1(VALU_DEP_2)
	v_fmamk_f32 v1, v2, 0xcf800000, v1
	v_cvt_u32_f32_e32 v2, v2
	v_cvt_u32_f32_e32 v1, v1
	s_delay_alu instid0(VALU_DEP_2) | instskip(NEXT) | instid1(VALU_DEP_2)
	v_readfirstlane_b32 s12, v2
	v_readfirstlane_b32 s17, v1
	s_delay_alu instid0(VALU_DEP_2) | instskip(NEXT) | instid1(VALU_DEP_1)
	s_mul_i32 s21, s18, s12
	s_mul_hi_u32 s23, s18, s17
	s_mul_i32 s22, s19, s17
	s_add_i32 s21, s23, s21
	s_mul_i32 s24, s18, s17
	s_add_i32 s21, s21, s22
	s_mul_hi_u32 s23, s17, s24
	s_mul_hi_u32 s25, s12, s24
	s_mul_i32 s22, s12, s24
	s_mul_hi_u32 s24, s17, s21
	s_mul_i32 s17, s17, s21
	s_mul_hi_u32 s26, s12, s21
	s_add_u32 s17, s23, s17
	s_addc_u32 s23, 0, s24
	s_add_u32 s17, s17, s22
	s_mul_i32 s21, s12, s21
	s_addc_u32 s17, s23, s25
	s_addc_u32 s22, s26, 0
	s_add_u32 s17, s17, s21
	s_addc_u32 s21, 0, s22
	v_add_co_u32 v1, s17, v1, s17
	s_delay_alu instid0(VALU_DEP_1) | instskip(SKIP_1) | instid1(VALU_DEP_1)
	s_cmp_lg_u32 s17, 0
	s_addc_u32 s12, s12, s21
	v_readfirstlane_b32 s17, v1
	s_mul_i32 s21, s18, s12
	s_delay_alu instid0(VALU_DEP_1)
	s_mul_hi_u32 s22, s18, s17
	s_mul_i32 s19, s19, s17
	s_add_i32 s21, s22, s21
	s_mul_i32 s18, s18, s17
	s_add_i32 s21, s21, s19
	s_mul_hi_u32 s22, s12, s18
	s_mul_i32 s23, s12, s18
	s_mul_hi_u32 s18, s17, s18
	s_mul_hi_u32 s24, s17, s21
	s_mul_i32 s17, s17, s21
	s_mul_hi_u32 s19, s12, s21
	s_add_u32 s17, s18, s17
	s_addc_u32 s18, 0, s24
	s_add_u32 s17, s17, s23
	s_mul_i32 s21, s12, s21
	s_addc_u32 s17, s18, s22
	s_addc_u32 s18, s19, 0
	s_add_u32 s17, s17, s21
	s_addc_u32 s18, 0, s18
	v_add_co_u32 v1, s17, v1, s17
	s_delay_alu instid0(VALU_DEP_1) | instskip(SKIP_2) | instid1(SALU_CYCLE_1)
	s_cmp_lg_u32 s17, 0
	s_addc_u32 s12, s12, s18
	s_ashr_i32 s18, s3, 31
	s_add_u32 s22, s11, s18
	s_addc_u32 s23, s3, s18
	v_readfirstlane_b32 s3, v1
	s_mov_b32 s19, s18
	s_delay_alu instid0(SALU_CYCLE_1) | instskip(NEXT) | instid1(SALU_CYCLE_1)
	s_xor_b64 s[22:23], s[22:23], s[18:19]
	s_mul_i32 s21, s22, s12
	s_delay_alu instid0(VALU_DEP_1)
	s_mul_hi_u32 s24, s22, s3
	s_mul_hi_u32 s17, s22, s12
	;; [unrolled: 1-line block ×3, first 2 shown]
	s_mul_i32 s3, s23, s3
	s_add_u32 s21, s24, s21
	s_addc_u32 s17, 0, s17
	s_mul_hi_u32 s25, s23, s12
	s_add_u32 s3, s21, s3
	s_mul_i32 s12, s23, s12
	s_addc_u32 s3, s17, s26
	s_addc_u32 s17, s25, 0
	s_add_u32 s3, s3, s12
	s_addc_u32 s12, 0, s17
	s_mul_i32 s21, s20, s3
	s_add_u32 s17, s3, 1
	v_sub_co_u32 v1, s21, s22, s21
	s_mul_hi_u32 s22, s20, s3
	s_addc_u32 s24, s12, 0
	s_mul_i32 s25, s20, s12
	s_delay_alu instid0(VALU_DEP_1)
	v_sub_co_u32 v2, s26, v1, s20
	s_add_u32 s27, s3, 2
	s_addc_u32 s28, s12, 0
	s_add_i32 s22, s22, s25
	s_cmp_lg_u32 s21, 0
	v_readfirstlane_b32 s21, v2
	s_subb_u32 s22, s23, s22
	s_cmp_lg_u32 s26, 0
	s_subb_u32 s23, s22, 0
	s_delay_alu instid0(VALU_DEP_1) | instskip(SKIP_4) | instid1(SALU_CYCLE_1)
	s_cmp_ge_u32 s21, s20
	s_cselect_b32 s21, -1, 0
	s_cmp_eq_u32 s23, 0
	v_readfirstlane_b32 s23, v1
	s_cselect_b32 s21, s21, -1
	s_cmp_lg_u32 s21, 0
	s_cselect_b32 s17, s27, s17
	s_cselect_b32 s21, s28, s24
	s_cmp_ge_u32 s23, s20
	s_cselect_b32 s23, -1, 0
	s_cmp_eq_u32 s22, 0
	s_cselect_b32 s22, s23, -1
	s_delay_alu instid0(SALU_CYCLE_1) | instskip(SKIP_2) | instid1(SALU_CYCLE_1)
	s_cmp_lg_u32 s22, 0
	s_cselect_b32 s23, s21, s12
	s_cselect_b32 s22, s17, s3
	s_xor_b64 s[22:23], s[22:23], s[18:19]
	s_delay_alu instid0(SALU_CYCLE_1)
	s_sub_u32 s18, s22, s18
	s_and_not1_b32 vcc_lo, exec_lo, s2
	s_cbranch_vccnz .LBB16_6
.LBB16_5:
	v_cvt_f32_u32_e32 v1, s20
	s_sub_i32 s3, 0, s20
	s_delay_alu instid0(VALU_DEP_1) | instskip(SKIP_2) | instid1(VALU_DEP_1)
	v_rcp_iflag_f32_e32 v1, v1
	s_waitcnt_depctr 0xfff
	v_mul_f32_e32 v1, 0x4f7ffffe, v1
	v_cvt_u32_f32_e32 v1, v1
	s_delay_alu instid0(VALU_DEP_1) | instskip(NEXT) | instid1(VALU_DEP_1)
	v_readfirstlane_b32 s2, v1
	s_mul_i32 s3, s3, s2
	s_delay_alu instid0(SALU_CYCLE_1) | instskip(NEXT) | instid1(SALU_CYCLE_1)
	s_mul_hi_u32 s3, s2, s3
	s_add_i32 s2, s2, s3
	s_delay_alu instid0(SALU_CYCLE_1) | instskip(NEXT) | instid1(SALU_CYCLE_1)
	s_mul_hi_u32 s2, s11, s2
	s_mul_i32 s3, s2, s20
	s_delay_alu instid0(SALU_CYCLE_1)
	s_sub_i32 s3, s11, s3
	s_add_i32 s11, s2, 1
	s_sub_i32 s12, s3, s20
	s_cmp_ge_u32 s3, s20
	s_cselect_b32 s2, s11, s2
	s_cselect_b32 s3, s12, s3
	s_add_i32 s11, s2, 1
	s_cmp_ge_u32 s3, s20
	s_cselect_b32 s18, s11, s2
.LBB16_6:
	s_delay_alu instid0(SALU_CYCLE_1) | instskip(SKIP_3) | instid1(SALU_CYCLE_1)
	s_cmp_eq_u32 s16, s18
	s_mul_hi_u32 s2, s16, s8
	s_cselect_b32 s3, -1, 0
	s_add_i32 s2, s2, s16
	s_lshr_b32 s11, s2, s9
	s_delay_alu instid0(SALU_CYCLE_1) | instskip(NEXT) | instid1(SALU_CYCLE_1)
	s_mul_i32 s2, s11, s10
	s_cmp_eq_u32 s2, s16
	s_mul_hi_u32 s2, s18, s8
	s_cselect_b32 s12, -1, 0
	s_add_i32 s2, s2, s18
	s_delay_alu instid0(SALU_CYCLE_1) | instskip(NEXT) | instid1(SALU_CYCLE_1)
	s_lshr_b32 s2, s2, s9
	s_cmp_eq_u32 s11, s2
	s_mul_i32 s2, s2, s10
	s_cselect_b32 s17, -1, 0
	s_cmp_lg_u32 s2, s18
	s_cselect_b32 s2, -1, 0
	s_or_b32 s3, s3, s12
	s_and_b32 s2, s17, s2
	s_delay_alu instid0(SALU_CYCLE_1) | instskip(NEXT) | instid1(SALU_CYCLE_1)
	s_or_b32 s2, s3, s2
	s_and_b32 vcc_lo, exec_lo, s2
	s_cbranch_vccnz .LBB16_24
; %bb.7:
	s_load_b256 s[24:31], s[0:1], 0x20
	s_waitcnt lgkmcnt(0)
	s_mul_hi_u32 s2, s16, s24
	s_delay_alu instid0(SALU_CYCLE_1) | instskip(NEXT) | instid1(SALU_CYCLE_1)
	s_add_i32 s2, s2, s16
	s_lshr_b32 s17, s2, s25
	s_load_b32 s2, s[0:1], 0x40
	s_mul_i32 s3, s17, s26
	s_delay_alu instid0(SALU_CYCLE_1) | instskip(NEXT) | instid1(SALU_CYCLE_1)
	s_sub_i32 s3, s16, s3
	s_mul_hi_u32 s12, s3, s27
	s_delay_alu instid0(SALU_CYCLE_1) | instskip(NEXT) | instid1(SALU_CYCLE_1)
	s_add_i32 s12, s3, s12
	s_lshr_b32 s21, s12, s28
	s_delay_alu instid0(SALU_CYCLE_1) | instskip(NEXT) | instid1(SALU_CYCLE_1)
	s_mul_i32 s12, s21, s29
	s_sub_i32 s3, s3, s12
	s_delay_alu instid0(SALU_CYCLE_1) | instskip(NEXT) | instid1(SALU_CYCLE_1)
	s_mul_hi_u32 s12, s3, s30
	s_add_i32 s12, s3, s12
	s_delay_alu instid0(SALU_CYCLE_1)
	s_lshr_b32 s12, s12, s31
	s_waitcnt lgkmcnt(0)
	s_mul_i32 s2, s12, s2
	s_lshl_b32 s23, s12, 2
	s_sub_i32 s2, s3, s2
	s_mov_b32 s12, 0
	s_mul_hi_u32 s3, s2, s8
	s_delay_alu instid0(SALU_CYCLE_1) | instskip(NEXT) | instid1(SALU_CYCLE_1)
	s_add_i32 s2, s2, s3
	s_lshr_b32 s22, s2, s9
	s_delay_alu instid0(SALU_CYCLE_1) | instskip(NEXT) | instid1(SALU_CYCLE_1)
	s_lshl_b32 s2, s22, 2
	s_add_i32 s2, s2, s14
	s_delay_alu instid0(SALU_CYCLE_1) | instskip(SKIP_2) | instid1(SALU_CYCLE_1)
	s_cmp_lt_i32 s2, s4
	s_cselect_b32 s2, -1, 0
	s_add_i32 s3, s23, s15
	s_cmp_lt_i32 s3, s6
	s_cselect_b32 s3, -1, 0
	s_delay_alu instid0(SALU_CYCLE_1) | instskip(NEXT) | instid1(SALU_CYCLE_1)
	s_and_b32 s2, s2, s3
	s_and_not1_b32 vcc_lo, exec_lo, s2
	s_cbranch_vccnz .LBB16_24
; %bb.8:
	s_load_b128 s[0:3], s[0:1], 0x0
	s_lshl_b32 s18, s20, 6
	s_mov_b32 s19, s12
	s_lshl_b32 s24, s14, 2
	s_lshl_b64 s[18:19], s[18:19], 2
	s_mul_i32 s4, s17, s4
	s_add_i32 s17, s24, s15
	s_mul_i32 s21, s21, s6
	v_cvt_f32_ubyte0_e32 v4, 0
	v_cvt_f32_u32_e32 v5, s20
	s_waitcnt lgkmcnt(0)
	s_add_u32 s18, s2, s18
	s_addc_u32 s19, s3, s19
	s_add_i32 s4, s4, s14
	s_delay_alu instid0(SALU_CYCLE_1) | instskip(SKIP_4) | instid1(SALU_CYCLE_1)
	s_mul_i32 s4, s4, s5
	s_mul_i32 s5, s5, s22
	s_add_i32 s4, s4, s15
	s_lshl_b32 s5, s5, 11
	s_add_i32 s4, s4, s21
	s_add_i32 s4, s4, s23
	s_delay_alu instid0(SALU_CYCLE_1) | instskip(NEXT) | instid1(SALU_CYCLE_1)
	s_lshl_b32 s4, s4, 9
	s_add_i32 s5, s5, s4
	s_delay_alu instid0(SALU_CYCLE_1) | instskip(SKIP_1) | instid1(VALU_DEP_2)
	v_or_b32_e32 v1, s5, v0
	v_lshl_or_b32 v0, s17, 9, v0
	v_ashrrev_i32_e32 v2, 31, v1
	s_delay_alu instid0(VALU_DEP_1) | instskip(NEXT) | instid1(VALU_DEP_1)
	v_lshlrev_b64 v[1:2], 2, v[1:2]
	v_add_co_u32 v1, vcc_lo, s0, v1
	s_delay_alu instid0(VALU_DEP_2) | instskip(SKIP_1) | instid1(SALU_CYCLE_1)
	v_add_co_ci_u32_e32 v2, vcc_lo, s1, v2, vcc_lo
	s_lshl_b32 s0, s13, 4
	s_add_i32 s0, s17, s0
	global_load_b32 v3, v[1:2], off
	s_ashr_i32 s1, s0, 31
	s_delay_alu instid0(SALU_CYCLE_1) | instskip(NEXT) | instid1(SALU_CYCLE_1)
	s_lshl_b64 s[0:1], s[0:1], 3
	s_add_u32 s0, s2, s0
	s_addc_u32 s1, s3, s1
	s_add_i32 s14, s13, -1
	s_load_b64 s[0:1], s[0:1], 0x0
	v_fmac_f32_e32 v5, 0x4f800000, v4
	s_sub_i32 s6, 0, s20
	s_waitcnt lgkmcnt(0)
	v_mov_b32_e32 v8, s0
	s_delay_alu instid0(VALU_DEP_2) | instskip(SKIP_2) | instid1(VALU_DEP_2)
	v_rcp_f32_e32 v4, v5
	v_cvt_f32_u32_e32 v5, s20
	v_mov_b32_e32 v7, s1
	v_rcp_iflag_f32_e32 v5, v5
	s_waitcnt_depctr 0xfff
	v_mul_f32_e32 v4, 0x5f7ffffc, v4
	s_delay_alu instid0(VALU_DEP_1) | instskip(SKIP_1) | instid1(VALU_DEP_2)
	v_mul_f32_e32 v6, 0x2f800000, v4
	v_mul_f32_e32 v9, 0x4f7ffffe, v5
	v_trunc_f32_e32 v6, v6
	s_delay_alu instid0(VALU_DEP_1) | instskip(SKIP_1) | instid1(VALU_DEP_4)
	v_fmac_f32_e32 v4, 0xcf800000, v6
	v_cvt_u32_f32_e32 v5, v6
	v_cvt_u32_f32_e32 v6, v9
	s_delay_alu instid0(VALU_DEP_3)
	v_cvt_u32_f32_e32 v4, v4
.LBB16_9:                               ; =>This Inner Loop Header: Depth=1
	s_mul_hi_i32 s13, s14, s7
	s_mul_i32 s4, s14, s7
	s_cmp_lg_u64 s[12:13], 0
	s_mov_b32 s5, -1
                                        ; implicit-def: $sgpr0_sgpr1
	s_cbranch_scc0 .LBB16_11
; %bb.10:                               ;   in Loop: Header=BB16_9 Depth=1
	v_readfirstlane_b32 s0, v4
	v_readfirstlane_b32 s1, v5
	s_sub_u32 s5, 0, s20
	s_subb_u32 s15, 0, 0
	s_delay_alu instid0(VALU_DEP_2) | instskip(NEXT) | instid1(VALU_DEP_1)
	s_mul_hi_u32 s21, s5, s0
	s_mul_i32 s22, s5, s1
	s_mul_i32 s23, s15, s0
	s_add_i32 s21, s21, s22
	s_mul_i32 s22, s5, s0
	s_add_i32 s21, s21, s23
	s_mul_hi_u32 s23, s0, s22
	s_mul_i32 s24, s0, s21
	s_mul_hi_u32 s0, s0, s21
	s_add_u32 s23, s23, s24
	s_mul_i32 s25, s1, s22
	s_addc_u32 s0, 0, s0
	s_mul_hi_u32 s22, s1, s22
	s_mul_hi_u32 s24, s1, s21
	s_add_u32 s23, s23, s25
	s_addc_u32 s0, s0, s22
	s_mul_i32 s21, s1, s21
	s_addc_u32 s22, s24, 0
	s_add_u32 s0, s0, s21
	s_addc_u32 s21, 0, s22
	v_add_co_u32 v9, s0, v4, s0
	s_delay_alu instid0(VALU_DEP_1) | instskip(SKIP_1) | instid1(VALU_DEP_1)
	s_cmp_lg_u32 s0, 0
	s_addc_u32 s1, s1, s21
	v_readfirstlane_b32 s0, v9
	s_mul_i32 s21, s5, s1
	s_delay_alu instid0(VALU_DEP_1)
	s_mul_hi_u32 s22, s5, s0
	s_mul_i32 s15, s15, s0
	s_add_i32 s21, s22, s21
	s_mul_i32 s5, s5, s0
	s_add_i32 s21, s21, s15
	s_mul_hi_u32 s15, s1, s5
	s_mul_i32 s23, s1, s5
	s_mul_i32 s24, s0, s21
	s_mul_hi_u32 s5, s0, s5
	s_mul_hi_u32 s0, s0, s21
	s_add_u32 s5, s5, s24
	s_addc_u32 s0, 0, s0
	s_mul_hi_u32 s22, s1, s21
	s_add_u32 s5, s5, s23
	s_addc_u32 s0, s0, s15
	s_mul_i32 s5, s1, s21
	s_addc_u32 s15, s22, 0
	s_add_u32 s0, s0, s5
	s_addc_u32 s5, 0, s15
	v_add_co_u32 v9, s0, v9, s0
	s_delay_alu instid0(VALU_DEP_1) | instskip(SKIP_2) | instid1(SALU_CYCLE_1)
	s_cmp_lg_u32 s0, 0
	s_addc_u32 s5, s1, s5
	s_ashr_i32 s0, s13, 31
	s_add_u32 s22, s4, s0
	s_addc_u32 s23, s13, s0
	v_readfirstlane_b32 s13, v9
	s_mov_b32 s1, s0
	s_delay_alu instid0(SALU_CYCLE_1) | instskip(NEXT) | instid1(SALU_CYCLE_1)
	s_xor_b64 s[22:23], s[22:23], s[0:1]
	s_mul_i32 s15, s22, s5
	s_delay_alu instid0(VALU_DEP_1)
	s_mul_hi_u32 s21, s22, s13
	s_mul_hi_u32 s24, s22, s5
	s_add_u32 s15, s21, s15
	s_mul_i32 s25, s23, s13
	s_addc_u32 s21, 0, s24
	s_mul_hi_u32 s13, s23, s13
	s_mul_hi_u32 s24, s23, s5
	s_add_u32 s15, s15, s25
	s_addc_u32 s13, s21, s13
	s_mul_i32 s5, s23, s5
	s_addc_u32 s15, s24, 0
	s_add_u32 s5, s13, s5
	s_addc_u32 s13, 0, s15
	s_mul_i32 s21, s20, s5
	s_add_u32 s15, s5, 1
	v_sub_co_u32 v9, s21, s22, s21
	s_addc_u32 s22, s13, 0
	s_mul_i32 s25, s20, s13
	s_mul_hi_u32 s27, s20, s5
	s_delay_alu instid0(VALU_DEP_1)
	v_sub_co_u32 v10, s26, v9, s20
	s_add_u32 s24, s5, 2
	s_addc_u32 s28, s13, 0
	s_add_i32 s27, s27, s25
	s_cmp_lg_u32 s21, 0
	v_readfirstlane_b32 s21, v10
	s_subb_u32 s23, s23, s27
	s_cmp_lg_u32 s26, 0
	s_subb_u32 s25, s23, 0
	s_delay_alu instid0(VALU_DEP_1) | instskip(SKIP_4) | instid1(SALU_CYCLE_1)
	s_cmp_ge_u32 s21, s20
	s_cselect_b32 s21, -1, 0
	s_cmp_eq_u32 s25, 0
	v_readfirstlane_b32 s25, v9
	s_cselect_b32 s21, s21, -1
	s_cmp_lg_u32 s21, 0
	s_cselect_b32 s15, s24, s15
	s_cselect_b32 s21, s28, s22
	s_cmp_ge_u32 s25, s20
	s_cselect_b32 s22, -1, 0
	s_cmp_eq_u32 s23, 0
	s_cselect_b32 s22, s22, -1
	s_delay_alu instid0(SALU_CYCLE_1) | instskip(SKIP_4) | instid1(SALU_CYCLE_1)
	s_cmp_lg_u32 s22, 0
	s_cselect_b32 s23, s21, s13
	s_cselect_b32 s22, s15, s5
	s_mov_b32 s5, 0
	s_xor_b64 s[22:23], s[22:23], s[0:1]
	s_sub_u32 s0, s22, s0
.LBB16_11:                              ;   in Loop: Header=BB16_9 Depth=1
	s_and_not1_b32 vcc_lo, exec_lo, s5
	s_cbranch_vccnz .LBB16_13
; %bb.12:                               ;   in Loop: Header=BB16_9 Depth=1
	v_readfirstlane_b32 s0, v6
	s_delay_alu instid0(VALU_DEP_1) | instskip(NEXT) | instid1(SALU_CYCLE_1)
	s_mul_i32 s1, s6, s0
	s_mul_hi_u32 s1, s0, s1
	s_delay_alu instid0(SALU_CYCLE_1) | instskip(NEXT) | instid1(SALU_CYCLE_1)
	s_add_i32 s0, s0, s1
	s_mul_hi_u32 s0, s4, s0
	s_delay_alu instid0(SALU_CYCLE_1) | instskip(NEXT) | instid1(SALU_CYCLE_1)
	s_mul_i32 s1, s0, s20
	s_sub_i32 s1, s4, s1
	s_add_i32 s4, s0, 1
	s_sub_i32 s5, s1, s20
	s_cmp_ge_u32 s1, s20
	s_cselect_b32 s0, s4, s0
	s_cselect_b32 s1, s5, s1
	s_add_i32 s4, s0, 1
	s_cmp_ge_u32 s1, s20
	s_cselect_b32 s0, s4, s0
.LBB16_13:                              ;   in Loop: Header=BB16_9 Depth=1
	s_delay_alu instid0(SALU_CYCLE_1)
	s_cmp_lg_u32 s16, s0
	s_cbranch_scc0 .LBB16_17
; %bb.14:                               ;   in Loop: Header=BB16_9 Depth=1
	s_add_i32 s1, s14, s20
	s_mov_b32 s5, s12
	s_lshl_b32 s1, s1, 4
	s_mov_b32 s15, s16
	s_add_i32 s4, s1, s17
	s_mul_hi_u32 s1, s0, s8
	s_lshl_b64 s[4:5], s[4:5], 3
	s_delay_alu instid0(SALU_CYCLE_1) | instskip(SKIP_2) | instid1(SALU_CYCLE_1)
	s_add_u32 s4, s2, s4
	s_addc_u32 s5, s3, s5
	s_add_i32 s1, s1, s0
	s_lshr_b32 s1, s1, s9
	s_delay_alu instid0(SALU_CYCLE_1) | instskip(NEXT) | instid1(SALU_CYCLE_1)
	s_mul_i32 s13, s1, s10
	s_cmp_eq_u32 s13, s0
	s_cselect_b32 s13, -1, 0
	s_cmp_lt_u32 s1, s11
	s_cselect_b32 s1, -1, 0
	s_delay_alu instid0(SALU_CYCLE_1)
	s_or_b32 s1, s1, s13
	s_mov_b32 s13, -1
	s_and_b32 vcc_lo, exec_lo, s1
	s_mov_b32 s1, s14
	s_cbranch_vccnz .LBB16_16
; %bb.15:                               ;   in Loop: Header=BB16_9 Depth=1
	s_add_i32 s1, s14, -1
	s_mov_b32 s13, 0
	s_mov_b32 s15, s0
.LBB16_16:                              ;   in Loop: Header=BB16_9 Depth=1
	v_lshl_add_u32 v9, s14, 13, v0
	s_load_b64 s[4:5], s[4:5], 0x0
	s_delay_alu instid0(VALU_DEP_1) | instskip(NEXT) | instid1(VALU_DEP_1)
	v_ashrrev_i32_e32 v10, 31, v9
	v_lshlrev_b64 v[9:10], 2, v[9:10]
	s_delay_alu instid0(VALU_DEP_1) | instskip(NEXT) | instid1(VALU_DEP_2)
	v_add_co_u32 v9, vcc_lo, s18, v9
	v_add_co_ci_u32_e32 v10, vcc_lo, s19, v10, vcc_lo
	s_waitcnt lgkmcnt(0)
	v_max_f32_e64 v11, s4, s4
	global_load_b32 v10, v[9:10], off
	v_max_f32_e32 v9, v8, v8
	s_delay_alu instid0(VALU_DEP_1) | instskip(NEXT) | instid1(VALU_DEP_1)
	v_max_f32_e32 v9, v9, v11
	v_sub_f32_e32 v12, v8, v9
	s_delay_alu instid0(VALU_DEP_1) | instskip(NEXT) | instid1(VALU_DEP_1)
	v_dual_mul_f32 v14, 0x3fb8aa3b, v12 :: v_dual_sub_f32 v11, s4, v9
	v_rndne_f32_e32 v18, v14
	s_delay_alu instid0(VALU_DEP_2) | instskip(SKIP_2) | instid1(VALU_DEP_4)
	v_mul_f32_e32 v13, 0x3fb8aa3b, v11
	v_fma_f32 v17, 0x3fb8aa3b, v12, -v14
	v_cmp_ngt_f32_e32 vcc_lo, 0xc2ce8ed0, v11
	v_sub_f32_e32 v14, v14, v18
	s_delay_alu instid0(VALU_DEP_4) | instskip(SKIP_2) | instid1(VALU_DEP_3)
	v_fma_f32 v15, 0x3fb8aa3b, v11, -v13
	v_rndne_f32_e32 v16, v13
	v_fmac_f32_e32 v17, 0x32a5705f, v12
	v_fmac_f32_e32 v15, 0x32a5705f, v11
	s_delay_alu instid0(VALU_DEP_2) | instskip(NEXT) | instid1(VALU_DEP_1)
	v_dual_sub_f32 v13, v13, v16 :: v_dual_add_f32 v14, v14, v17
	v_add_f32_e32 v13, v13, v15
	s_delay_alu instid0(VALU_DEP_2) | instskip(SKIP_2) | instid1(VALU_DEP_3)
	v_exp_f32_e32 v14, v14
	v_cvt_i32_f32_e32 v15, v16
	v_cvt_i32_f32_e32 v16, v18
	v_exp_f32_e32 v13, v13
	s_waitcnt_depctr 0xfff
	v_ldexp_f32 v14, v14, v16
	v_ldexp_f32 v13, v13, v15
	s_delay_alu instid0(VALU_DEP_1) | instskip(SKIP_1) | instid1(VALU_DEP_4)
	v_cndmask_b32_e32 v13, 0, v13, vcc_lo
	v_cmp_ngt_f32_e32 vcc_lo, 0xc2ce8ed0, v12
	v_cndmask_b32_e32 v14, 0, v14, vcc_lo
	v_cmp_nlt_f32_e32 vcc_lo, 0x42b17218, v11
	s_delay_alu instid0(VALU_DEP_4) | instskip(SKIP_1) | instid1(VALU_DEP_4)
	v_cndmask_b32_e32 v13, 0x7f800000, v13, vcc_lo
	v_cmp_nlt_f32_e32 vcc_lo, 0x42b17218, v12
	v_cndmask_b32_e32 v14, 0x7f800000, v14, vcc_lo
	v_cmp_le_f32_e32 vcc_lo, 0xc1a00000, v11
	s_delay_alu instid0(VALU_DEP_4) | instskip(SKIP_1) | instid1(VALU_DEP_4)
	v_cndmask_b32_e32 v11, 0, v13, vcc_lo
	v_cmp_le_f32_e32 vcc_lo, 0xc1a00000, v12
	v_cndmask_b32_e32 v12, 0, v14, vcc_lo
	s_waitcnt vmcnt(0)
	s_delay_alu instid0(VALU_DEP_3) | instskip(NEXT) | instid1(VALU_DEP_1)
	v_mul_f32_e32 v10, v10, v11
	v_dual_mul_f32 v11, s5, v11 :: v_dual_fmac_f32 v10, v3, v12
	s_delay_alu instid0(VALU_DEP_1)
	v_fmac_f32_e32 v11, v7, v12
	s_cbranch_execz .LBB16_18
	s_branch .LBB16_19
.LBB16_17:                              ;   in Loop: Header=BB16_9 Depth=1
                                        ; implicit-def: $sgpr13
                                        ; implicit-def: $vgpr10
                                        ; implicit-def: $vgpr9
                                        ; implicit-def: $vgpr11
                                        ; implicit-def: $sgpr1
                                        ; implicit-def: $sgpr15
.LBB16_18:                              ;   in Loop: Header=BB16_9 Depth=1
	v_mov_b32_e32 v11, v7
	s_waitcnt vmcnt(0)
	v_dual_mov_b32 v9, v8 :: v_dual_mov_b32 v10, v3
	s_add_i32 s1, s14, -1
	s_mov_b32 s13, 0
	s_mov_b32 s15, s16
.LBB16_19:                              ;   in Loop: Header=BB16_9 Depth=1
	s_and_not1_b32 vcc_lo, exec_lo, s13
	s_cbranch_vccz .LBB16_23
; %bb.20:                               ;   in Loop: Header=BB16_9 Depth=1
	v_dual_mov_b32 v7, v11 :: v_dual_mov_b32 v8, v9
	s_waitcnt vmcnt(0)
	v_mov_b32_e32 v3, v10
	s_mov_b32 s16, s15
	s_mov_b32 s14, s1
	s_branch .LBB16_9
.LBB16_21:
                                        ; implicit-def: $sgpr16_sgpr17
	s_load_b128 s[8:11], s[0:1], 0x44
	s_branch .LBB16_2
.LBB16_22:
                                        ; implicit-def: $sgpr18_sgpr19
	s_branch .LBB16_5
.LBB16_23:
	v_div_scale_f32 v0, null, v11, v11, v10
	s_waitcnt vmcnt(0)
	s_delay_alu instid0(VALU_DEP_1) | instskip(SKIP_2) | instid1(VALU_DEP_1)
	v_rcp_f32_e32 v3, v0
	s_waitcnt_depctr 0xfff
	v_fma_f32 v4, -v0, v3, 1.0
	v_fmac_f32_e32 v3, v4, v3
	v_div_scale_f32 v4, vcc_lo, v10, v11, v10
	s_delay_alu instid0(VALU_DEP_1) | instskip(NEXT) | instid1(VALU_DEP_1)
	v_mul_f32_e32 v5, v4, v3
	v_fma_f32 v6, -v0, v5, v4
	s_delay_alu instid0(VALU_DEP_1) | instskip(NEXT) | instid1(VALU_DEP_1)
	v_fmac_f32_e32 v5, v6, v3
	v_fma_f32 v0, -v0, v5, v4
	s_delay_alu instid0(VALU_DEP_1) | instskip(NEXT) | instid1(VALU_DEP_1)
	v_div_fmas_f32 v0, v0, v3, v5
	v_div_fixup_f32 v0, v0, v11, v10
	global_store_b32 v[1:2], v0, off
.LBB16_24:
	s_nop 0
	s_sendmsg sendmsg(MSG_DEALLOC_VGPRS)
	s_endpgm
	.section	.rodata,"a",@progbits
	.p2align	6, 0x0
	.amdhsa_kernel _ZL33flash_attn_stream_k_fixup_generalILi512ELi4ELi4EEvPfPK15HIP_vector_typeIfLj2EEiiiiS1_IjLj3EES5_S5_S5_
		.amdhsa_group_segment_fixed_size 0
		.amdhsa_private_segment_fixed_size 0
		.amdhsa_kernarg_size 336
		.amdhsa_user_sgpr_count 13
		.amdhsa_user_sgpr_dispatch_ptr 0
		.amdhsa_user_sgpr_queue_ptr 0
		.amdhsa_user_sgpr_kernarg_segment_ptr 1
		.amdhsa_user_sgpr_dispatch_id 0
		.amdhsa_user_sgpr_private_segment_size 0
		.amdhsa_wavefront_size32 1
		.amdhsa_uses_dynamic_stack 0
		.amdhsa_enable_private_segment 0
		.amdhsa_system_sgpr_workgroup_id_x 1
		.amdhsa_system_sgpr_workgroup_id_y 1
		.amdhsa_system_sgpr_workgroup_id_z 1
		.amdhsa_system_sgpr_workgroup_info 0
		.amdhsa_system_vgpr_workitem_id 0
		.amdhsa_next_free_vgpr 19
		.amdhsa_next_free_sgpr 32
		.amdhsa_reserve_vcc 1
		.amdhsa_float_round_mode_32 0
		.amdhsa_float_round_mode_16_64 0
		.amdhsa_float_denorm_mode_32 3
		.amdhsa_float_denorm_mode_16_64 3
		.amdhsa_dx10_clamp 1
		.amdhsa_ieee_mode 1
		.amdhsa_fp16_overflow 0
		.amdhsa_workgroup_processor_mode 1
		.amdhsa_memory_ordered 1
		.amdhsa_forward_progress 0
		.amdhsa_shared_vgpr_count 0
		.amdhsa_exception_fp_ieee_invalid_op 0
		.amdhsa_exception_fp_denorm_src 0
		.amdhsa_exception_fp_ieee_div_zero 0
		.amdhsa_exception_fp_ieee_overflow 0
		.amdhsa_exception_fp_ieee_underflow 0
		.amdhsa_exception_fp_ieee_inexact 0
		.amdhsa_exception_int_div_zero 0
	.end_amdhsa_kernel
	.section	.text._ZL33flash_attn_stream_k_fixup_generalILi512ELi4ELi4EEvPfPK15HIP_vector_typeIfLj2EEiiiiS1_IjLj3EES5_S5_S5_,"axG",@progbits,_ZL33flash_attn_stream_k_fixup_generalILi512ELi4ELi4EEvPfPK15HIP_vector_typeIfLj2EEiiiiS1_IjLj3EES5_S5_S5_,comdat
.Lfunc_end16:
	.size	_ZL33flash_attn_stream_k_fixup_generalILi512ELi4ELi4EEvPfPK15HIP_vector_typeIfLj2EEiiiiS1_IjLj3EES5_S5_S5_, .Lfunc_end16-_ZL33flash_attn_stream_k_fixup_generalILi512ELi4ELi4EEvPfPK15HIP_vector_typeIfLj2EEiiiiS1_IjLj3EES5_S5_S5_
                                        ; -- End function
	.section	.AMDGPU.csdata,"",@progbits
; Kernel info:
; codeLenInByte = 3224
; NumSgprs: 34
; NumVgprs: 19
; ScratchSize: 0
; MemoryBound: 0
; FloatMode: 240
; IeeeMode: 1
; LDSByteSize: 0 bytes/workgroup (compile time only)
; SGPRBlocks: 4
; VGPRBlocks: 2
; NumSGPRsForWavesPerEU: 34
; NumVGPRsForWavesPerEU: 19
; Occupancy: 16
; WaveLimiterHint : 0
; COMPUTE_PGM_RSRC2:SCRATCH_EN: 0
; COMPUTE_PGM_RSRC2:USER_SGPR: 13
; COMPUTE_PGM_RSRC2:TRAP_HANDLER: 0
; COMPUTE_PGM_RSRC2:TGID_X_EN: 1
; COMPUTE_PGM_RSRC2:TGID_Y_EN: 1
; COMPUTE_PGM_RSRC2:TGID_Z_EN: 1
; COMPUTE_PGM_RSRC2:TIDIG_COMP_CNT: 0
	.section	.text._ZL15flash_attn_tileILi576ELi512ELi2ELi4ELb0EEvPKcS1_S1_S1_S1_PKiPfP15HIP_vector_typeIfLj2EEffffjfiS5_IjLj3EEiiiiiiiiiiiliiliiiiil,"axG",@progbits,_ZL15flash_attn_tileILi576ELi512ELi2ELi4ELb0EEvPKcS1_S1_S1_S1_PKiPfP15HIP_vector_typeIfLj2EEffffjfiS5_IjLj3EEiiiiiiiiiiiliiliiiiil,comdat
	.globl	_ZL15flash_attn_tileILi576ELi512ELi2ELi4ELb0EEvPKcS1_S1_S1_S1_PKiPfP15HIP_vector_typeIfLj2EEffffjfiS5_IjLj3EEiiiiiiiiiiiliiliiiiil ; -- Begin function _ZL15flash_attn_tileILi576ELi512ELi2ELi4ELb0EEvPKcS1_S1_S1_S1_PKiPfP15HIP_vector_typeIfLj2EEffffjfiS5_IjLj3EEiiiiiiiiiiiliiliiiiil
	.p2align	8
	.type	_ZL15flash_attn_tileILi576ELi512ELi2ELi4ELb0EEvPKcS1_S1_S1_S1_PKiPfP15HIP_vector_typeIfLj2EEffffjfiS5_IjLj3EEiiiiiiiiiiiliiliiiiil,@function
_ZL15flash_attn_tileILi576ELi512ELi2ELi4ELb0EEvPKcS1_S1_S1_S1_PKiPfP15HIP_vector_typeIfLj2EEffffjfiS5_IjLj3EEiiiiiiiiiiiliiliiiiil: ; @_ZL15flash_attn_tileILi576ELi512ELi2ELi4ELb0EEvPKcS1_S1_S1_S1_PKiPfP15HIP_vector_typeIfLj2EEffffjfiS5_IjLj3EEiiiiiiiiiiiliiliiiiil
; %bb.0:
	s_clause 0x1
	s_load_b128 s[8:11], s[0:1], 0x5c
	s_load_b64 s[34:35], s[0:1], 0x80
	s_mov_b64 s[36:37], 0
	s_waitcnt lgkmcnt(0)
	s_ashr_i32 s2, s11, 31
	s_delay_alu instid0(SALU_CYCLE_1) | instskip(NEXT) | instid1(SALU_CYCLE_1)
	s_lshr_b32 s2, s2, 30
	s_add_i32 s2, s11, s2
	s_delay_alu instid0(SALU_CYCLE_1) | instskip(NEXT) | instid1(SALU_CYCLE_1)
	s_ashr_i32 s2, s2, 2
	v_cvt_f32_u32_e32 v1, s2
	s_sub_i32 s4, 0, s2
	s_delay_alu instid0(VALU_DEP_1) | instskip(SKIP_2) | instid1(VALU_DEP_1)
	v_rcp_iflag_f32_e32 v1, v1
	s_waitcnt_depctr 0xfff
	v_mul_f32_e32 v1, 0x4f7ffffe, v1
	v_cvt_u32_f32_e32 v1, v1
	s_delay_alu instid0(VALU_DEP_1) | instskip(NEXT) | instid1(VALU_DEP_1)
	v_readfirstlane_b32 s3, v1
	s_mul_i32 s4, s4, s3
	s_delay_alu instid0(SALU_CYCLE_1) | instskip(NEXT) | instid1(SALU_CYCLE_1)
	s_mul_hi_u32 s4, s3, s4
	s_add_i32 s3, s3, s4
	s_delay_alu instid0(SALU_CYCLE_1) | instskip(NEXT) | instid1(SALU_CYCLE_1)
	s_mul_hi_u32 s3, s15, s3
	s_mul_i32 s4, s3, s2
	s_add_i32 s5, s3, 1
	s_sub_i32 s4, s15, s4
	s_delay_alu instid0(SALU_CYCLE_1)
	s_sub_i32 s6, s4, s2
	s_cmp_ge_u32 s4, s2
	s_cselect_b32 s3, s5, s3
	s_cselect_b32 s4, s6, s4
	s_add_i32 s5, s3, 1
	s_cmp_ge_u32 s4, s2
	s_cselect_b32 s33, s5, s3
	s_abs_i32 s2, s35
	s_abs_i32 s7, s11
	v_cvt_f32_u32_e32 v1, s2
	s_sub_i32 s4, 0, s2
	s_lshl_b32 s5, s15, 2
	s_mul_i32 s6, s33, s11
	s_delay_alu instid0(VALU_DEP_1) | instskip(SKIP_3) | instid1(VALU_DEP_1)
	v_rcp_iflag_f32_e32 v1, v1
	s_sub_i32 s15, s5, s6
	s_waitcnt_depctr 0xfff
	v_mul_f32_e32 v1, 0x4f7ffffe, v1
	v_cvt_u32_f32_e32 v1, v1
	s_delay_alu instid0(VALU_DEP_1) | instskip(NEXT) | instid1(VALU_DEP_1)
	v_readfirstlane_b32 s3, v1
	s_mul_i32 s4, s4, s3
	s_delay_alu instid0(SALU_CYCLE_1) | instskip(NEXT) | instid1(SALU_CYCLE_1)
	s_mul_hi_u32 s4, s3, s4
	s_add_i32 s3, s3, s4
	s_xor_b32 s4, s11, s35
	s_mul_hi_u32 s3, s7, s3
	s_ashr_i32 s4, s4, 31
	s_mul_i32 s5, s3, s2
	s_add_i32 s6, s3, 1
	s_sub_i32 s5, s7, s5
	s_delay_alu instid0(SALU_CYCLE_1)
	s_sub_i32 s7, s5, s2
	s_cmp_ge_u32 s5, s2
	s_cselect_b32 s3, s6, s3
	s_cselect_b32 s5, s7, s5
	s_add_i32 s6, s3, 1
	s_cmp_ge_u32 s5, s2
	s_cselect_b32 s2, s6, s3
	s_delay_alu instid0(SALU_CYCLE_1) | instskip(NEXT) | instid1(SALU_CYCLE_1)
	s_xor_b32 s2, s2, s4
	s_sub_i32 s35, s2, s4
	s_clause 0x1
	s_load_b512 s[16:31], s[0:1], 0x0
	s_load_b64 s[2:3], s[0:1], 0xb8
	s_abs_i32 s12, s35
	s_delay_alu instid0(SALU_CYCLE_1) | instskip(NEXT) | instid1(VALU_DEP_1)
	v_cvt_f32_u32_e32 v1, s12
	v_rcp_iflag_f32_e32 v1, v1
	s_waitcnt_depctr 0xfff
	v_mul_f32_e32 v1, 0x4f7ffffe, v1
	s_waitcnt lgkmcnt(0)
	s_cmp_eq_u64 s[22:23], 0
	s_delay_alu instid0(VALU_DEP_1) | instskip(NEXT) | instid1(VALU_DEP_1)
	v_cvt_u32_f32_e32 v1, v1
	v_readfirstlane_b32 s38, v1
	s_cbranch_scc1 .LBB17_2
; %bb.1:
	s_abs_i32 s2, s2
	s_abs_i32 s6, s33
	v_cvt_f32_u32_e32 v1, s2
	s_sub_i32 s5, 0, s2
	s_delay_alu instid0(VALU_DEP_1) | instskip(SKIP_2) | instid1(VALU_DEP_1)
	v_rcp_iflag_f32_e32 v1, v1
	s_waitcnt_depctr 0xfff
	v_mul_f32_e32 v1, 0x4f7ffffe, v1
	v_cvt_u32_f32_e32 v1, v1
	s_delay_alu instid0(VALU_DEP_1) | instskip(NEXT) | instid1(VALU_DEP_1)
	v_readfirstlane_b32 s4, v1
	s_mul_i32 s5, s5, s4
	s_delay_alu instid0(SALU_CYCLE_1) | instskip(NEXT) | instid1(SALU_CYCLE_1)
	s_mul_hi_u32 s5, s4, s5
	s_add_i32 s7, s4, s5
	s_load_b64 s[4:5], s[0:1], 0xc8
	s_mul_hi_u32 s7, s6, s7
	s_delay_alu instid0(SALU_CYCLE_1) | instskip(NEXT) | instid1(SALU_CYCLE_1)
	s_mul_i32 s7, s7, s2
	s_sub_i32 s6, s6, s7
	s_ashr_i32 s7, s33, 31
	s_sub_i32 s36, s6, s2
	s_cmp_ge_u32 s6, s2
	s_cselect_b32 s6, s36, s6
	s_delay_alu instid0(SALU_CYCLE_1) | instskip(SKIP_2) | instid1(SALU_CYCLE_1)
	s_sub_i32 s36, s6, s2
	s_cmp_ge_u32 s6, s2
	s_cselect_b32 s2, s36, s6
	s_xor_b32 s2, s2, s7
	s_delay_alu instid0(SALU_CYCLE_1)
	s_sub_i32 s2, s2, s7
	s_waitcnt lgkmcnt(0)
	s_mul_i32 s5, s2, s5
	s_mul_hi_u32 s6, s2, s4
	s_ashr_i32 s7, s2, 31
	s_add_i32 s5, s6, s5
	s_mul_i32 s7, s7, s4
	s_mul_i32 s2, s2, s4
	s_add_i32 s5, s5, s7
	s_add_u32 s36, s22, s2
	s_addc_u32 s37, s23, s5
.LBB17_2:
	v_bfe_u32 v4, v0, 10, 10
	s_load_b128 s[4:7], s[0:1], 0x70
	v_and_b32_e32 v0, 0x3ff, v0
	s_delay_alu instid0(VALU_DEP_2) | instskip(SKIP_1) | instid1(VALU_DEP_3)
	v_lshrrev_b32_e32 v1, 2, v4
	v_and_b32_e32 v20, 3, v4
	v_lshlrev_b32_e32 v19, 1, v0
	s_delay_alu instid0(VALU_DEP_3) | instskip(NEXT) | instid1(VALU_DEP_1)
	v_lshl_add_u32 v1, s13, 1, v1
	v_mul_hi_u32 v2, s8, v1
	s_waitcnt lgkmcnt(0)
	s_mul_i32 s2, s33, s6
	s_mul_i32 s6, s15, s5
	s_delay_alu instid0(VALU_DEP_1)
	v_add_nc_u32_e32 v2, v1, v2
	s_ashr_i32 s7, s2, 31
	s_add_u32 s2, s16, s2
	s_addc_u32 s7, s17, s7
	s_ashr_i32 s8, s6, 31
	v_lshrrev_b32_e32 v2, s9, v2
	s_add_u32 s2, s2, s6
	s_addc_u32 s6, s7, s8
	s_ashr_i32 s7, s5, 31
	s_ashr_i32 s8, s4, 31
	v_mul_lo_u32 v2, v2, s10
	v_alignbit_b32 v6, s7, s5, 2
	v_alignbit_b32 v8, s8, s4, 2
	s_lshr_b32 s4, s7, 2
	s_delay_alu instid0(VALU_DEP_3) | instskip(NEXT) | instid1(VALU_DEP_3)
	v_sub_nc_u32_e32 v5, v1, v2
	v_mad_u64_u32 v[2:3], null, v6, v20, 0
	s_delay_alu instid0(VALU_DEP_2) | instskip(NEXT) | instid1(VALU_DEP_2)
	v_mad_u64_u32 v[6:7], null, v8, v5, 0
	v_mad_u64_u32 v[8:9], null, s4, v20, v[3:4]
	s_lshr_b32 s4, s8, 2
	s_delay_alu instid0(VALU_DEP_1) | instskip(NEXT) | instid1(VALU_DEP_3)
	v_mov_b32_e32 v3, v8
	v_mad_u64_u32 v[9:10], null, s4, v5, v[7:8]
	v_lshlrev_b32_e32 v8, 4, v0
	s_mov_b32 s4, exec_lo
	s_delay_alu instid0(VALU_DEP_3) | instskip(NEXT) | instid1(VALU_DEP_3)
	v_lshlrev_b64 v[2:3], 2, v[2:3]
	v_mov_b32_e32 v7, v9
	s_delay_alu instid0(VALU_DEP_2) | instskip(NEXT) | instid1(VALU_DEP_3)
	v_add_co_u32 v2, vcc_lo, s2, v2
	v_add_co_ci_u32_e32 v3, vcc_lo, s6, v3, vcc_lo
	s_delay_alu instid0(VALU_DEP_3) | instskip(SKIP_1) | instid1(VALU_DEP_1)
	v_lshlrev_b64 v[6:7], 2, v[6:7]
	s_load_b32 s2, s[0:1], 0x40
	v_add_co_u32 v2, vcc_lo, v2, v6
	s_delay_alu instid0(VALU_DEP_2) | instskip(SKIP_1) | instid1(VALU_DEP_3)
	v_add_co_ci_u32_e32 v3, vcc_lo, v3, v7, vcc_lo
	v_mul_u32_u24_e32 v6, 0x120, v4
	v_add_co_u32 v2, vcc_lo, v2, v8
	s_delay_alu instid0(VALU_DEP_3)
	v_add_co_ci_u32_e32 v3, vcc_lo, 0, v3, vcc_lo
	s_clause 0x3
	global_load_b128 v[7:10], v[2:3], off
	global_load_b128 v[11:14], v[2:3], off offset:512
	global_load_b128 v[15:18], v[2:3], off offset:1024
	;; [unrolled: 1-line block ×3, first 2 shown]
	v_add_lshl_u32 v6, v19, v6, 2
	s_waitcnt vmcnt(3) lgkmcnt(0)
	v_fma_mixlo_f16 v25, v7, s2, 0
	v_fma_mixlo_f16 v26, v9, s2, 0
	s_waitcnt vmcnt(2)
	v_fma_mixlo_f16 v27, v11, s2, 0
	v_fma_mixlo_f16 v28, v13, s2, 0
	s_waitcnt vmcnt(1)
	;; [unrolled: 3-line block ×3, first 2 shown]
	v_fma_mixlo_f16 v31, v21, s2, 0
	v_fma_mixlo_f16 v32, v23, s2, 0
	v_fma_mixhi_f16 v26, v10, s2, 0
	v_fma_mixhi_f16 v25, v8, s2, 0
	;; [unrolled: 1-line block ×8, first 2 shown]
	ds_store_2addr_b64 v6, v[25:26], v[27:28] offset1:32
	ds_store_2addr_b64 v6, v[29:30], v[31:32] offset0:64 offset1:96
	v_cmpx_gt_u32_e32 16, v0
	s_cbranch_execz .LBB17_4
; %bb.3:
	global_load_b128 v[7:10], v[2:3], off offset:2048
	s_waitcnt vmcnt(0)
	v_fma_mixlo_f16 v3, v9, s2, 0
	v_fma_mixlo_f16 v2, v7, s2, 0
	s_delay_alu instid0(VALU_DEP_2) | instskip(NEXT) | instid1(VALU_DEP_2)
	v_fma_mixhi_f16 v3, v10, s2, 0
	v_fma_mixhi_f16 v2, v8, s2, 0
	ds_store_b64 v6, v[2:3] offset:1024
.LBB17_4:
	s_or_b32 exec_lo, exec_lo, s4
	s_cmp_eq_u64 s[26:27], 0
	s_waitcnt lgkmcnt(0)
	s_barrier
	buffer_gl0_inv
	s_cbranch_scc1 .LBB17_6
; %bb.5:
	s_load_b32 s2, s[0:1], 0xd0
	s_mov_b32 s5, 0
	s_waitcnt lgkmcnt(0)
	s_mul_i32 s2, s2, s33
	s_delay_alu instid0(SALU_CYCLE_1) | instskip(NEXT) | instid1(SALU_CYCLE_1)
	s_add_i32 s4, s2, s13
	s_lshl_b64 s[4:5], s[4:5], 2
	s_delay_alu instid0(SALU_CYCLE_1)
	s_add_u32 s4, s26, s4
	s_addc_u32 s5, s27, s5
	s_load_b32 s34, s[4:5], 0x0
.LBB17_6:
	v_lshlrev_b32_e32 v21, 2, v0
	v_mbcnt_lo_u32_b32 v22, -1, 0
	s_lshl_b32 s16, s14, 6
	s_waitcnt lgkmcnt(0)
	s_cmp_lt_i32 s16, s34
	s_cbranch_scc1 .LBB17_8
; %bb.7:
	v_mbcnt_lo_u32_b32 v3, -1, 0
	v_mov_b32_e32 v2, 32
	s_mov_b32 s2, 0
	s_mov_b32 s4, 0xfeffffff
	s_delay_alu instid0(VALU_DEP_2)
	v_xor_b32_e32 v27, 16, v3
	v_xor_b32_e32 v26, 8, v3
	;; [unrolled: 1-line block ×5, first 2 shown]
	s_branch .LBB17_9
.LBB17_8:
	s_mov_b32 s2, -1
                                        ; implicit-def: $sgpr4
                                        ; implicit-def: $vgpr3
                                        ; implicit-def: $vgpr2
                                        ; implicit-def: $vgpr27
                                        ; implicit-def: $vgpr26
                                        ; implicit-def: $vgpr25
                                        ; implicit-def: $vgpr24
                                        ; implicit-def: $vgpr23
.LBB17_9:
	s_delay_alu instid0(SALU_CYCLE_1) | instskip(SKIP_2) | instid1(VALU_DEP_3)
	v_cndmask_b32_e64 v6, 0, 1, s2
	v_dual_mov_b32 v48, s2 :: v_dual_mov_b32 v7, s4
	v_dual_mov_b32 v28, s2 :: v_dual_mov_b32 v49, s2
	v_cmp_ne_u32_e32 vcc_lo, 1, v6
	v_dual_mov_b32 v50, s2 :: v_dual_mov_b32 v51, s2
	v_dual_mov_b32 v46, s2 :: v_dual_mov_b32 v47, s2
	;; [unrolled: 1-line block ×3, first 2 shown]
	s_cbranch_vccnz .LBB17_13
; %bb.10:
	s_clause 0x1
	s_load_b64 s[8:9], s[0:1], 0x8c
	s_load_b128 s[4:7], s[0:1], 0x98
	s_sub_i32 s2, 0, s12
	s_abs_i32 s13, s15
	s_mul_i32 s2, s2, s38
	s_ashr_i32 s23, s15, 31
	s_mul_hi_u32 s2, s38, s2
	s_ashr_i32 s35, s35, 31
	s_add_i32 s38, s38, s2
	s_ashr_i32 s2, s3, 1
	s_mul_hi_u32 s3, s13, s38
	s_ashr_i32 s38, s33, 31
	s_load_b64 s[26:27], s[0:1], 0xa8
	s_mul_i32 s39, s3, s12
	v_lshrrev_b32_e32 v2, 3, v0
	v_and_b32_e32 v12, 28, v21
	v_dual_mov_b32 v44, 0 :: v_dual_lshlrev_b32 v13, 2, v21
	v_mov_b32_e32 v50, 0
	s_delay_alu instid0(VALU_DEP_4)
	v_lshl_add_u32 v2, v4, 2, v2
	s_waitcnt lgkmcnt(0)
	s_ashr_i32 s17, s8, 2
	s_ashr_i32 s22, s6, 2
	s_mul_i32 s5, s33, s5
	s_mul_hi_u32 s6, s33, s4
	s_mul_i32 s8, s38, s4
	s_add_i32 s5, s6, s5
	s_mul_i32 s4, s33, s4
	s_add_i32 s5, s5, s8
	s_add_u32 s4, s18, s4
	s_addc_u32 s5, s19, s5
	s_sub_i32 s8, s13, s39
	s_xor_b32 s6, s23, s35
	s_add_i32 s13, s3, 1
	s_sub_i32 s18, s8, s12
	s_cmp_ge_u32 s8, s12
	v_lshlrev_b32_e32 v3, 2, v12
	s_cselect_b32 s3, s13, s3
	s_cselect_b32 s8, s18, s8
	s_add_i32 s13, s3, 1
	s_cmp_ge_u32 s8, s12
	v_mul_lo_u32 v8, s17, v2
	v_mad_u32_u24 v3, 0x90, v2, v3
	v_mul_lo_u32 v2, s22, v4
	s_cselect_b32 s3, s13, s3
	s_mul_i32 s8, s33, s27
	s_xor_b32 s3, s3, s6
	v_dual_mov_b32 v46, 0 :: v_dual_add_nc_u32 v29, 0x2400, v3
	s_sub_i32 s3, s3, s6
	v_dual_mov_b32 v45, 0 :: v_dual_add_nc_u32 v30, 0x3600, v3
	s_mul_i32 s9, s3, s9
	v_ashrrev_i32_e32 v3, 31, v2
	s_mul_hi_u32 s6, s33, s26
	s_ashr_i32 s12, s9, 31
	s_add_u32 s18, s4, s9
	s_mul_i32 s38, s38, s26
	s_addc_u32 s19, s5, s12
	s_add_i32 s4, s6, s8
	s_mul_i32 s5, s33, s26
	v_lshlrev_b64 v[6:7], 2, v[2:3]
	s_add_i32 s4, s4, s38
	s_mul_i32 s3, s3, s7
	s_add_u32 s5, s20, s5
	s_addc_u32 s4, s21, s4
	s_ashr_i32 s6, s3, 31
	v_lshl_add_u32 v10, s17, 5, v8
	s_add_u32 s3, s5, s3
	v_mad_u64_u32 v[2:3], null, v5, s2, v[0:1]
	s_addc_u32 s4, s4, s6
	v_add_co_u32 v3, vcc_lo, s3, v6
	v_ashrrev_i32_e32 v9, 31, v8
	v_ashrrev_i32_e32 v11, 31, v10
	v_mul_u32_u24_e32 v31, 0x480, v4
	v_lshl_add_u32 v33, v4, 7, 0x4800
	v_lshl_add_u32 v4, v4, 10, v13
	v_add_co_ci_u32_e32 v5, vcc_lo, s4, v7, vcc_lo
	v_lshl_add_u32 v37, v0, 3, 0x2400
	v_add_co_u32 v38, vcc_lo, v3, v13
	s_delay_alu instid0(VALU_DEP_4)
	v_dual_mov_b32 v48, 0 :: v_dual_add_nc_u32 v35, 0x2400, v4
	v_dual_mov_b32 v47, 0 :: v_dual_add_nc_u32 v36, 0x2600, v4
	v_add_co_ci_u32_e32 v39, vcc_lo, 0, v5, vcc_lo
	v_lshlrev_b64 v[3:4], 2, v[8:9]
	v_lshlrev_b64 v[5:6], 2, v[10:11]
	v_mul_u32_u24_e32 v32, 0x90, v0
	v_lshl_add_u32 v34, v0, 1, v33
	v_dual_mov_b32 v7, 0xfeffffff :: v_dual_lshlrev_b32 v40, 2, v12
	v_mov_b32_e32 v51, 0
	v_xor_b32_e32 v27, 16, v22
	v_xor_b32_e32 v26, 8, v22
	;; [unrolled: 1-line block ×5, first 2 shown]
	v_dual_mov_b32 v28, 0 :: v_dual_add_nc_u32 v41, 0x800, v37
	v_dual_mov_b32 v49, 0 :: v_dual_add_nc_u32 v42, 0x1000, v37
	v_add_nc_u32_e32 v43, 0x1800, v37
	s_add_u32 s8, s0, 0xd0
	s_addc_u32 s9, s1, 0
.LBB17_11:                              ; =>This Inner Loop Header: Depth=1
	s_mul_hi_i32 s7, s16, s17
	s_mul_i32 s6, s16, s17
	v_cmp_gt_i32_e64 s2, 32, v26
	v_cmp_gt_i32_e32 vcc_lo, 32, v27
	v_cmp_gt_i32_e64 s3, 32, v25
	v_cmp_gt_i32_e64 s4, 32, v24
	;; [unrolled: 1-line block ×3, first 2 shown]
	s_lshl_b64 s[20:21], s[6:7], 2
	s_mul_hi_i32 s13, s16, s22
	s_add_u32 s7, s18, s20
	s_mul_i32 s12, s16, s22
	v_cndmask_b32_e64 v10, v22, v26, s2
	s_addc_u32 s6, s19, s21
	v_add_co_u32 v17, s2, s7, v3
	s_delay_alu instid0(VALU_DEP_2)
	v_dual_cndmask_b32 v9, v22, v27 :: v_dual_lshlrev_b32 v58, 2, v10
	v_cndmask_b32_e64 v11, v22, v25, s3
	v_cndmask_b32_e64 v14, v22, v24, s4
	;; [unrolled: 1-line block ×3, first 2 shown]
	s_or_b32 s3, s16, 8
	s_lshl_b64 s[4:5], s[12:13], 2
	v_add_co_u32 v16, vcc_lo, s7, v5
	v_add_co_ci_u32_e64 v19, s2, s6, v4, s2
	s_mul_hi_i32 s13, s3, s22
	s_mul_i32 s12, s3, s22
	v_add_co_u32 v12, s3, v38, s4
	v_add_co_ci_u32_e32 v60, vcc_lo, s6, v6, vcc_lo
	v_add_co_ci_u32_e64 v13, vcc_lo, s5, v39, s3
	v_add_co_u32 v18, s2, v17, v40
	v_add_co_u32 v16, vcc_lo, v16, v40
	v_add_co_ci_u32_e64 v19, s2, 0, v19, s2
	v_add_co_ci_u32_e32 v17, vcc_lo, 0, v60, vcc_lo
	s_clause 0x1
	global_load_b128 v[60:63], v[18:19], off
	global_load_b128 v[64:67], v[16:17], off
	v_dual_mov_b32 v52, v7 :: v_dual_mov_b32 v53, 0
	v_dual_mov_b32 v54, 0 :: v_dual_add_nc_u32 v7, s16, v2
	s_or_b32 s20, s16, 16
	v_lshlrev_b32_e32 v55, 2, v15
	s_mul_hi_i32 s21, s20, s22
	s_mul_i32 s20, s20, s22
	v_ashrrev_i32_e32 v8, 31, v7
	s_lshl_b64 s[4:5], s[12:13], 2
	s_lshl_b64 s[6:7], s[20:21], 2
	v_add_co_u32 v10, s3, v38, s4
	v_lshlrev_b32_e32 v57, 2, v11
	v_add_co_ci_u32_e64 v11, vcc_lo, s5, v39, s3
	s_waitcnt vmcnt(1)
	ds_store_b128 v29, v[60:63]
	s_waitcnt vmcnt(0)
	ds_store_b128 v30, v[64:67]
	s_waitcnt lgkmcnt(0)
	s_barrier
	buffer_gl0_inv
	ds_load_b128 v[60:63], v32 offset:9216
	ds_load_b128 v[64:67], v31
	ds_load_b128 v[68:71], v32 offset:13824
	s_waitcnt lgkmcnt(1)
	;;#ASMSTART
	v_dot2_f32_f16 v53, v60, v64, v53
	;;#ASMEND
	;;#ASMSTART
	v_dot2_f32_f16 v53, v61, v65, v53
	;;#ASMEND
	;;#ASMSTART
	v_dot2_f32_f16 v53, v62, v66, v53
	;;#ASMEND
	;;#ASMSTART
	v_dot2_f32_f16 v53, v63, v67, v53
	;;#ASMEND
	s_waitcnt lgkmcnt(0)
	;;#ASMSTART
	v_dot2_f32_f16 v54, v68, v64, v54
	;;#ASMEND
	;;#ASMSTART
	v_dot2_f32_f16 v54, v69, v65, v54
	;;#ASMEND
	;;#ASMSTART
	v_dot2_f32_f16 v54, v70, v66, v54
	;;#ASMEND
	;;#ASMSTART
	v_dot2_f32_f16 v54, v71, v67, v54
	;;#ASMEND
	ds_load_b128 v[60:63], v32 offset:9232
	ds_load_b128 v[64:67], v31 offset:16
	ds_load_b128 v[68:71], v32 offset:13840
	s_waitcnt lgkmcnt(1)
	;;#ASMSTART
	v_dot2_f32_f16 v53, v60, v64, v53
	;;#ASMEND
	;;#ASMSTART
	v_dot2_f32_f16 v53, v61, v65, v53
	;;#ASMEND
	;;#ASMSTART
	v_dot2_f32_f16 v53, v62, v66, v53
	;;#ASMEND
	;;#ASMSTART
	v_dot2_f32_f16 v53, v63, v67, v53
	;;#ASMEND
	s_waitcnt lgkmcnt(0)
	;;#ASMSTART
	v_dot2_f32_f16 v54, v68, v64, v54
	;;#ASMEND
	;;#ASMSTART
	v_dot2_f32_f16 v54, v69, v65, v54
	;;#ASMEND
	;;#ASMSTART
	v_dot2_f32_f16 v54, v70, v66, v54
	;;#ASMEND
	;;#ASMSTART
	v_dot2_f32_f16 v54, v71, v67, v54
	;;#ASMEND
	ds_load_b128 v[60:63], v32 offset:9248
	ds_load_b128 v[64:67], v31 offset:32
	ds_load_b128 v[68:71], v32 offset:13856
	s_waitcnt lgkmcnt(1)
	;;#ASMSTART
	v_dot2_f32_f16 v53, v60, v64, v53
	;;#ASMEND
	;;#ASMSTART
	v_dot2_f32_f16 v53, v61, v65, v53
	;;#ASMEND
	;;#ASMSTART
	v_dot2_f32_f16 v53, v62, v66, v53
	;;#ASMEND
	;;#ASMSTART
	v_dot2_f32_f16 v53, v63, v67, v53
	;;#ASMEND
	s_waitcnt lgkmcnt(0)
	;;#ASMSTART
	v_dot2_f32_f16 v54, v68, v64, v54
	;;#ASMEND
	;;#ASMSTART
	v_dot2_f32_f16 v54, v69, v65, v54
	;;#ASMEND
	;;#ASMSTART
	v_dot2_f32_f16 v54, v70, v66, v54
	;;#ASMEND
	;;#ASMSTART
	v_dot2_f32_f16 v54, v71, v67, v54
	;;#ASMEND
	ds_load_b128 v[60:63], v32 offset:9264
	ds_load_b128 v[64:67], v31 offset:48
	ds_load_b128 v[68:71], v32 offset:13872
	s_waitcnt lgkmcnt(1)
	;;#ASMSTART
	v_dot2_f32_f16 v53, v60, v64, v53
	;;#ASMEND
	;;#ASMSTART
	v_dot2_f32_f16 v53, v61, v65, v53
	;;#ASMEND
	;;#ASMSTART
	v_dot2_f32_f16 v53, v62, v66, v53
	;;#ASMEND
	;;#ASMSTART
	v_dot2_f32_f16 v53, v63, v67, v53
	;;#ASMEND
	s_waitcnt lgkmcnt(0)
	;;#ASMSTART
	v_dot2_f32_f16 v54, v68, v64, v54
	;;#ASMEND
	;;#ASMSTART
	v_dot2_f32_f16 v54, v69, v65, v54
	;;#ASMEND
	;;#ASMSTART
	v_dot2_f32_f16 v54, v70, v66, v54
	;;#ASMEND
	;;#ASMSTART
	v_dot2_f32_f16 v54, v71, v67, v54
	;;#ASMEND
	ds_load_b128 v[60:63], v32 offset:9280
	ds_load_b128 v[64:67], v31 offset:64
	ds_load_b128 v[68:71], v32 offset:13888
	s_waitcnt lgkmcnt(1)
	;;#ASMSTART
	v_dot2_f32_f16 v53, v60, v64, v53
	;;#ASMEND
	;;#ASMSTART
	v_dot2_f32_f16 v53, v61, v65, v53
	;;#ASMEND
	;;#ASMSTART
	v_dot2_f32_f16 v53, v62, v66, v53
	;;#ASMEND
	;;#ASMSTART
	v_dot2_f32_f16 v53, v63, v67, v53
	;;#ASMEND
	s_waitcnt lgkmcnt(0)
	;;#ASMSTART
	v_dot2_f32_f16 v54, v68, v64, v54
	;;#ASMEND
	;;#ASMSTART
	v_dot2_f32_f16 v54, v69, v65, v54
	;;#ASMEND
	;;#ASMSTART
	v_dot2_f32_f16 v54, v70, v66, v54
	;;#ASMEND
	;;#ASMSTART
	v_dot2_f32_f16 v54, v71, v67, v54
	;;#ASMEND
	ds_load_b128 v[60:63], v32 offset:9296
	ds_load_b128 v[64:67], v31 offset:80
	ds_load_b128 v[68:71], v32 offset:13904
	s_waitcnt lgkmcnt(1)
	;;#ASMSTART
	v_dot2_f32_f16 v53, v60, v64, v53
	;;#ASMEND
	;;#ASMSTART
	v_dot2_f32_f16 v53, v61, v65, v53
	;;#ASMEND
	;;#ASMSTART
	v_dot2_f32_f16 v53, v62, v66, v53
	;;#ASMEND
	;;#ASMSTART
	v_dot2_f32_f16 v53, v63, v67, v53
	;;#ASMEND
	s_waitcnt lgkmcnt(0)
	;;#ASMSTART
	v_dot2_f32_f16 v54, v68, v64, v54
	;;#ASMEND
	;;#ASMSTART
	v_dot2_f32_f16 v54, v69, v65, v54
	;;#ASMEND
	;;#ASMSTART
	v_dot2_f32_f16 v54, v70, v66, v54
	;;#ASMEND
	;;#ASMSTART
	v_dot2_f32_f16 v54, v71, v67, v54
	;;#ASMEND
	ds_load_b128 v[60:63], v32 offset:9312
	ds_load_b128 v[64:67], v31 offset:96
	ds_load_b128 v[68:71], v32 offset:13920
	s_waitcnt lgkmcnt(1)
	;;#ASMSTART
	v_dot2_f32_f16 v53, v60, v64, v53
	;;#ASMEND
	;;#ASMSTART
	v_dot2_f32_f16 v53, v61, v65, v53
	;;#ASMEND
	;;#ASMSTART
	v_dot2_f32_f16 v53, v62, v66, v53
	;;#ASMEND
	;;#ASMSTART
	v_dot2_f32_f16 v53, v63, v67, v53
	;;#ASMEND
	s_waitcnt lgkmcnt(0)
	;;#ASMSTART
	v_dot2_f32_f16 v54, v68, v64, v54
	;;#ASMEND
	;;#ASMSTART
	v_dot2_f32_f16 v54, v69, v65, v54
	;;#ASMEND
	;;#ASMSTART
	v_dot2_f32_f16 v54, v70, v66, v54
	;;#ASMEND
	;;#ASMSTART
	v_dot2_f32_f16 v54, v71, v67, v54
	;;#ASMEND
	ds_load_b128 v[60:63], v32 offset:9328
	ds_load_b128 v[64:67], v31 offset:112
	ds_load_b128 v[68:71], v32 offset:13936
	s_waitcnt lgkmcnt(1)
	;;#ASMSTART
	v_dot2_f32_f16 v53, v60, v64, v53
	;;#ASMEND
	;;#ASMSTART
	v_dot2_f32_f16 v53, v61, v65, v53
	;;#ASMEND
	;; [unrolled: 3-line block ×4, first 2 shown]
	s_waitcnt lgkmcnt(0)
	;;#ASMSTART
	v_dot2_f32_f16 v54, v68, v64, v54
	;;#ASMEND
	;;#ASMSTART
	v_dot2_f32_f16 v54, v69, v65, v54
	;;#ASMEND
	;; [unrolled: 3-line block ×4, first 2 shown]
	s_barrier
	buffer_gl0_inv
	s_clause 0x1
	global_load_b128 v[60:63], v[18:19], off offset:128
	global_load_b128 v[64:67], v[16:17], off offset:128
	s_waitcnt vmcnt(1)
	ds_store_b128 v29, v[60:63]
	s_waitcnt vmcnt(0)
	ds_store_b128 v30, v[64:67]
	s_waitcnt lgkmcnt(0)
	s_barrier
	buffer_gl0_inv
	ds_load_b128 v[60:63], v32 offset:9216
	ds_load_b128 v[64:67], v31 offset:128
	ds_load_b128 v[68:71], v32 offset:13824
	s_waitcnt lgkmcnt(1)
	;;#ASMSTART
	v_dot2_f32_f16 v53, v60, v64, v53
	;;#ASMEND
	;;#ASMSTART
	v_dot2_f32_f16 v53, v61, v65, v53
	;;#ASMEND
	;;#ASMSTART
	v_dot2_f32_f16 v53, v62, v66, v53
	;;#ASMEND
	;;#ASMSTART
	v_dot2_f32_f16 v53, v63, v67, v53
	;;#ASMEND
	s_waitcnt lgkmcnt(0)
	;;#ASMSTART
	v_dot2_f32_f16 v54, v68, v64, v54
	;;#ASMEND
	;;#ASMSTART
	v_dot2_f32_f16 v54, v69, v65, v54
	;;#ASMEND
	;;#ASMSTART
	v_dot2_f32_f16 v54, v70, v66, v54
	;;#ASMEND
	;;#ASMSTART
	v_dot2_f32_f16 v54, v71, v67, v54
	;;#ASMEND
	ds_load_b128 v[60:63], v32 offset:9232
	ds_load_b128 v[64:67], v31 offset:144
	ds_load_b128 v[68:71], v32 offset:13840
	s_waitcnt lgkmcnt(1)
	;;#ASMSTART
	v_dot2_f32_f16 v53, v60, v64, v53
	;;#ASMEND
	;;#ASMSTART
	v_dot2_f32_f16 v53, v61, v65, v53
	;;#ASMEND
	;;#ASMSTART
	v_dot2_f32_f16 v53, v62, v66, v53
	;;#ASMEND
	;;#ASMSTART
	v_dot2_f32_f16 v53, v63, v67, v53
	;;#ASMEND
	s_waitcnt lgkmcnt(0)
	;;#ASMSTART
	v_dot2_f32_f16 v54, v68, v64, v54
	;;#ASMEND
	;;#ASMSTART
	v_dot2_f32_f16 v54, v69, v65, v54
	;;#ASMEND
	;;#ASMSTART
	v_dot2_f32_f16 v54, v70, v66, v54
	;;#ASMEND
	;;#ASMSTART
	v_dot2_f32_f16 v54, v71, v67, v54
	;;#ASMEND
	;; [unrolled: 29-line block ×8, first 2 shown]
	s_barrier
	buffer_gl0_inv
	s_clause 0x1
	global_load_b128 v[60:63], v[18:19], off offset:256
	global_load_b128 v[64:67], v[16:17], off offset:256
	s_waitcnt vmcnt(1)
	ds_store_b128 v29, v[60:63]
	s_waitcnt vmcnt(0)
	ds_store_b128 v30, v[64:67]
	s_waitcnt lgkmcnt(0)
	s_barrier
	buffer_gl0_inv
	ds_load_b128 v[60:63], v32 offset:9216
	ds_load_b128 v[64:67], v31 offset:256
	ds_load_b128 v[68:71], v32 offset:13824
	s_waitcnt lgkmcnt(1)
	;;#ASMSTART
	v_dot2_f32_f16 v53, v60, v64, v53
	;;#ASMEND
	;;#ASMSTART
	v_dot2_f32_f16 v53, v61, v65, v53
	;;#ASMEND
	;;#ASMSTART
	v_dot2_f32_f16 v53, v62, v66, v53
	;;#ASMEND
	;;#ASMSTART
	v_dot2_f32_f16 v53, v63, v67, v53
	;;#ASMEND
	s_waitcnt lgkmcnt(0)
	;;#ASMSTART
	v_dot2_f32_f16 v54, v68, v64, v54
	;;#ASMEND
	;;#ASMSTART
	v_dot2_f32_f16 v54, v69, v65, v54
	;;#ASMEND
	;;#ASMSTART
	v_dot2_f32_f16 v54, v70, v66, v54
	;;#ASMEND
	;;#ASMSTART
	v_dot2_f32_f16 v54, v71, v67, v54
	;;#ASMEND
	ds_load_b128 v[60:63], v32 offset:9232
	ds_load_b128 v[64:67], v31 offset:272
	ds_load_b128 v[68:71], v32 offset:13840
	s_waitcnt lgkmcnt(1)
	;;#ASMSTART
	v_dot2_f32_f16 v53, v60, v64, v53
	;;#ASMEND
	;;#ASMSTART
	v_dot2_f32_f16 v53, v61, v65, v53
	;;#ASMEND
	;;#ASMSTART
	v_dot2_f32_f16 v53, v62, v66, v53
	;;#ASMEND
	;;#ASMSTART
	v_dot2_f32_f16 v53, v63, v67, v53
	;;#ASMEND
	s_waitcnt lgkmcnt(0)
	;;#ASMSTART
	v_dot2_f32_f16 v54, v68, v64, v54
	;;#ASMEND
	;;#ASMSTART
	v_dot2_f32_f16 v54, v69, v65, v54
	;;#ASMEND
	;;#ASMSTART
	v_dot2_f32_f16 v54, v70, v66, v54
	;;#ASMEND
	;;#ASMSTART
	v_dot2_f32_f16 v54, v71, v67, v54
	;;#ASMEND
	;; [unrolled: 29-line block ×8, first 2 shown]
	s_barrier
	buffer_gl0_inv
	s_clause 0x1
	global_load_b128 v[60:63], v[18:19], off offset:384
	global_load_b128 v[64:67], v[16:17], off offset:384
	s_waitcnt vmcnt(1)
	ds_store_b128 v29, v[60:63]
	s_waitcnt vmcnt(0)
	ds_store_b128 v30, v[64:67]
	s_waitcnt lgkmcnt(0)
	s_barrier
	buffer_gl0_inv
	ds_load_b128 v[60:63], v32 offset:9216
	ds_load_b128 v[64:67], v31 offset:384
	ds_load_b128 v[68:71], v32 offset:13824
	s_waitcnt lgkmcnt(1)
	;;#ASMSTART
	v_dot2_f32_f16 v53, v60, v64, v53
	;;#ASMEND
	;;#ASMSTART
	v_dot2_f32_f16 v53, v61, v65, v53
	;;#ASMEND
	;;#ASMSTART
	v_dot2_f32_f16 v53, v62, v66, v53
	;;#ASMEND
	;;#ASMSTART
	v_dot2_f32_f16 v53, v63, v67, v53
	;;#ASMEND
	s_waitcnt lgkmcnt(0)
	;;#ASMSTART
	v_dot2_f32_f16 v54, v68, v64, v54
	;;#ASMEND
	;;#ASMSTART
	v_dot2_f32_f16 v54, v69, v65, v54
	;;#ASMEND
	;;#ASMSTART
	v_dot2_f32_f16 v54, v70, v66, v54
	;;#ASMEND
	;;#ASMSTART
	v_dot2_f32_f16 v54, v71, v67, v54
	;;#ASMEND
	ds_load_b128 v[60:63], v32 offset:9232
	ds_load_b128 v[64:67], v31 offset:400
	ds_load_b128 v[68:71], v32 offset:13840
	s_waitcnt lgkmcnt(1)
	;;#ASMSTART
	v_dot2_f32_f16 v53, v60, v64, v53
	;;#ASMEND
	;;#ASMSTART
	v_dot2_f32_f16 v53, v61, v65, v53
	;;#ASMEND
	;;#ASMSTART
	v_dot2_f32_f16 v53, v62, v66, v53
	;;#ASMEND
	;;#ASMSTART
	v_dot2_f32_f16 v53, v63, v67, v53
	;;#ASMEND
	s_waitcnt lgkmcnt(0)
	;;#ASMSTART
	v_dot2_f32_f16 v54, v68, v64, v54
	;;#ASMEND
	;;#ASMSTART
	v_dot2_f32_f16 v54, v69, v65, v54
	;;#ASMEND
	;;#ASMSTART
	v_dot2_f32_f16 v54, v70, v66, v54
	;;#ASMEND
	;;#ASMSTART
	v_dot2_f32_f16 v54, v71, v67, v54
	;;#ASMEND
	;; [unrolled: 29-line block ×8, first 2 shown]
	s_barrier
	buffer_gl0_inv
	s_clause 0x1
	global_load_b128 v[60:63], v[18:19], off offset:512
	global_load_b128 v[64:67], v[16:17], off offset:512
	s_waitcnt vmcnt(1)
	ds_store_b128 v29, v[60:63]
	s_waitcnt vmcnt(0)
	ds_store_b128 v30, v[64:67]
	s_waitcnt lgkmcnt(0)
	s_barrier
	buffer_gl0_inv
	ds_load_b128 v[60:63], v32 offset:9216
	ds_load_b128 v[64:67], v31 offset:512
	ds_load_b128 v[68:71], v32 offset:13824
	s_waitcnt lgkmcnt(1)
	;;#ASMSTART
	v_dot2_f32_f16 v53, v60, v64, v53
	;;#ASMEND
	;;#ASMSTART
	v_dot2_f32_f16 v53, v61, v65, v53
	;;#ASMEND
	;;#ASMSTART
	v_dot2_f32_f16 v53, v62, v66, v53
	;;#ASMEND
	;;#ASMSTART
	v_dot2_f32_f16 v53, v63, v67, v53
	;;#ASMEND
	s_waitcnt lgkmcnt(0)
	;;#ASMSTART
	v_dot2_f32_f16 v54, v68, v64, v54
	;;#ASMEND
	;;#ASMSTART
	v_dot2_f32_f16 v54, v69, v65, v54
	;;#ASMEND
	;;#ASMSTART
	v_dot2_f32_f16 v54, v70, v66, v54
	;;#ASMEND
	;;#ASMSTART
	v_dot2_f32_f16 v54, v71, v67, v54
	;;#ASMEND
	ds_load_b128 v[60:63], v32 offset:9232
	ds_load_b128 v[64:67], v31 offset:528
	ds_load_b128 v[68:71], v32 offset:13840
	s_waitcnt lgkmcnt(1)
	;;#ASMSTART
	v_dot2_f32_f16 v53, v60, v64, v53
	;;#ASMEND
	;;#ASMSTART
	v_dot2_f32_f16 v53, v61, v65, v53
	;;#ASMEND
	;;#ASMSTART
	v_dot2_f32_f16 v53, v62, v66, v53
	;;#ASMEND
	;;#ASMSTART
	v_dot2_f32_f16 v53, v63, v67, v53
	;;#ASMEND
	s_waitcnt lgkmcnt(0)
	;;#ASMSTART
	v_dot2_f32_f16 v54, v68, v64, v54
	;;#ASMEND
	;;#ASMSTART
	v_dot2_f32_f16 v54, v69, v65, v54
	;;#ASMEND
	;;#ASMSTART
	v_dot2_f32_f16 v54, v70, v66, v54
	;;#ASMEND
	;;#ASMSTART
	v_dot2_f32_f16 v54, v71, v67, v54
	;;#ASMEND
	;; [unrolled: 29-line block ×8, first 2 shown]
	s_barrier
	buffer_gl0_inv
	s_clause 0x1
	global_load_b128 v[60:63], v[18:19], off offset:640
	global_load_b128 v[64:67], v[16:17], off offset:640
	s_waitcnt vmcnt(1)
	ds_store_b128 v29, v[60:63]
	s_waitcnt vmcnt(0)
	ds_store_b128 v30, v[64:67]
	s_waitcnt lgkmcnt(0)
	s_barrier
	buffer_gl0_inv
	ds_load_b128 v[60:63], v32 offset:9216
	ds_load_b128 v[64:67], v31 offset:640
	ds_load_b128 v[68:71], v32 offset:13824
	s_waitcnt lgkmcnt(1)
	;;#ASMSTART
	v_dot2_f32_f16 v53, v60, v64, v53
	;;#ASMEND
	;;#ASMSTART
	v_dot2_f32_f16 v53, v61, v65, v53
	;;#ASMEND
	;;#ASMSTART
	v_dot2_f32_f16 v53, v62, v66, v53
	;;#ASMEND
	;;#ASMSTART
	v_dot2_f32_f16 v53, v63, v67, v53
	;;#ASMEND
	s_waitcnt lgkmcnt(0)
	;;#ASMSTART
	v_dot2_f32_f16 v54, v68, v64, v54
	;;#ASMEND
	;;#ASMSTART
	v_dot2_f32_f16 v54, v69, v65, v54
	;;#ASMEND
	;;#ASMSTART
	v_dot2_f32_f16 v54, v70, v66, v54
	;;#ASMEND
	;;#ASMSTART
	v_dot2_f32_f16 v54, v71, v67, v54
	;;#ASMEND
	ds_load_b128 v[60:63], v32 offset:9232
	ds_load_b128 v[64:67], v31 offset:656
	ds_load_b128 v[68:71], v32 offset:13840
	s_waitcnt lgkmcnt(1)
	;;#ASMSTART
	v_dot2_f32_f16 v53, v60, v64, v53
	;;#ASMEND
	;;#ASMSTART
	v_dot2_f32_f16 v53, v61, v65, v53
	;;#ASMEND
	;;#ASMSTART
	v_dot2_f32_f16 v53, v62, v66, v53
	;;#ASMEND
	;;#ASMSTART
	v_dot2_f32_f16 v53, v63, v67, v53
	;;#ASMEND
	s_waitcnt lgkmcnt(0)
	;;#ASMSTART
	v_dot2_f32_f16 v54, v68, v64, v54
	;;#ASMEND
	;;#ASMSTART
	v_dot2_f32_f16 v54, v69, v65, v54
	;;#ASMEND
	;;#ASMSTART
	v_dot2_f32_f16 v54, v70, v66, v54
	;;#ASMEND
	;;#ASMSTART
	v_dot2_f32_f16 v54, v71, v67, v54
	;;#ASMEND
	;; [unrolled: 29-line block ×8, first 2 shown]
	s_barrier
	buffer_gl0_inv
	s_clause 0x1
	global_load_b128 v[60:63], v[18:19], off offset:768
	global_load_b128 v[64:67], v[16:17], off offset:768
	s_waitcnt vmcnt(1)
	ds_store_b128 v29, v[60:63]
	s_waitcnt vmcnt(0)
	ds_store_b128 v30, v[64:67]
	s_waitcnt lgkmcnt(0)
	s_barrier
	buffer_gl0_inv
	ds_load_b128 v[60:63], v32 offset:9216
	ds_load_b128 v[64:67], v31 offset:768
	ds_load_b128 v[68:71], v32 offset:13824
	s_waitcnt lgkmcnt(1)
	;;#ASMSTART
	v_dot2_f32_f16 v53, v60, v64, v53
	;;#ASMEND
	;;#ASMSTART
	v_dot2_f32_f16 v53, v61, v65, v53
	;;#ASMEND
	;;#ASMSTART
	v_dot2_f32_f16 v53, v62, v66, v53
	;;#ASMEND
	;;#ASMSTART
	v_dot2_f32_f16 v53, v63, v67, v53
	;;#ASMEND
	s_waitcnt lgkmcnt(0)
	;;#ASMSTART
	v_dot2_f32_f16 v54, v68, v64, v54
	;;#ASMEND
	;;#ASMSTART
	v_dot2_f32_f16 v54, v69, v65, v54
	;;#ASMEND
	;;#ASMSTART
	v_dot2_f32_f16 v54, v70, v66, v54
	;;#ASMEND
	;;#ASMSTART
	v_dot2_f32_f16 v54, v71, v67, v54
	;;#ASMEND
	ds_load_b128 v[60:63], v32 offset:9232
	ds_load_b128 v[64:67], v31 offset:784
	ds_load_b128 v[68:71], v32 offset:13840
	s_waitcnt lgkmcnt(1)
	;;#ASMSTART
	v_dot2_f32_f16 v53, v60, v64, v53
	;;#ASMEND
	;;#ASMSTART
	v_dot2_f32_f16 v53, v61, v65, v53
	;;#ASMEND
	;;#ASMSTART
	v_dot2_f32_f16 v53, v62, v66, v53
	;;#ASMEND
	;;#ASMSTART
	v_dot2_f32_f16 v53, v63, v67, v53
	;;#ASMEND
	s_waitcnt lgkmcnt(0)
	;;#ASMSTART
	v_dot2_f32_f16 v54, v68, v64, v54
	;;#ASMEND
	;;#ASMSTART
	v_dot2_f32_f16 v54, v69, v65, v54
	;;#ASMEND
	;;#ASMSTART
	v_dot2_f32_f16 v54, v70, v66, v54
	;;#ASMEND
	;;#ASMSTART
	v_dot2_f32_f16 v54, v71, v67, v54
	;;#ASMEND
	;; [unrolled: 29-line block ×8, first 2 shown]
	s_barrier
	buffer_gl0_inv
	s_clause 0x1
	global_load_b128 v[60:63], v[18:19], off offset:896
	global_load_b128 v[64:67], v[16:17], off offset:896
	s_waitcnt vmcnt(1)
	ds_store_b128 v29, v[60:63]
	s_waitcnt vmcnt(0)
	ds_store_b128 v30, v[64:67]
	s_waitcnt lgkmcnt(0)
	s_barrier
	buffer_gl0_inv
	ds_load_b128 v[60:63], v32 offset:9216
	ds_load_b128 v[64:67], v31 offset:896
	ds_load_b128 v[68:71], v32 offset:13824
	s_waitcnt lgkmcnt(1)
	;;#ASMSTART
	v_dot2_f32_f16 v53, v60, v64, v53
	;;#ASMEND
	;;#ASMSTART
	v_dot2_f32_f16 v53, v61, v65, v53
	;;#ASMEND
	;;#ASMSTART
	v_dot2_f32_f16 v53, v62, v66, v53
	;;#ASMEND
	;;#ASMSTART
	v_dot2_f32_f16 v53, v63, v67, v53
	;;#ASMEND
	s_waitcnt lgkmcnt(0)
	;;#ASMSTART
	v_dot2_f32_f16 v54, v68, v64, v54
	;;#ASMEND
	;;#ASMSTART
	v_dot2_f32_f16 v54, v69, v65, v54
	;;#ASMEND
	;;#ASMSTART
	v_dot2_f32_f16 v54, v70, v66, v54
	;;#ASMEND
	;;#ASMSTART
	v_dot2_f32_f16 v54, v71, v67, v54
	;;#ASMEND
	ds_load_b128 v[60:63], v32 offset:9232
	ds_load_b128 v[64:67], v31 offset:912
	ds_load_b128 v[68:71], v32 offset:13840
	s_waitcnt lgkmcnt(1)
	;;#ASMSTART
	v_dot2_f32_f16 v53, v60, v64, v53
	;;#ASMEND
	;;#ASMSTART
	v_dot2_f32_f16 v53, v61, v65, v53
	;;#ASMEND
	;;#ASMSTART
	v_dot2_f32_f16 v53, v62, v66, v53
	;;#ASMEND
	;;#ASMSTART
	v_dot2_f32_f16 v53, v63, v67, v53
	;;#ASMEND
	s_waitcnt lgkmcnt(0)
	;;#ASMSTART
	v_dot2_f32_f16 v54, v68, v64, v54
	;;#ASMEND
	;;#ASMSTART
	v_dot2_f32_f16 v54, v69, v65, v54
	;;#ASMEND
	;;#ASMSTART
	v_dot2_f32_f16 v54, v70, v66, v54
	;;#ASMEND
	;;#ASMSTART
	v_dot2_f32_f16 v54, v71, v67, v54
	;;#ASMEND
	;; [unrolled: 29-line block ×8, first 2 shown]
	s_barrier
	buffer_gl0_inv
	s_clause 0x1
	global_load_b128 v[60:63], v[18:19], off offset:1024
	global_load_b128 v[16:19], v[16:17], off offset:1024
	s_waitcnt vmcnt(1)
	ds_store_b128 v29, v[60:63]
	s_waitcnt vmcnt(0)
	ds_store_b128 v30, v[16:19]
	s_waitcnt lgkmcnt(0)
	s_barrier
	buffer_gl0_inv
	ds_load_b128 v[16:19], v32 offset:9216
	ds_load_b128 v[60:63], v31 offset:1024
	ds_load_b128 v[64:67], v32 offset:13824
	s_waitcnt lgkmcnt(1)
	;;#ASMSTART
	v_dot2_f32_f16 v53, v16, v60, v53
	;;#ASMEND
	;;#ASMSTART
	v_dot2_f32_f16 v53, v17, v61, v53
	;;#ASMEND
	;;#ASMSTART
	v_dot2_f32_f16 v53, v18, v62, v53
	;;#ASMEND
	;;#ASMSTART
	v_dot2_f32_f16 v53, v19, v63, v53
	;;#ASMEND
	s_waitcnt lgkmcnt(0)
	;;#ASMSTART
	v_dot2_f32_f16 v54, v64, v60, v54
	;;#ASMEND
	;;#ASMSTART
	v_dot2_f32_f16 v54, v65, v61, v54
	;;#ASMEND
	;;#ASMSTART
	v_dot2_f32_f16 v54, v66, v62, v54
	;;#ASMEND
	;;#ASMSTART
	v_dot2_f32_f16 v54, v67, v63, v54
	;;#ASMEND
	ds_load_b128 v[16:19], v32 offset:9232
	ds_load_b128 v[60:63], v31 offset:1040
	ds_load_b128 v[64:67], v32 offset:13840
	s_waitcnt lgkmcnt(1)
	;;#ASMSTART
	v_dot2_f32_f16 v53, v16, v60, v53
	;;#ASMEND
	;;#ASMSTART
	v_dot2_f32_f16 v53, v17, v61, v53
	;;#ASMEND
	;;#ASMSTART
	v_dot2_f32_f16 v53, v18, v62, v53
	;;#ASMEND
	;;#ASMSTART
	v_dot2_f32_f16 v53, v19, v63, v53
	;;#ASMEND
	s_waitcnt lgkmcnt(0)
	;;#ASMSTART
	v_dot2_f32_f16 v54, v64, v60, v54
	;;#ASMEND
	;;#ASMSTART
	v_dot2_f32_f16 v54, v65, v61, v54
	;;#ASMEND
	;;#ASMSTART
	v_dot2_f32_f16 v54, v66, v62, v54
	;;#ASMEND
	;;#ASMSTART
	v_dot2_f32_f16 v54, v67, v63, v54
	;;#ASMEND
	;; [unrolled: 29-line block ×7, first 2 shown]
	ds_load_b128 v[16:19], v32 offset:9328
	ds_load_b128 v[60:63], v31 offset:1136
	ds_load_b128 v[64:67], v32 offset:13936
	s_waitcnt lgkmcnt(1)
	;;#ASMSTART
	v_dot2_f32_f16 v53, v16, v60, v53
	;;#ASMEND
	;;#ASMSTART
	v_dot2_f32_f16 v53, v17, v61, v53
	;;#ASMEND
	;; [unrolled: 3-line block ×4, first 2 shown]
	v_lshlrev_b32_e32 v56, 2, v14
	v_lshlrev_b64 v[14:15], 1, v[7:8]
	s_waitcnt lgkmcnt(0)
	;;#ASMSTART
	v_dot2_f32_f16 v54, v64, v60, v54
	;;#ASMEND
	v_add_co_u32 v8, s4, v38, s6
	;;#ASMSTART
	v_dot2_f32_f16 v54, v65, v61, v54
	;;#ASMEND
	;;#ASMSTART
	v_dot2_f32_f16 v54, v66, v62, v54
	;;#ASMEND
	;; [unrolled: 3-line block ×3, first 2 shown]
	v_lshlrev_b32_e32 v59, 2, v9
	v_add_co_ci_u32_e64 v9, vcc_lo, s7, v39, s4
	v_add_co_u32 v14, vcc_lo, s36, v14
	v_add_co_ci_u32_e32 v15, vcc_lo, s37, v15, vcc_lo
	s_clause 0x1
	flat_load_u16 v7, v[14:15]
	flat_load_u16 v14, v[14:15] offset:64
	s_waitcnt vmcnt(0) lgkmcnt(0)
	s_barrier
	buffer_gl0_inv
	s_clause 0x1
	global_load_b128 v[15:18], v[12:13], off
	global_load_b128 v[60:63], v[12:13], off offset:512
	v_cvt_f32_f16_e32 v7, v7
	v_cvt_f32_f16_e32 v12, v14
	s_delay_alu instid0(VALU_DEP_1) | instskip(NEXT) | instid1(VALU_DEP_1)
	v_dual_add_f32 v13, v53, v7 :: v_dual_add_f32 v12, v54, v12
	v_dual_add_f32 v7, 0x40051340, v13 :: v_dual_add_f32 v14, 0x40051340, v12
	s_delay_alu instid0(VALU_DEP_1) | instskip(SKIP_3) | instid1(VALU_DEP_1)
	v_max3_f32 v7, v52, v7, v14
	ds_bpermute_b32 v14, v59, v7
	s_waitcnt lgkmcnt(0)
	v_max_f32_e32 v14, v14, v14
	v_max_f32_e32 v7, v7, v14
	ds_bpermute_b32 v14, v58, v7
	s_waitcnt lgkmcnt(0)
	v_max_f32_e32 v14, v14, v14
	s_delay_alu instid0(VALU_DEP_1) | instskip(SKIP_3) | instid1(VALU_DEP_1)
	v_max_f32_e32 v7, v7, v14
	ds_bpermute_b32 v14, v57, v7
	s_waitcnt lgkmcnt(0)
	v_max_f32_e32 v14, v14, v14
	v_max_f32_e32 v7, v7, v14
	ds_bpermute_b32 v14, v56, v7
	s_waitcnt lgkmcnt(0)
	v_max_f32_e32 v14, v14, v14
	s_delay_alu instid0(VALU_DEP_1) | instskip(SKIP_3) | instid1(VALU_DEP_1)
	v_max_f32_e32 v7, v7, v14
	ds_bpermute_b32 v14, v55, v7
	s_waitcnt lgkmcnt(0)
	v_max_f32_e32 v14, v14, v14
	v_max_f32_e32 v7, v7, v14
	s_delay_alu instid0(VALU_DEP_1) | instskip(NEXT) | instid1(VALU_DEP_1)
	v_sub_f32_e32 v14, v52, v7
	v_mul_f32_e32 v53, 0x3fb8aa3b, v14
	v_cmp_ngt_f32_e64 s2, 0xc2ce8ed0, v14
	v_cmp_nlt_f32_e64 s6, 0x42b17218, v14
	s_delay_alu instid0(VALU_DEP_3) | instskip(SKIP_1) | instid1(VALU_DEP_2)
	v_fma_f32 v58, 0x3fb8aa3b, v14, -v53
	v_rndne_f32_e32 v59, v53
	v_fmac_f32_e32 v58, 0x32a5705f, v14
	s_delay_alu instid0(VALU_DEP_2) | instskip(SKIP_2) | instid1(VALU_DEP_2)
	v_sub_f32_e32 v14, v53, v59
	v_sub_f32_e32 v13, v13, v7
	v_cvt_i32_f32_e32 v53, v59
	v_dual_add_f32 v14, v14, v58 :: v_dual_mul_f32 v19, 0x3fb8aa3b, v13
	v_cmp_ngt_f32_e64 s3, 0xc2ce8ed0, v13
	v_cmp_nlt_f32_e64 s4, 0x42b17218, v13
	s_delay_alu instid0(VALU_DEP_3) | instskip(NEXT) | instid1(VALU_DEP_3)
	v_exp_f32_e32 v14, v14
	v_fma_f32 v54, 0x3fb8aa3b, v13, -v19
	v_rndne_f32_e32 v55, v19
	s_delay_alu instid0(VALU_DEP_1)
	v_dual_fmac_f32 v54, 0x32a5705f, v13 :: v_dual_sub_f32 v13, v19, v55
	v_sub_f32_e32 v12, v12, v7
	v_cvt_i32_f32_e32 v19, v55
	s_waitcnt_depctr 0xfff
	v_ldexp_f32 v14, v14, v53
	v_dual_add_f32 v13, v13, v54 :: v_dual_mul_f32 v52, 0x3fb8aa3b, v12
	v_cmp_ngt_f32_e32 vcc_lo, 0xc2ce8ed0, v12
	v_cmp_nlt_f32_e64 s5, 0x42b17218, v12
	s_delay_alu instid0(VALU_DEP_3) | instskip(NEXT) | instid1(VALU_DEP_3)
	v_exp_f32_e32 v13, v13
	v_fma_f32 v56, 0x3fb8aa3b, v12, -v52
	v_rndne_f32_e32 v57, v52
	s_delay_alu instid0(VALU_DEP_2) | instskip(NEXT) | instid1(VALU_DEP_2)
	v_fmac_f32_e32 v56, 0x32a5705f, v12
	v_sub_f32_e32 v12, v52, v57
	v_cvt_i32_f32_e32 v52, v57
	s_waitcnt_depctr 0xfff
	v_ldexp_f32 v13, v13, v19
	v_add_f32_e32 v12, v12, v56
	s_delay_alu instid0(VALU_DEP_2) | instskip(NEXT) | instid1(VALU_DEP_2)
	v_cndmask_b32_e64 v13, 0, v13, s3
	v_exp_f32_e32 v12, v12
	s_waitcnt_depctr 0xfff
	v_ldexp_f32 v12, v12, v52
	v_cndmask_b32_e64 v52, 0, v14, s2
	s_or_b32 s2, s16, 24
	s_delay_alu instid0(SALU_CYCLE_1) | instskip(NEXT) | instid1(VALU_DEP_2)
	s_mul_hi_i32 s3, s2, s22
	v_cndmask_b32_e32 v19, 0, v12, vcc_lo
	v_cndmask_b32_e64 v12, 0x7f800000, v13, s4
	v_cndmask_b32_e64 v13, 0x7f800000, v52, s6
	s_mul_i32 s2, s2, s22
	s_delay_alu instid0(VALU_DEP_3) | instskip(NEXT) | instid1(VALU_DEP_3)
	v_cndmask_b32_e64 v14, 0x7f800000, v19, s5
	v_cvt_f16_f32_e32 v19, v12
	s_delay_alu instid0(VALU_DEP_3) | instskip(SKIP_1) | instid1(VALU_DEP_3)
	v_cvt_f16_f32_e32 v108, v13
	s_lshl_b64 s[2:3], s[2:3], 2
	v_cvt_f16_f32_e32 v52, v14
	ds_store_b16 v34, v19
	ds_store_b16 v34, v52 offset:64
	s_waitcnt vmcnt(1)
	ds_store_b128 v35, v[15:18]
	s_waitcnt vmcnt(0)
	ds_store_b128 v36, v[60:63]
	s_waitcnt lgkmcnt(0)
	s_barrier
	buffer_gl0_inv
	ds_load_2addr_b64 v[15:18], v37 offset1:32
	ds_load_b128 v[52:55], v33
	ds_load_2addr_b64 v[56:59], v37 offset0:64 offset1:96
	ds_load_2addr_b64 v[60:63], v37 offset0:128 offset1:160
	ds_load_2addr_b64 v[64:67], v37 offset0:192 offset1:224
	ds_load_2addr_b64 v[68:71], v41 offset1:32
	ds_load_2addr_b64 v[72:75], v41 offset0:64 offset1:96
	ds_load_2addr_b64 v[76:79], v41 offset0:128 offset1:160
	ds_load_2addr_b64 v[80:83], v41 offset0:192 offset1:224
	ds_load_2addr_b64 v[84:87], v42 offset1:32
	;; [unrolled: 4-line block ×3, first 2 shown]
	ds_load_2addr_b64 v[104:107], v43 offset0:64 offset1:96
	v_pk_mul_f16 v46, v108, v46 op_sel_hi:[0,1]
	v_pk_mul_f16 v47, v108, v47 op_sel_hi:[0,1]
	v_pk_mul_f16 v45, v108, v45 op_sel_hi:[0,1]
	v_pk_mul_f16 v44, v108, v44 op_sel_hi:[0,1]
	v_pk_mul_f16 v19, v108, v50 op_sel_hi:[0,1]
	v_pk_mul_f16 v50, v108, v51 op_sel_hi:[0,1]
	s_waitcnt lgkmcnt(12)
	v_pk_fma_f16 v56, v56, v52, v46 op_sel_hi:[1,0,1]
	v_pk_fma_f16 v57, v57, v52, v47 op_sel_hi:[1,0,1]
	;; [unrolled: 1-line block ×4, first 2 shown]
	v_pk_mul_f16 v51, v15, v52 op_sel_hi:[1,0]
	v_pk_mul_f16 v109, v16, v52 op_sel_hi:[1,0]
	v_pk_fma_f16 v19, v17, v52, v19 op_sel_hi:[1,0,1]
	v_pk_fma_f16 v50, v18, v52, v50 op_sel_hi:[1,0,1]
	ds_load_2addr_b64 v[15:18], v43 offset0:128 offset1:160
	ds_load_2addr_b64 v[44:47], v43 offset0:192 offset1:224
	s_waitcnt lgkmcnt(0)
	s_barrier
	buffer_gl0_inv
	v_pk_fma_f16 v110, v64, v52, v56 op_sel:[0,1,0]
	v_pk_fma_f16 v111, v65, v52, v57 op_sel:[0,1,0]
	;; [unrolled: 1-line block ×4, first 2 shown]
	s_clause 0x1
	global_load_b128 v[56:59], v[10:11], off
	global_load_b128 v[64:67], v[10:11], off offset:512
	v_pk_fma_f16 v48, v48, v108, v51 op_sel_hi:[1,0,1]
	v_pk_fma_f16 v10, v49, v108, v109 op_sel_hi:[1,0,1]
	v_pk_fma_f16 v11, v62, v52, v19 op_sel:[0,1,0]
	v_pk_fma_f16 v19, v63, v52, v50 op_sel:[0,1,0]
	v_pk_fma_f16 v49, v72, v53, v110 op_sel_hi:[1,0,1]
	v_pk_fma_f16 v48, v60, v52, v48 op_sel:[0,1,0]
	v_pk_fma_f16 v10, v61, v52, v10 op_sel:[0,1,0]
	v_pk_fma_f16 v11, v70, v53, v11 op_sel_hi:[1,0,1]
	v_pk_fma_f16 v19, v71, v53, v19 op_sel_hi:[1,0,1]
	;; [unrolled: 1-line block ×7, first 2 shown]
	v_pk_fma_f16 v11, v78, v53, v11 op_sel:[0,1,0]
	v_pk_fma_f16 v19, v79, v53, v19 op_sel:[0,1,0]
	;; [unrolled: 1-line block ×8, first 2 shown]
	v_pk_fma_f16 v11, v86, v54, v11 op_sel_hi:[1,0,1]
	v_pk_fma_f16 v19, v87, v54, v19 op_sel_hi:[1,0,1]
	;; [unrolled: 1-line block ×8, first 2 shown]
	v_pk_fma_f16 v11, v94, v54, v11 op_sel:[0,1,0]
	v_pk_fma_f16 v19, v95, v54, v19 op_sel:[0,1,0]
	;; [unrolled: 1-line block ×8, first 2 shown]
	v_pk_fma_f16 v11, v102, v55, v11 op_sel_hi:[1,0,1]
	v_pk_fma_f16 v19, v103, v55, v19 op_sel_hi:[1,0,1]
	;; [unrolled: 1-line block ×8, first 2 shown]
	v_pk_fma_f16 v11, v17, v55, v11 op_sel:[0,1,0]
	v_pk_fma_f16 v19, v18, v55, v19 op_sel:[0,1,0]
	v_pk_fma_f16 v104, v44, v55, v49 op_sel:[0,1,0]
	v_pk_fma_f16 v105, v45, v55, v50 op_sel:[0,1,0]
	v_pk_fma_f16 v106, v46, v55, v51 op_sel:[0,1,0]
	v_pk_fma_f16 v107, v47, v55, v52 op_sel:[0,1,0]
	v_pk_fma_f16 v108, v15, v55, v48 op_sel:[0,1,0]
	v_pk_fma_f16 v10, v16, v55, v10 op_sel:[0,1,0]
	s_waitcnt vmcnt(1)
	ds_store_b128 v35, v[56:59]
	s_waitcnt vmcnt(0)
	ds_store_b128 v36, v[64:67]
	s_waitcnt lgkmcnt(0)
	s_barrier
	buffer_gl0_inv
	ds_load_2addr_b64 v[15:18], v37 offset1:32
	ds_load_b128 v[44:47], v33 offset:16
	ds_load_2addr_b64 v[48:51], v37 offset0:64 offset1:96
	ds_load_2addr_b64 v[52:55], v37 offset0:128 offset1:160
	ds_load_2addr_b64 v[56:59], v37 offset0:192 offset1:224
	ds_load_2addr_b64 v[60:63], v41 offset1:32
	ds_load_2addr_b64 v[64:67], v41 offset0:64 offset1:96
	ds_load_2addr_b64 v[68:71], v41 offset0:128 offset1:160
	ds_load_2addr_b64 v[72:75], v41 offset0:192 offset1:224
	ds_load_2addr_b64 v[76:79], v42 offset1:32
	;; [unrolled: 4-line block ×3, first 2 shown]
	ds_load_2addr_b64 v[96:99], v43 offset0:64 offset1:96
	ds_load_2addr_b64 v[100:103], v43 offset0:128 offset1:160
	s_waitcnt lgkmcnt(14)
	v_pk_fma_f16 v108, v15, v44, v108 op_sel_hi:[1,0,1]
	v_pk_fma_f16 v109, v16, v44, v10 op_sel_hi:[1,0,1]
	v_pk_fma_f16 v110, v17, v44, v11 op_sel_hi:[1,0,1]
	v_pk_fma_f16 v19, v18, v44, v19 op_sel_hi:[1,0,1]
	ds_load_2addr_b64 v[15:18], v43 offset0:192 offset1:224
	s_waitcnt lgkmcnt(0)
	s_barrier
	buffer_gl0_inv
	v_pk_fma_f16 v111, v48, v44, v104 op_sel_hi:[1,0,1]
	v_pk_fma_f16 v112, v49, v44, v105 op_sel_hi:[1,0,1]
	;; [unrolled: 1-line block ×4, first 2 shown]
	s_clause 0x1
	global_load_b128 v[48:51], v[8:9], off
	global_load_b128 v[8:11], v[8:9], off offset:512
	v_pk_fma_f16 v52, v52, v44, v108 op_sel:[0,1,0]
	v_pk_fma_f16 v53, v53, v44, v109 op_sel:[0,1,0]
	v_pk_fma_f16 v54, v54, v44, v110 op_sel:[0,1,0]
	v_pk_fma_f16 v19, v55, v44, v19 op_sel:[0,1,0]
	v_pk_fma_f16 v55, v56, v44, v111 op_sel:[0,1,0]
	v_pk_fma_f16 v56, v57, v44, v112 op_sel:[0,1,0]
	v_pk_fma_f16 v57, v58, v44, v106 op_sel:[0,1,0]
	v_pk_fma_f16 v44, v59, v44, v107 op_sel:[0,1,0]
	v_pk_fma_f16 v52, v60, v45, v52 op_sel_hi:[1,0,1]
	v_pk_fma_f16 v53, v61, v45, v53 op_sel_hi:[1,0,1]
	v_pk_fma_f16 v54, v62, v45, v54 op_sel_hi:[1,0,1]
	v_pk_fma_f16 v19, v63, v45, v19 op_sel_hi:[1,0,1]
	v_pk_fma_f16 v55, v64, v45, v55 op_sel_hi:[1,0,1]
	v_pk_fma_f16 v56, v65, v45, v56 op_sel_hi:[1,0,1]
	v_pk_fma_f16 v57, v66, v45, v57 op_sel_hi:[1,0,1]
	v_pk_fma_f16 v44, v67, v45, v44 op_sel_hi:[1,0,1]
	v_pk_fma_f16 v52, v68, v45, v52 op_sel:[0,1,0]
	v_pk_fma_f16 v53, v69, v45, v53 op_sel:[0,1,0]
	v_pk_fma_f16 v54, v70, v45, v54 op_sel:[0,1,0]
	v_pk_fma_f16 v19, v71, v45, v19 op_sel:[0,1,0]
	v_pk_fma_f16 v55, v72, v45, v55 op_sel:[0,1,0]
	v_pk_fma_f16 v56, v73, v45, v56 op_sel:[0,1,0]
	v_pk_fma_f16 v57, v74, v45, v57 op_sel:[0,1,0]
	v_pk_fma_f16 v44, v75, v45, v44 op_sel:[0,1,0]
	v_pk_fma_f16 v45, v76, v46, v52 op_sel_hi:[1,0,1]
	v_pk_fma_f16 v52, v77, v46, v53 op_sel_hi:[1,0,1]
	v_pk_fma_f16 v53, v78, v46, v54 op_sel_hi:[1,0,1]
	v_pk_fma_f16 v19, v79, v46, v19 op_sel_hi:[1,0,1]
	v_pk_fma_f16 v54, v80, v46, v55 op_sel_hi:[1,0,1]
	v_pk_fma_f16 v55, v81, v46, v56 op_sel_hi:[1,0,1]
	v_pk_fma_f16 v56, v82, v46, v57 op_sel_hi:[1,0,1]
	v_pk_fma_f16 v44, v83, v46, v44 op_sel_hi:[1,0,1]
	;; [unrolled: 16-line block ×3, first 2 shown]
	v_add_co_u32 v104, vcc_lo, v38, s2
	v_pk_fma_f16 v100, v100, v47, v45 op_sel:[0,1,0]
	v_pk_fma_f16 v101, v101, v47, v46 op_sel:[0,1,0]
	;; [unrolled: 1-line block ×8, first 2 shown]
	s_waitcnt vmcnt(1)
	ds_store_b128 v35, v[48:51]
	s_waitcnt vmcnt(0)
	ds_store_b128 v36, v[8:11]
	s_waitcnt lgkmcnt(0)
	s_barrier
	buffer_gl0_inv
	ds_load_2addr_b64 v[8:11], v37 offset1:32
	ds_load_b128 v[15:18], v33 offset:32
	ds_load_2addr_b64 v[44:47], v37 offset0:64 offset1:96
	ds_load_2addr_b64 v[48:51], v37 offset0:128 offset1:160
	ds_load_2addr_b64 v[52:55], v37 offset0:192 offset1:224
	ds_load_2addr_b64 v[56:59], v41 offset1:32
	ds_load_2addr_b64 v[60:63], v41 offset0:64 offset1:96
	ds_load_2addr_b64 v[64:67], v41 offset0:128 offset1:160
	ds_load_2addr_b64 v[68:71], v41 offset0:192 offset1:224
	ds_load_2addr_b64 v[72:75], v42 offset1:32
	;; [unrolled: 4-line block ×3, first 2 shown]
	ds_load_2addr_b64 v[92:95], v43 offset0:64 offset1:96
	ds_load_2addr_b64 v[96:99], v43 offset0:128 offset1:160
	v_add_co_ci_u32_e32 v105, vcc_lo, s3, v39, vcc_lo
	s_or_b32 s2, s16, 32
	s_delay_alu instid0(SALU_CYCLE_1)
	s_mul_hi_i32 s3, s2, s22
	s_waitcnt lgkmcnt(14)
	v_pk_fma_f16 v109, v8, v15, v100 op_sel_hi:[1,0,1]
	v_pk_fma_f16 v110, v9, v15, v101 op_sel_hi:[1,0,1]
	;; [unrolled: 1-line block ×4, first 2 shown]
	ds_load_2addr_b64 v[8:11], v43 offset0:192 offset1:224
	s_waitcnt lgkmcnt(0)
	s_barrier
	buffer_gl0_inv
	v_pk_fma_f16 v112, v44, v15, v103 op_sel_hi:[1,0,1]
	v_pk_fma_f16 v106, v45, v15, v106 op_sel_hi:[1,0,1]
	;; [unrolled: 1-line block ×4, first 2 shown]
	s_clause 0x1
	global_load_b128 v[44:47], v[104:105], off
	global_load_b128 v[100:103], v[104:105], off offset:512
	v_pk_fma_f16 v48, v48, v15, v109 op_sel:[0,1,0]
	v_pk_fma_f16 v49, v49, v15, v110 op_sel:[0,1,0]
	v_pk_fma_f16 v50, v50, v15, v111 op_sel:[0,1,0]
	v_pk_fma_f16 v19, v51, v15, v19 op_sel:[0,1,0]
	v_pk_fma_f16 v51, v52, v15, v112 op_sel:[0,1,0]
	v_pk_fma_f16 v52, v53, v15, v106 op_sel:[0,1,0]
	v_pk_fma_f16 v53, v54, v15, v107 op_sel:[0,1,0]
	v_pk_fma_f16 v15, v55, v15, v108 op_sel:[0,1,0]
	v_pk_fma_f16 v48, v56, v16, v48 op_sel_hi:[1,0,1]
	v_pk_fma_f16 v49, v57, v16, v49 op_sel_hi:[1,0,1]
	v_pk_fma_f16 v50, v58, v16, v50 op_sel_hi:[1,0,1]
	v_pk_fma_f16 v19, v59, v16, v19 op_sel_hi:[1,0,1]
	v_pk_fma_f16 v51, v60, v16, v51 op_sel_hi:[1,0,1]
	v_pk_fma_f16 v52, v61, v16, v52 op_sel_hi:[1,0,1]
	v_pk_fma_f16 v53, v62, v16, v53 op_sel_hi:[1,0,1]
	v_pk_fma_f16 v15, v63, v16, v15 op_sel_hi:[1,0,1]
	v_pk_fma_f16 v48, v64, v16, v48 op_sel:[0,1,0]
	v_pk_fma_f16 v49, v65, v16, v49 op_sel:[0,1,0]
	v_pk_fma_f16 v50, v66, v16, v50 op_sel:[0,1,0]
	v_pk_fma_f16 v19, v67, v16, v19 op_sel:[0,1,0]
	v_pk_fma_f16 v51, v68, v16, v51 op_sel:[0,1,0]
	v_pk_fma_f16 v52, v69, v16, v52 op_sel:[0,1,0]
	v_pk_fma_f16 v53, v70, v16, v53 op_sel:[0,1,0]
	v_pk_fma_f16 v15, v71, v16, v15 op_sel:[0,1,0]
	v_pk_fma_f16 v16, v72, v17, v48 op_sel_hi:[1,0,1]
	v_pk_fma_f16 v48, v73, v17, v49 op_sel_hi:[1,0,1]
	v_pk_fma_f16 v49, v74, v17, v50 op_sel_hi:[1,0,1]
	v_pk_fma_f16 v19, v75, v17, v19 op_sel_hi:[1,0,1]
	v_pk_fma_f16 v50, v76, v17, v51 op_sel_hi:[1,0,1]
	v_pk_fma_f16 v51, v77, v17, v52 op_sel_hi:[1,0,1]
	v_pk_fma_f16 v52, v78, v17, v53 op_sel_hi:[1,0,1]
	v_pk_fma_f16 v15, v79, v17, v15 op_sel_hi:[1,0,1]
	;; [unrolled: 16-line block ×3, first 2 shown]
	s_mul_i32 s2, s2, s22
	v_pk_fma_f16 v106, v96, v18, v16 op_sel:[0,1,0]
	s_lshl_b64 s[2:3], s[2:3], 2
	v_pk_fma_f16 v107, v97, v18, v17 op_sel:[0,1,0]
	v_add_co_u32 v104, vcc_lo, v38, s2
	v_pk_fma_f16 v108, v98, v18, v48 op_sel:[0,1,0]
	v_pk_fma_f16 v19, v99, v18, v19 op_sel:[0,1,0]
	;; [unrolled: 1-line block ×6, first 2 shown]
	s_waitcnt vmcnt(1)
	ds_store_b128 v35, v[44:47]
	s_waitcnt vmcnt(0)
	ds_store_b128 v36, v[100:103]
	s_waitcnt lgkmcnt(0)
	s_barrier
	buffer_gl0_inv
	ds_load_2addr_b64 v[8:11], v37 offset1:32
	ds_load_b128 v[15:18], v33 offset:48
	ds_load_2addr_b64 v[44:47], v37 offset0:64 offset1:96
	ds_load_2addr_b64 v[48:51], v37 offset0:128 offset1:160
	ds_load_2addr_b64 v[52:55], v37 offset0:192 offset1:224
	ds_load_2addr_b64 v[56:59], v41 offset1:32
	ds_load_2addr_b64 v[60:63], v41 offset0:64 offset1:96
	ds_load_2addr_b64 v[64:67], v41 offset0:128 offset1:160
	ds_load_2addr_b64 v[68:71], v41 offset0:192 offset1:224
	ds_load_2addr_b64 v[72:75], v42 offset1:32
	;; [unrolled: 4-line block ×3, first 2 shown]
	ds_load_2addr_b64 v[92:95], v43 offset0:64 offset1:96
	ds_load_2addr_b64 v[96:99], v43 offset0:128 offset1:160
	v_add_co_ci_u32_e32 v105, vcc_lo, s3, v39, vcc_lo
	s_or_b32 s2, s16, 40
	s_delay_alu instid0(SALU_CYCLE_1)
	s_mul_hi_i32 s3, s2, s22
	s_waitcnt lgkmcnt(14)
	v_pk_fma_f16 v106, v8, v15, v106 op_sel_hi:[1,0,1]
	v_pk_fma_f16 v107, v9, v15, v107 op_sel_hi:[1,0,1]
	;; [unrolled: 1-line block ×4, first 2 shown]
	ds_load_2addr_b64 v[8:11], v43 offset0:192 offset1:224
	s_waitcnt lgkmcnt(0)
	s_barrier
	buffer_gl0_inv
	v_pk_fma_f16 v109, v44, v15, v109 op_sel_hi:[1,0,1]
	v_pk_fma_f16 v110, v45, v15, v110 op_sel_hi:[1,0,1]
	;; [unrolled: 1-line block ×4, first 2 shown]
	s_clause 0x1
	global_load_b128 v[44:47], v[104:105], off
	global_load_b128 v[100:103], v[104:105], off offset:512
	v_pk_fma_f16 v48, v48, v15, v106 op_sel:[0,1,0]
	v_pk_fma_f16 v49, v49, v15, v107 op_sel:[0,1,0]
	v_pk_fma_f16 v50, v50, v15, v108 op_sel:[0,1,0]
	v_pk_fma_f16 v19, v51, v15, v19 op_sel:[0,1,0]
	v_pk_fma_f16 v51, v52, v15, v109 op_sel:[0,1,0]
	v_pk_fma_f16 v52, v53, v15, v110 op_sel:[0,1,0]
	v_pk_fma_f16 v53, v54, v15, v111 op_sel:[0,1,0]
	v_pk_fma_f16 v15, v55, v15, v112 op_sel:[0,1,0]
	v_pk_fma_f16 v48, v56, v16, v48 op_sel_hi:[1,0,1]
	v_pk_fma_f16 v49, v57, v16, v49 op_sel_hi:[1,0,1]
	v_pk_fma_f16 v50, v58, v16, v50 op_sel_hi:[1,0,1]
	v_pk_fma_f16 v19, v59, v16, v19 op_sel_hi:[1,0,1]
	v_pk_fma_f16 v51, v60, v16, v51 op_sel_hi:[1,0,1]
	v_pk_fma_f16 v52, v61, v16, v52 op_sel_hi:[1,0,1]
	v_pk_fma_f16 v53, v62, v16, v53 op_sel_hi:[1,0,1]
	v_pk_fma_f16 v15, v63, v16, v15 op_sel_hi:[1,0,1]
	v_pk_fma_f16 v48, v64, v16, v48 op_sel:[0,1,0]
	v_pk_fma_f16 v49, v65, v16, v49 op_sel:[0,1,0]
	v_pk_fma_f16 v50, v66, v16, v50 op_sel:[0,1,0]
	v_pk_fma_f16 v19, v67, v16, v19 op_sel:[0,1,0]
	v_pk_fma_f16 v51, v68, v16, v51 op_sel:[0,1,0]
	v_pk_fma_f16 v52, v69, v16, v52 op_sel:[0,1,0]
	v_pk_fma_f16 v53, v70, v16, v53 op_sel:[0,1,0]
	v_pk_fma_f16 v15, v71, v16, v15 op_sel:[0,1,0]
	v_pk_fma_f16 v16, v72, v17, v48 op_sel_hi:[1,0,1]
	v_pk_fma_f16 v48, v73, v17, v49 op_sel_hi:[1,0,1]
	v_pk_fma_f16 v49, v74, v17, v50 op_sel_hi:[1,0,1]
	v_pk_fma_f16 v19, v75, v17, v19 op_sel_hi:[1,0,1]
	v_pk_fma_f16 v50, v76, v17, v51 op_sel_hi:[1,0,1]
	v_pk_fma_f16 v51, v77, v17, v52 op_sel_hi:[1,0,1]
	v_pk_fma_f16 v52, v78, v17, v53 op_sel_hi:[1,0,1]
	v_pk_fma_f16 v15, v79, v17, v15 op_sel_hi:[1,0,1]
	;; [unrolled: 16-line block ×3, first 2 shown]
	s_mul_i32 s2, s2, s22
	v_pk_fma_f16 v106, v96, v18, v16 op_sel:[0,1,0]
	s_lshl_b64 s[2:3], s[2:3], 2
	v_pk_fma_f16 v107, v97, v18, v17 op_sel:[0,1,0]
	v_add_co_u32 v104, vcc_lo, v38, s2
	v_pk_fma_f16 v108, v98, v18, v48 op_sel:[0,1,0]
	v_pk_fma_f16 v19, v99, v18, v19 op_sel:[0,1,0]
	;; [unrolled: 1-line block ×6, first 2 shown]
	s_waitcnt vmcnt(1)
	ds_store_b128 v35, v[44:47]
	s_waitcnt vmcnt(0)
	ds_store_b128 v36, v[100:103]
	s_waitcnt lgkmcnt(0)
	s_barrier
	buffer_gl0_inv
	ds_load_2addr_b64 v[8:11], v37 offset1:32
	ds_load_b128 v[15:18], v33 offset:64
	ds_load_2addr_b64 v[44:47], v37 offset0:64 offset1:96
	ds_load_2addr_b64 v[48:51], v37 offset0:128 offset1:160
	ds_load_2addr_b64 v[52:55], v37 offset0:192 offset1:224
	ds_load_2addr_b64 v[56:59], v41 offset1:32
	ds_load_2addr_b64 v[60:63], v41 offset0:64 offset1:96
	ds_load_2addr_b64 v[64:67], v41 offset0:128 offset1:160
	ds_load_2addr_b64 v[68:71], v41 offset0:192 offset1:224
	ds_load_2addr_b64 v[72:75], v42 offset1:32
	ds_load_2addr_b64 v[76:79], v42 offset0:64 offset1:96
	ds_load_2addr_b64 v[80:83], v42 offset0:128 offset1:160
	ds_load_2addr_b64 v[84:87], v42 offset0:192 offset1:224
	ds_load_2addr_b64 v[88:91], v43 offset1:32
	ds_load_2addr_b64 v[92:95], v43 offset0:64 offset1:96
	ds_load_2addr_b64 v[96:99], v43 offset0:128 offset1:160
	v_add_co_ci_u32_e32 v105, vcc_lo, s3, v39, vcc_lo
	s_or_b32 s2, s16, 48
	s_delay_alu instid0(SALU_CYCLE_1)
	s_mul_hi_i32 s3, s2, s22
	s_waitcnt lgkmcnt(14)
	v_pk_fma_f16 v106, v8, v15, v106 op_sel_hi:[1,0,1]
	v_pk_fma_f16 v107, v9, v15, v107 op_sel_hi:[1,0,1]
	;; [unrolled: 1-line block ×4, first 2 shown]
	ds_load_2addr_b64 v[8:11], v43 offset0:192 offset1:224
	s_waitcnt lgkmcnt(0)
	s_barrier
	buffer_gl0_inv
	v_pk_fma_f16 v109, v44, v15, v109 op_sel_hi:[1,0,1]
	v_pk_fma_f16 v110, v45, v15, v110 op_sel_hi:[1,0,1]
	;; [unrolled: 1-line block ×4, first 2 shown]
	s_clause 0x1
	global_load_b128 v[44:47], v[104:105], off
	global_load_b128 v[100:103], v[104:105], off offset:512
	v_pk_fma_f16 v48, v48, v15, v106 op_sel:[0,1,0]
	v_pk_fma_f16 v49, v49, v15, v107 op_sel:[0,1,0]
	v_pk_fma_f16 v50, v50, v15, v108 op_sel:[0,1,0]
	v_pk_fma_f16 v19, v51, v15, v19 op_sel:[0,1,0]
	v_pk_fma_f16 v51, v52, v15, v109 op_sel:[0,1,0]
	v_pk_fma_f16 v52, v53, v15, v110 op_sel:[0,1,0]
	v_pk_fma_f16 v53, v54, v15, v111 op_sel:[0,1,0]
	v_pk_fma_f16 v15, v55, v15, v112 op_sel:[0,1,0]
	v_pk_fma_f16 v48, v56, v16, v48 op_sel_hi:[1,0,1]
	v_pk_fma_f16 v49, v57, v16, v49 op_sel_hi:[1,0,1]
	v_pk_fma_f16 v50, v58, v16, v50 op_sel_hi:[1,0,1]
	v_pk_fma_f16 v19, v59, v16, v19 op_sel_hi:[1,0,1]
	v_pk_fma_f16 v51, v60, v16, v51 op_sel_hi:[1,0,1]
	v_pk_fma_f16 v52, v61, v16, v52 op_sel_hi:[1,0,1]
	v_pk_fma_f16 v53, v62, v16, v53 op_sel_hi:[1,0,1]
	v_pk_fma_f16 v15, v63, v16, v15 op_sel_hi:[1,0,1]
	v_pk_fma_f16 v48, v64, v16, v48 op_sel:[0,1,0]
	v_pk_fma_f16 v49, v65, v16, v49 op_sel:[0,1,0]
	v_pk_fma_f16 v50, v66, v16, v50 op_sel:[0,1,0]
	v_pk_fma_f16 v19, v67, v16, v19 op_sel:[0,1,0]
	v_pk_fma_f16 v51, v68, v16, v51 op_sel:[0,1,0]
	v_pk_fma_f16 v52, v69, v16, v52 op_sel:[0,1,0]
	v_pk_fma_f16 v53, v70, v16, v53 op_sel:[0,1,0]
	v_pk_fma_f16 v15, v71, v16, v15 op_sel:[0,1,0]
	v_pk_fma_f16 v16, v72, v17, v48 op_sel_hi:[1,0,1]
	v_pk_fma_f16 v48, v73, v17, v49 op_sel_hi:[1,0,1]
	v_pk_fma_f16 v49, v74, v17, v50 op_sel_hi:[1,0,1]
	v_pk_fma_f16 v19, v75, v17, v19 op_sel_hi:[1,0,1]
	v_pk_fma_f16 v50, v76, v17, v51 op_sel_hi:[1,0,1]
	v_pk_fma_f16 v51, v77, v17, v52 op_sel_hi:[1,0,1]
	v_pk_fma_f16 v52, v78, v17, v53 op_sel_hi:[1,0,1]
	v_pk_fma_f16 v15, v79, v17, v15 op_sel_hi:[1,0,1]
	;; [unrolled: 16-line block ×3, first 2 shown]
	s_mul_i32 s2, s2, s22
	v_pk_fma_f16 v106, v96, v18, v16 op_sel:[0,1,0]
	s_lshl_b64 s[2:3], s[2:3], 2
	v_pk_fma_f16 v107, v97, v18, v17 op_sel:[0,1,0]
	v_add_co_u32 v104, vcc_lo, v38, s2
	v_pk_fma_f16 v108, v98, v18, v48 op_sel:[0,1,0]
	v_pk_fma_f16 v19, v99, v18, v19 op_sel:[0,1,0]
	;; [unrolled: 1-line block ×6, first 2 shown]
	s_waitcnt vmcnt(1)
	ds_store_b128 v35, v[44:47]
	s_waitcnt vmcnt(0)
	ds_store_b128 v36, v[100:103]
	s_waitcnt lgkmcnt(0)
	s_barrier
	buffer_gl0_inv
	ds_load_2addr_b64 v[8:11], v37 offset1:32
	ds_load_b128 v[15:18], v33 offset:80
	ds_load_2addr_b64 v[44:47], v37 offset0:64 offset1:96
	ds_load_2addr_b64 v[48:51], v37 offset0:128 offset1:160
	ds_load_2addr_b64 v[52:55], v37 offset0:192 offset1:224
	ds_load_2addr_b64 v[56:59], v41 offset1:32
	ds_load_2addr_b64 v[60:63], v41 offset0:64 offset1:96
	ds_load_2addr_b64 v[64:67], v41 offset0:128 offset1:160
	ds_load_2addr_b64 v[68:71], v41 offset0:192 offset1:224
	ds_load_2addr_b64 v[72:75], v42 offset1:32
	;; [unrolled: 4-line block ×3, first 2 shown]
	ds_load_2addr_b64 v[92:95], v43 offset0:64 offset1:96
	ds_load_2addr_b64 v[96:99], v43 offset0:128 offset1:160
	v_add_co_ci_u32_e32 v105, vcc_lo, s3, v39, vcc_lo
	s_or_b32 s2, s16, 56
	s_delay_alu instid0(SALU_CYCLE_1)
	s_mul_hi_i32 s3, s2, s22
	s_waitcnt lgkmcnt(14)
	v_pk_fma_f16 v106, v8, v15, v106 op_sel_hi:[1,0,1]
	v_pk_fma_f16 v107, v9, v15, v107 op_sel_hi:[1,0,1]
	;; [unrolled: 1-line block ×4, first 2 shown]
	ds_load_2addr_b64 v[8:11], v43 offset0:192 offset1:224
	s_waitcnt lgkmcnt(0)
	s_barrier
	buffer_gl0_inv
	v_pk_fma_f16 v109, v44, v15, v109 op_sel_hi:[1,0,1]
	v_pk_fma_f16 v110, v45, v15, v110 op_sel_hi:[1,0,1]
	v_pk_fma_f16 v111, v46, v15, v111 op_sel_hi:[1,0,1]
	v_pk_fma_f16 v112, v47, v15, v112 op_sel_hi:[1,0,1]
	s_clause 0x1
	global_load_b128 v[44:47], v[104:105], off
	global_load_b128 v[100:103], v[104:105], off offset:512
	v_pk_fma_f16 v48, v48, v15, v106 op_sel:[0,1,0]
	v_pk_fma_f16 v49, v49, v15, v107 op_sel:[0,1,0]
	v_pk_fma_f16 v50, v50, v15, v108 op_sel:[0,1,0]
	v_pk_fma_f16 v19, v51, v15, v19 op_sel:[0,1,0]
	v_pk_fma_f16 v51, v52, v15, v109 op_sel:[0,1,0]
	v_pk_fma_f16 v52, v53, v15, v110 op_sel:[0,1,0]
	v_pk_fma_f16 v53, v54, v15, v111 op_sel:[0,1,0]
	v_pk_fma_f16 v15, v55, v15, v112 op_sel:[0,1,0]
	v_pk_fma_f16 v48, v56, v16, v48 op_sel_hi:[1,0,1]
	v_pk_fma_f16 v49, v57, v16, v49 op_sel_hi:[1,0,1]
	v_pk_fma_f16 v50, v58, v16, v50 op_sel_hi:[1,0,1]
	v_pk_fma_f16 v19, v59, v16, v19 op_sel_hi:[1,0,1]
	v_pk_fma_f16 v51, v60, v16, v51 op_sel_hi:[1,0,1]
	v_pk_fma_f16 v52, v61, v16, v52 op_sel_hi:[1,0,1]
	v_pk_fma_f16 v53, v62, v16, v53 op_sel_hi:[1,0,1]
	v_pk_fma_f16 v15, v63, v16, v15 op_sel_hi:[1,0,1]
	v_pk_fma_f16 v48, v64, v16, v48 op_sel:[0,1,0]
	v_pk_fma_f16 v49, v65, v16, v49 op_sel:[0,1,0]
	v_pk_fma_f16 v50, v66, v16, v50 op_sel:[0,1,0]
	v_pk_fma_f16 v19, v67, v16, v19 op_sel:[0,1,0]
	v_pk_fma_f16 v51, v68, v16, v51 op_sel:[0,1,0]
	v_pk_fma_f16 v52, v69, v16, v52 op_sel:[0,1,0]
	v_pk_fma_f16 v53, v70, v16, v53 op_sel:[0,1,0]
	v_pk_fma_f16 v15, v71, v16, v15 op_sel:[0,1,0]
	v_pk_fma_f16 v16, v72, v17, v48 op_sel_hi:[1,0,1]
	v_pk_fma_f16 v48, v73, v17, v49 op_sel_hi:[1,0,1]
	v_pk_fma_f16 v49, v74, v17, v50 op_sel_hi:[1,0,1]
	v_pk_fma_f16 v19, v75, v17, v19 op_sel_hi:[1,0,1]
	v_pk_fma_f16 v50, v76, v17, v51 op_sel_hi:[1,0,1]
	v_pk_fma_f16 v51, v77, v17, v52 op_sel_hi:[1,0,1]
	v_pk_fma_f16 v52, v78, v17, v53 op_sel_hi:[1,0,1]
	v_pk_fma_f16 v15, v79, v17, v15 op_sel_hi:[1,0,1]
	;; [unrolled: 16-line block ×3, first 2 shown]
	s_mul_i32 s2, s2, s22
	v_pk_fma_f16 v106, v96, v18, v16 op_sel:[0,1,0]
	s_lshl_b64 s[2:3], s[2:3], 2
	v_pk_fma_f16 v107, v97, v18, v17 op_sel:[0,1,0]
	v_add_co_u32 v104, vcc_lo, v38, s2
	v_pk_fma_f16 v108, v98, v18, v48 op_sel:[0,1,0]
	v_pk_fma_f16 v19, v99, v18, v19 op_sel:[0,1,0]
	;; [unrolled: 1-line block ×6, first 2 shown]
	s_waitcnt vmcnt(1)
	ds_store_b128 v35, v[44:47]
	s_waitcnt vmcnt(0)
	ds_store_b128 v36, v[100:103]
	s_waitcnt lgkmcnt(0)
	s_barrier
	buffer_gl0_inv
	ds_load_2addr_b64 v[8:11], v37 offset1:32
	ds_load_b128 v[15:18], v33 offset:96
	ds_load_2addr_b64 v[44:47], v37 offset0:64 offset1:96
	ds_load_2addr_b64 v[48:51], v37 offset0:128 offset1:160
	ds_load_2addr_b64 v[52:55], v37 offset0:192 offset1:224
	ds_load_2addr_b64 v[56:59], v41 offset1:32
	ds_load_2addr_b64 v[60:63], v41 offset0:64 offset1:96
	ds_load_2addr_b64 v[64:67], v41 offset0:128 offset1:160
	ds_load_2addr_b64 v[68:71], v41 offset0:192 offset1:224
	ds_load_2addr_b64 v[72:75], v42 offset1:32
	;; [unrolled: 4-line block ×3, first 2 shown]
	ds_load_2addr_b64 v[92:95], v43 offset0:64 offset1:96
	ds_load_2addr_b64 v[96:99], v43 offset0:128 offset1:160
	v_add_co_ci_u32_e32 v105, vcc_lo, s3, v39, vcc_lo
	s_waitcnt lgkmcnt(14)
	v_pk_fma_f16 v106, v8, v15, v106 op_sel_hi:[1,0,1]
	v_pk_fma_f16 v107, v9, v15, v107 op_sel_hi:[1,0,1]
	;; [unrolled: 1-line block ×4, first 2 shown]
	ds_load_2addr_b64 v[8:11], v43 offset0:192 offset1:224
	s_waitcnt lgkmcnt(0)
	s_barrier
	buffer_gl0_inv
	v_pk_fma_f16 v109, v44, v15, v109 op_sel_hi:[1,0,1]
	v_pk_fma_f16 v110, v45, v15, v110 op_sel_hi:[1,0,1]
	;; [unrolled: 1-line block ×4, first 2 shown]
	s_clause 0x1
	global_load_b128 v[44:47], v[104:105], off
	global_load_b128 v[100:103], v[104:105], off offset:512
	v_mov_b32_e32 v104, v28
	v_add_f32_e32 v28, v12, v14
	v_pk_fma_f16 v12, v48, v15, v106 op_sel:[0,1,0]
	v_pk_fma_f16 v14, v50, v15, v108 op_sel:[0,1,0]
	;; [unrolled: 1-line block ×4, first 2 shown]
	v_fmac_f32_e32 v28, v104, v13
	v_pk_fma_f16 v13, v49, v15, v107 op_sel:[0,1,0]
	v_pk_fma_f16 v49, v53, v15, v110 op_sel:[0,1,0]
	v_pk_fma_f16 v50, v54, v15, v111 op_sel:[0,1,0]
	v_pk_fma_f16 v15, v55, v15, v112 op_sel:[0,1,0]
	v_pk_fma_f16 v12, v56, v16, v12 op_sel_hi:[1,0,1]
	v_pk_fma_f16 v13, v57, v16, v13 op_sel_hi:[1,0,1]
	v_pk_fma_f16 v14, v58, v16, v14 op_sel_hi:[1,0,1]
	v_pk_fma_f16 v19, v59, v16, v19 op_sel_hi:[1,0,1]
	v_pk_fma_f16 v48, v60, v16, v48 op_sel_hi:[1,0,1]
	v_pk_fma_f16 v49, v61, v16, v49 op_sel_hi:[1,0,1]
	v_pk_fma_f16 v50, v62, v16, v50 op_sel_hi:[1,0,1]
	v_pk_fma_f16 v15, v63, v16, v15 op_sel_hi:[1,0,1]
	v_pk_fma_f16 v12, v64, v16, v12 op_sel:[0,1,0]
	v_pk_fma_f16 v13, v65, v16, v13 op_sel:[0,1,0]
	v_pk_fma_f16 v14, v66, v16, v14 op_sel:[0,1,0]
	v_pk_fma_f16 v19, v67, v16, v19 op_sel:[0,1,0]
	v_pk_fma_f16 v48, v68, v16, v48 op_sel:[0,1,0]
	v_pk_fma_f16 v49, v69, v16, v49 op_sel:[0,1,0]
	v_pk_fma_f16 v50, v70, v16, v50 op_sel:[0,1,0]
	v_pk_fma_f16 v15, v71, v16, v15 op_sel:[0,1,0]
	v_pk_fma_f16 v12, v72, v17, v12 op_sel_hi:[1,0,1]
	v_pk_fma_f16 v13, v73, v17, v13 op_sel_hi:[1,0,1]
	v_pk_fma_f16 v14, v74, v17, v14 op_sel_hi:[1,0,1]
	v_pk_fma_f16 v16, v75, v17, v19 op_sel_hi:[1,0,1]
	v_pk_fma_f16 v19, v76, v17, v48 op_sel_hi:[1,0,1]
	v_pk_fma_f16 v48, v77, v17, v49 op_sel_hi:[1,0,1]
	v_pk_fma_f16 v49, v78, v17, v50 op_sel_hi:[1,0,1]
	v_pk_fma_f16 v15, v79, v17, v15 op_sel_hi:[1,0,1]
	v_pk_fma_f16 v12, v80, v17, v12 op_sel:[0,1,0]
	v_pk_fma_f16 v13, v81, v17, v13 op_sel:[0,1,0]
	v_pk_fma_f16 v14, v82, v17, v14 op_sel:[0,1,0]
	v_pk_fma_f16 v16, v83, v17, v16 op_sel:[0,1,0]
	;; [unrolled: 16-line block ×3, first 2 shown]
	v_pk_fma_f16 v108, v8, v18, v17 op_sel:[0,1,0]
	v_pk_fma_f16 v109, v9, v18, v19 op_sel:[0,1,0]
	;; [unrolled: 1-line block ×4, first 2 shown]
	s_waitcnt vmcnt(1)
	ds_store_b128 v35, v[44:47]
	s_waitcnt vmcnt(0)
	ds_store_b128 v36, v[100:103]
	s_waitcnt lgkmcnt(0)
	s_barrier
	buffer_gl0_inv
	ds_load_2addr_b64 v[8:11], v37 offset1:32
	ds_load_2addr_b64 v[12:15], v37 offset0:64 offset1:96
	ds_load_b128 v[16:19], v33 offset:112
	ds_load_2addr_b64 v[44:47], v37 offset0:128 offset1:160
	ds_load_2addr_b64 v[48:51], v37 offset0:192 offset1:224
	ds_load_2addr_b64 v[52:55], v41 offset1:32
	ds_load_2addr_b64 v[56:59], v41 offset0:64 offset1:96
	ds_load_2addr_b64 v[60:63], v41 offset0:128 offset1:160
	ds_load_2addr_b64 v[64:67], v41 offset0:192 offset1:224
	ds_load_2addr_b64 v[68:71], v42 offset1:32
	ds_load_2addr_b64 v[72:75], v42 offset0:64 offset1:96
	;; [unrolled: 4-line block ×3, first 2 shown]
	ds_load_2addr_b64 v[92:95], v43 offset0:128 offset1:160
	ds_load_2addr_b64 v[96:99], v43 offset0:192 offset1:224
	s_waitcnt lgkmcnt(0)
	s_barrier
	buffer_gl0_inv
	s_load_b32 s2, s[8:9], 0x4
	v_pk_fma_f16 v8, v8, v16, v104 op_sel_hi:[1,0,1]
	v_pk_fma_f16 v9, v9, v16, v105 op_sel_hi:[1,0,1]
	v_pk_fma_f16 v10, v10, v16, v106 op_sel_hi:[1,0,1]
	v_pk_fma_f16 v11, v11, v16, v107 op_sel_hi:[1,0,1]
	v_pk_fma_f16 v12, v12, v16, v108 op_sel_hi:[1,0,1]
	v_pk_fma_f16 v13, v13, v16, v109 op_sel_hi:[1,0,1]
	v_pk_fma_f16 v14, v14, v16, v110 op_sel_hi:[1,0,1]
	v_pk_fma_f16 v15, v15, v16, v111 op_sel_hi:[1,0,1]
	v_pk_fma_f16 v8, v44, v16, v8 op_sel:[0,1,0]
	v_pk_fma_f16 v9, v45, v16, v9 op_sel:[0,1,0]
	v_pk_fma_f16 v10, v46, v16, v10 op_sel:[0,1,0]
	v_pk_fma_f16 v11, v47, v16, v11 op_sel:[0,1,0]
	v_pk_fma_f16 v12, v48, v16, v12 op_sel:[0,1,0]
	v_pk_fma_f16 v13, v49, v16, v13 op_sel:[0,1,0]
	v_pk_fma_f16 v14, v50, v16, v14 op_sel:[0,1,0]
	v_pk_fma_f16 v15, v51, v16, v15 op_sel:[0,1,0]
	v_pk_fma_f16 v8, v52, v17, v8 op_sel_hi:[1,0,1]
	v_pk_fma_f16 v9, v53, v17, v9 op_sel_hi:[1,0,1]
	v_pk_fma_f16 v10, v54, v17, v10 op_sel_hi:[1,0,1]
	v_pk_fma_f16 v11, v55, v17, v11 op_sel_hi:[1,0,1]
	v_pk_fma_f16 v12, v56, v17, v12 op_sel_hi:[1,0,1]
	v_pk_fma_f16 v13, v57, v17, v13 op_sel_hi:[1,0,1]
	v_pk_fma_f16 v14, v58, v17, v14 op_sel_hi:[1,0,1]
	v_pk_fma_f16 v15, v59, v17, v15 op_sel_hi:[1,0,1]
	v_pk_fma_f16 v8, v60, v17, v8 op_sel:[0,1,0]
	v_pk_fma_f16 v9, v61, v17, v9 op_sel:[0,1,0]
	v_pk_fma_f16 v10, v62, v17, v10 op_sel:[0,1,0]
	v_pk_fma_f16 v11, v63, v17, v11 op_sel:[0,1,0]
	v_pk_fma_f16 v12, v64, v17, v12 op_sel:[0,1,0]
	v_pk_fma_f16 v13, v65, v17, v13 op_sel:[0,1,0]
	v_pk_fma_f16 v14, v66, v17, v14 op_sel:[0,1,0]
	v_pk_fma_f16 v15, v67, v17, v15 op_sel:[0,1,0]
	;; [unrolled: 16-line block ×3, first 2 shown]
	v_pk_fma_f16 v8, v84, v19, v8 op_sel_hi:[1,0,1]
	v_pk_fma_f16 v9, v85, v19, v9 op_sel_hi:[1,0,1]
	;; [unrolled: 1-line block ×8, first 2 shown]
	s_waitcnt lgkmcnt(0)
	s_lshl_b32 s2, s2, 6
	v_pk_fma_f16 v48, v92, v19, v8 op_sel:[0,1,0]
	v_pk_fma_f16 v49, v93, v19, v9 op_sel:[0,1,0]
	;; [unrolled: 1-line block ×8, first 2 shown]
	s_add_i32 s16, s2, s16
	s_delay_alu instid0(SALU_CYCLE_1)
	s_cmp_lt_i32 s16, s34
	s_cbranch_scc1 .LBB17_11
; %bb.12:
	v_dual_mov_b32 v2, 32 :: v_dual_mov_b32 v3, v22
.LBB17_13:
	s_delay_alu instid0(VALU_DEP_1)
	v_cmp_lt_i32_e32 vcc_lo, v27, v2
	s_cmp_eq_u64 s[24:25], 0
	s_cselect_b32 s2, -1, 0
	s_cmp_lg_u32 s14, 0
	v_cndmask_b32_e32 v4, v3, v27, vcc_lo
	v_cmp_lt_i32_e32 vcc_lo, v26, v2
	s_cselect_b32 s3, -1, 0
	s_delay_alu instid0(SALU_CYCLE_1) | instskip(SKIP_2) | instid1(VALU_DEP_2)
	s_or_b32 s2, s3, s2
	v_cndmask_b32_e32 v5, v3, v26, vcc_lo
	v_cmp_lt_i32_e32 vcc_lo, v25, v2
	v_lshlrev_b32_e32 v5, 2, v5
	v_lshlrev_b32_e32 v4, 2, v4
	v_cndmask_b32_e32 v6, v3, v25, vcc_lo
	v_cmp_lt_i32_e32 vcc_lo, v24, v2
	ds_bpermute_b32 v4, v4, v28
	v_lshlrev_b32_e32 v6, 2, v6
	s_waitcnt lgkmcnt(0)
	v_add_f32_e32 v4, v28, v4
	ds_bpermute_b32 v5, v5, v4
	s_waitcnt lgkmcnt(0)
	v_add_f32_e32 v4, v4, v5
	ds_bpermute_b32 v5, v6, v4
	v_cndmask_b32_e32 v6, v3, v24, vcc_lo
	v_cmp_lt_i32_e32 vcc_lo, v23, v2
	s_delay_alu instid0(VALU_DEP_2) | instskip(SKIP_2) | instid1(VALU_DEP_1)
	v_lshlrev_b32_e32 v6, 2, v6
	v_cndmask_b32_e32 v2, v3, v23, vcc_lo
	s_and_b32 vcc_lo, exec_lo, s2
	v_lshlrev_b32_e32 v2, 2, v2
	s_waitcnt lgkmcnt(0)
	v_add_f32_e32 v4, v4, v5
	ds_bpermute_b32 v5, v6, v4
	s_waitcnt lgkmcnt(0)
	v_add_f32_e32 v3, v4, v5
	ds_bpermute_b32 v2, v2, v3
	s_waitcnt lgkmcnt(0)
	v_add_f32_e32 v8, v3, v2
	s_cbranch_vccnz .LBB17_15
; %bb.14:
	v_add_nc_u32_e32 v2, s15, v20
	s_delay_alu instid0(VALU_DEP_1) | instskip(NEXT) | instid1(VALU_DEP_1)
	v_ashrrev_i32_e32 v3, 31, v2
	v_lshlrev_b64 v[2:3], 2, v[2:3]
	s_delay_alu instid0(VALU_DEP_1) | instskip(NEXT) | instid1(VALU_DEP_2)
	v_add_co_u32 v2, vcc_lo, s24, v2
	v_add_co_ci_u32_e32 v3, vcc_lo, s25, v3, vcc_lo
	global_load_b32 v2, v[2:3], off
	s_waitcnt vmcnt(0)
	v_dual_max_f32 v3, v7, v7 :: v_dual_max_f32 v4, v2, v2
	s_delay_alu instid0(VALU_DEP_1) | instskip(NEXT) | instid1(VALU_DEP_1)
	v_max_f32_e32 v3, v3, v4
	v_sub_f32_e32 v2, v2, v3
	s_delay_alu instid0(VALU_DEP_1) | instskip(SKIP_1) | instid1(VALU_DEP_2)
	v_mul_f32_e32 v6, 0x3fb8aa3b, v2
	v_sub_f32_e32 v4, v7, v3
	v_rndne_f32_e32 v11, v6
	s_delay_alu instid0(VALU_DEP_2) | instskip(SKIP_2) | instid1(VALU_DEP_4)
	v_mul_f32_e32 v5, 0x3fb8aa3b, v4
	v_fma_f32 v10, 0x3fb8aa3b, v2, -v6
	v_cmp_ngt_f32_e32 vcc_lo, 0xc2ce8ed0, v4
	v_sub_f32_e32 v6, v6, v11
	s_delay_alu instid0(VALU_DEP_4) | instskip(SKIP_1) | instid1(VALU_DEP_2)
	v_fma_f32 v7, 0x3fb8aa3b, v4, -v5
	v_rndne_f32_e32 v9, v5
	v_dual_fmac_f32 v10, 0x32a5705f, v2 :: v_dual_fmac_f32 v7, 0x32a5705f, v4
	s_delay_alu instid0(VALU_DEP_2) | instskip(NEXT) | instid1(VALU_DEP_1)
	v_sub_f32_e32 v5, v5, v9
	v_add_f32_e32 v5, v5, v7
	v_cvt_i32_f32_e32 v7, v9
	v_cvt_i32_f32_e32 v9, v11
	s_delay_alu instid0(VALU_DEP_3) | instskip(SKIP_3) | instid1(VALU_DEP_2)
	v_exp_f32_e32 v5, v5
	s_waitcnt_depctr 0xfff
	v_ldexp_f32 v5, v5, v7
	v_dual_mov_b32 v7, v3 :: v_dual_add_f32 v6, v6, v10
	v_cndmask_b32_e32 v5, 0, v5, vcc_lo
	v_cmp_ngt_f32_e32 vcc_lo, 0xc2ce8ed0, v2
	s_delay_alu instid0(VALU_DEP_3) | instskip(SKIP_2) | instid1(VALU_DEP_1)
	v_exp_f32_e32 v6, v6
	s_waitcnt_depctr 0xfff
	v_ldexp_f32 v6, v6, v9
	v_cndmask_b32_e32 v6, 0, v6, vcc_lo
	v_cmp_nlt_f32_e32 vcc_lo, 0x42b17218, v4
	v_cndmask_b32_e32 v4, 0x7f800000, v5, vcc_lo
	v_cmp_nlt_f32_e32 vcc_lo, 0x42b17218, v2
	s_delay_alu instid0(VALU_DEP_2) | instskip(SKIP_1) | instid1(VALU_DEP_2)
	v_cvt_f16_f32_e32 v5, v4
	v_cndmask_b32_e32 v2, 0x7f800000, v6, vcc_lo
	v_pk_mul_f16 v48, v5, v48 op_sel_hi:[0,1]
	s_delay_alu instid0(VALU_DEP_2)
	v_fmac_f32_e32 v2, v8, v4
	v_pk_mul_f16 v49, v5, v49 op_sel_hi:[0,1]
	v_pk_mul_f16 v50, v5, v50 op_sel_hi:[0,1]
	;; [unrolled: 1-line block ×7, first 2 shown]
	v_mov_b32_e32 v8, v2
.LBB17_15:
	s_mov_b32 s2, exec_lo
	v_cmpx_gt_i32_e64 s10, v1
	s_cbranch_execz .LBB17_18
; %bb.16:
	s_delay_alu instid0(VALU_DEP_2) | instskip(SKIP_2) | instid1(VALU_DEP_2)
	v_div_scale_f32 v4, null, v8, v8, 1.0
	v_mad_u64_u32 v[2:3], null, s33, s10, v[1:2]
	s_load_b32 s0, s[0:1], 0xd4
	v_rcp_f32_e32 v5, v4
	v_div_scale_f32 v3, vcc_lo, 1.0, v8, 1.0
	v_lshrrev_b32_e32 v6, 16, v49
	v_lshrrev_b32_e32 v10, 16, v48
	s_delay_alu instid0(VALU_DEP_4) | instskip(SKIP_4) | instid1(TRANS32_DEP_1)
	v_mul_lo_u32 v2, v2, s11
	v_lshrrev_b32_e32 v12, 16, v51
	v_cvt_f32_f16_e32 v9, v49
	v_cvt_f32_f16_e32 v6, v6
	;; [unrolled: 1-line block ×3, first 2 shown]
	v_fma_f32 v1, -v4, v5, 1.0
	v_cvt_f32_f16_e32 v11, v48
	v_cvt_f32_f16_e32 v15, v51
	v_add3_u32 v13, s15, v20, v2
	v_lshrrev_b32_e32 v16, 16, v50
	v_dual_fmac_f32 v5, v1, v5 :: v_dual_mov_b32 v18, 0
	v_lshrrev_b32_e32 v19, 16, v47
	v_cvt_f32_f16_e32 v12, v12
	s_waitcnt lgkmcnt(0)
	v_mad_u64_u32 v[1:2], null, s0, v13, s[14:15]
	v_mul_f32_e32 v14, v3, v5
	s_cmp_lg_u32 s0, 1
	v_cvt_f32_f16_e32 v13, v50
	s_cselect_b32 s1, -1, 0
	v_lshrrev_b32_e32 v20, 16, v46
	v_fma_f32 v2, -v4, v14, v3
	v_lshl_add_u32 v17, v1, 9, v21
	v_cvt_f32_f16_e32 v16, v16
	v_cvt_f32_f16_e32 v19, v19
	v_lshrrev_b32_e32 v27, 16, v45
	v_fmac_f32_e32 v14, v2, v5
	v_cvt_f32_f16_e32 v25, v20
	v_cvt_f32_f16_e32 v26, v46
	;; [unrolled: 1-line block ×4, first 2 shown]
	v_fma_f32 v4, -v4, v14, v3
	v_mov_b32_e32 v3, v18
	s_delay_alu instid0(VALU_DEP_2) | instskip(SKIP_1) | instid1(VALU_DEP_2)
	v_div_fmas_f32 v14, v4, v5, v14
	v_lshlrev_b64 v[4:5], 2, v[17:18]
	v_div_fixup_f32 v14, v14, v8, 1.0
	s_delay_alu instid0(VALU_DEP_2) | instskip(NEXT) | instid1(VALU_DEP_3)
	v_add_co_u32 v21, vcc_lo, s28, v4
	v_add_co_ci_u32_e32 v22, vcc_lo, s29, v5, vcc_lo
	s_delay_alu instid0(VALU_DEP_3) | instskip(SKIP_2) | instid1(VALU_DEP_3)
	v_cndmask_b32_e64 v29, v14, 1.0, s1
	v_add_nc_u32_e32 v2, 0x80, v17
	v_mov_b32_e32 v14, v18
	v_mul_f32_e32 v4, v29, v9
	s_delay_alu instid0(VALU_DEP_3)
	v_lshlrev_b64 v[2:3], 2, v[2:3]
	v_mul_f32_e32 v9, v29, v13
	v_add_nc_u32_e32 v13, 0x100, v17
	v_mul_f32_e32 v5, v29, v6
	v_cvt_f32_f16_e32 v6, v47
	v_dual_mul_f32 v12, v29, v12 :: v_dual_add_nc_u32 v17, 0x180, v17
	v_add_co_u32 v23, vcc_lo, s28, v2
	v_mul_f32_e32 v2, v29, v11
	v_mul_f32_e32 v11, v29, v15
	v_add_co_ci_u32_e32 v24, vcc_lo, s29, v3, vcc_lo
	v_mul_f32_e32 v3, v29, v10
	v_mul_f32_e32 v10, v29, v16
	;; [unrolled: 1-line block ×3, first 2 shown]
	v_lshlrev_b64 v[19:20], 2, v[13:14]
	v_mul_f32_e32 v15, v29, v6
	v_lshrrev_b32_e32 v6, 16, v44
	v_lshlrev_b64 v[27:28], 2, v[17:18]
	v_mul_f32_e32 v14, v29, v25
	v_mul_f32_e32 v13, v29, v26
	v_add_co_u32 v25, vcc_lo, s28, v19
	v_cvt_f32_f16_e32 v6, v6
	v_cvt_f32_f16_e32 v19, v44
	v_add_co_ci_u32_e32 v26, vcc_lo, s29, v20, vcc_lo
	v_cmp_eq_u32_e32 vcc_lo, 0, v0
	v_add_co_u32 v27, s0, s28, v27
	v_mul_f32_e32 v20, v29, v6
	v_mul_f32_e32 v19, v29, v19
	;; [unrolled: 1-line block ×4, first 2 shown]
	v_add_co_ci_u32_e64 v28, s0, s29, v28, s0
	s_and_b32 s0, vcc_lo, s1
	s_clause 0x3
	global_store_b128 v[21:22], v[2:5], off
	global_store_b128 v[23:24], v[9:12], off
	global_store_b128 v[25:26], v[13:16], off
	global_store_b128 v[27:28], v[17:20], off
	s_and_b32 exec_lo, exec_lo, s0
	s_cbranch_execz .LBB17_18
; %bb.17:
	v_ashrrev_i32_e32 v2, 31, v1
	s_delay_alu instid0(VALU_DEP_1) | instskip(NEXT) | instid1(VALU_DEP_1)
	v_lshlrev_b64 v[0:1], 3, v[1:2]
	v_add_co_u32 v0, vcc_lo, s30, v0
	s_delay_alu instid0(VALU_DEP_2)
	v_add_co_ci_u32_e32 v1, vcc_lo, s31, v1, vcc_lo
	global_store_b64 v[0:1], v[7:8], off
.LBB17_18:
	s_nop 0
	s_sendmsg sendmsg(MSG_DEALLOC_VGPRS)
	s_endpgm
	.section	.rodata,"a",@progbits
	.p2align	6, 0x0
	.amdhsa_kernel _ZL15flash_attn_tileILi576ELi512ELi2ELi4ELb0EEvPKcS1_S1_S1_S1_PKiPfP15HIP_vector_typeIfLj2EEffffjfiS5_IjLj3EEiiiiiiiiiiiliiliiiiil
		.amdhsa_group_segment_fixed_size 19456
		.amdhsa_private_segment_fixed_size 0
		.amdhsa_kernarg_size 464
		.amdhsa_user_sgpr_count 13
		.amdhsa_user_sgpr_dispatch_ptr 0
		.amdhsa_user_sgpr_queue_ptr 0
		.amdhsa_user_sgpr_kernarg_segment_ptr 1
		.amdhsa_user_sgpr_dispatch_id 0
		.amdhsa_user_sgpr_private_segment_size 0
		.amdhsa_wavefront_size32 1
		.amdhsa_uses_dynamic_stack 0
		.amdhsa_enable_private_segment 0
		.amdhsa_system_sgpr_workgroup_id_x 1
		.amdhsa_system_sgpr_workgroup_id_y 1
		.amdhsa_system_sgpr_workgroup_id_z 1
		.amdhsa_system_sgpr_workgroup_info 0
		.amdhsa_system_vgpr_workitem_id 1
		.amdhsa_next_free_vgpr 114
		.amdhsa_next_free_sgpr 40
		.amdhsa_reserve_vcc 1
		.amdhsa_float_round_mode_32 0
		.amdhsa_float_round_mode_16_64 0
		.amdhsa_float_denorm_mode_32 3
		.amdhsa_float_denorm_mode_16_64 3
		.amdhsa_dx10_clamp 1
		.amdhsa_ieee_mode 1
		.amdhsa_fp16_overflow 0
		.amdhsa_workgroup_processor_mode 1
		.amdhsa_memory_ordered 1
		.amdhsa_forward_progress 0
		.amdhsa_shared_vgpr_count 0
		.amdhsa_exception_fp_ieee_invalid_op 0
		.amdhsa_exception_fp_denorm_src 0
		.amdhsa_exception_fp_ieee_div_zero 0
		.amdhsa_exception_fp_ieee_overflow 0
		.amdhsa_exception_fp_ieee_underflow 0
		.amdhsa_exception_fp_ieee_inexact 0
		.amdhsa_exception_int_div_zero 0
	.end_amdhsa_kernel
	.section	.text._ZL15flash_attn_tileILi576ELi512ELi2ELi4ELb0EEvPKcS1_S1_S1_S1_PKiPfP15HIP_vector_typeIfLj2EEffffjfiS5_IjLj3EEiiiiiiiiiiiliiliiiiil,"axG",@progbits,_ZL15flash_attn_tileILi576ELi512ELi2ELi4ELb0EEvPKcS1_S1_S1_S1_PKiPfP15HIP_vector_typeIfLj2EEffffjfiS5_IjLj3EEiiiiiiiiiiiliiliiiiil,comdat
.Lfunc_end17:
	.size	_ZL15flash_attn_tileILi576ELi512ELi2ELi4ELb0EEvPKcS1_S1_S1_S1_PKiPfP15HIP_vector_typeIfLj2EEffffjfiS5_IjLj3EEiiiiiiiiiiiliiliiiiil, .Lfunc_end17-_ZL15flash_attn_tileILi576ELi512ELi2ELi4ELb0EEvPKcS1_S1_S1_S1_PKiPfP15HIP_vector_typeIfLj2EEffffjfiS5_IjLj3EEiiiiiiiiiiiliiliiiiil
                                        ; -- End function
	.section	.AMDGPU.csdata,"",@progbits
; Kernel info:
; codeLenInByte = 24428
; NumSgprs: 42
; NumVgprs: 114
; ScratchSize: 0
; MemoryBound: 0
; FloatMode: 240
; IeeeMode: 1
; LDSByteSize: 19456 bytes/workgroup (compile time only)
; SGPRBlocks: 5
; VGPRBlocks: 14
; NumSGPRsForWavesPerEU: 42
; NumVGPRsForWavesPerEU: 114
; Occupancy: 12
; WaveLimiterHint : 1
; COMPUTE_PGM_RSRC2:SCRATCH_EN: 0
; COMPUTE_PGM_RSRC2:USER_SGPR: 13
; COMPUTE_PGM_RSRC2:TRAP_HANDLER: 0
; COMPUTE_PGM_RSRC2:TGID_X_EN: 1
; COMPUTE_PGM_RSRC2:TGID_Y_EN: 1
; COMPUTE_PGM_RSRC2:TGID_Z_EN: 1
; COMPUTE_PGM_RSRC2:TIDIG_COMP_CNT: 1
	.section	.text._ZL33flash_attn_stream_k_fixup_uniformILi512ELi2ELi4EEvPfPK15HIP_vector_typeIfLj2EEiiiiiiS1_IjLj3EES5_S5_,"axG",@progbits,_ZL33flash_attn_stream_k_fixup_uniformILi512ELi2ELi4EEvPfPK15HIP_vector_typeIfLj2EEiiiiiiS1_IjLj3EES5_S5_,comdat
	.globl	_ZL33flash_attn_stream_k_fixup_uniformILi512ELi2ELi4EEvPfPK15HIP_vector_typeIfLj2EEiiiiiiS1_IjLj3EES5_S5_ ; -- Begin function _ZL33flash_attn_stream_k_fixup_uniformILi512ELi2ELi4EEvPfPK15HIP_vector_typeIfLj2EEiiiiiiS1_IjLj3EES5_S5_
	.p2align	8
	.type	_ZL33flash_attn_stream_k_fixup_uniformILi512ELi2ELi4EEvPfPK15HIP_vector_typeIfLj2EEiiiiiiS1_IjLj3EES5_S5_,@function
_ZL33flash_attn_stream_k_fixup_uniformILi512ELi2ELi4EEvPfPK15HIP_vector_typeIfLj2EEiiiiiiS1_IjLj3EES5_S5_: ; @_ZL33flash_attn_stream_k_fixup_uniformILi512ELi2ELi4EEvPfPK15HIP_vector_typeIfLj2EEiiiiiiS1_IjLj3EES5_S5_
; %bb.0:
	s_clause 0x1
	s_load_b256 s[4:11], s[0:1], 0x1c
	s_load_b128 s[16:19], s[0:1], 0x3c
	s_waitcnt lgkmcnt(0)
	s_mul_hi_u32 s2, s7, s13
	s_delay_alu instid0(SALU_CYCLE_1) | instskip(NEXT) | instid1(SALU_CYCLE_1)
	s_add_i32 s2, s13, s2
	s_lshr_b32 s2, s2, s8
	s_delay_alu instid0(SALU_CYCLE_1) | instskip(SKIP_2) | instid1(SALU_CYCLE_1)
	s_mul_i32 s3, s2, s9
	s_load_b64 s[8:9], s[0:1], 0x10
	s_sub_i32 s7, s13, s3
	s_mul_hi_u32 s3, s7, s10
	s_delay_alu instid0(SALU_CYCLE_1) | instskip(NEXT) | instid1(SALU_CYCLE_1)
	s_add_i32 s3, s7, s3
	s_lshr_b32 s3, s3, s11
	s_delay_alu instid0(SALU_CYCLE_1) | instskip(NEXT) | instid1(SALU_CYCLE_1)
	s_mul_i32 s10, s3, s16
	s_sub_i32 s7, s7, s10
	s_delay_alu instid0(SALU_CYCLE_1) | instskip(NEXT) | instid1(SALU_CYCLE_1)
	s_mul_hi_u32 s10, s7, s17
	s_add_i32 s10, s7, s10
	s_delay_alu instid0(SALU_CYCLE_1) | instskip(NEXT) | instid1(SALU_CYCLE_1)
	s_lshr_b32 s10, s10, s18
	s_mul_i32 s11, s10, s19
	s_lshl_b32 s10, s10, 2
	s_sub_i32 s7, s7, s11
	s_delay_alu instid0(SALU_CYCLE_1) | instskip(NEXT) | instid1(SALU_CYCLE_1)
	s_lshl_b32 s11, s7, 1
	s_add_i32 s11, s11, s14
	s_waitcnt lgkmcnt(0)
	s_cmp_lt_i32 s11, s8
	s_cselect_b32 s11, -1, 0
	s_add_i32 s12, s10, s15
	s_delay_alu instid0(SALU_CYCLE_1) | instskip(SKIP_1) | instid1(SALU_CYCLE_1)
	s_cmp_lt_i32 s12, s5
	s_cselect_b32 s12, -1, 0
	s_and_b32 s11, s11, s12
	s_delay_alu instid0(SALU_CYCLE_1)
	s_and_not1_b32 vcc_lo, exec_lo, s11
	s_cbranch_vccnz .LBB18_6
; %bb.1:
	s_mul_i32 s2, s2, s8
	s_mul_i32 s5, s3, s5
	s_add_i32 s2, s2, s14
	s_mul_i32 s7, s9, s7
	s_mul_i32 s2, s2, s9
	s_lshl_b32 s7, s7, 10
	s_add_i32 s8, s2, s15
	s_load_b128 s[0:3], s[0:1], 0x0
	s_add_i32 s5, s8, s5
	s_lshl_b32 s9, s14, 2
	s_add_i32 s5, s5, s10
	s_delay_alu instid0(SALU_CYCLE_1) | instskip(NEXT) | instid1(SALU_CYCLE_1)
	s_lshl_b32 s5, s5, 9
	s_add_i32 s7, s7, s5
	s_mul_i32 s5, s13, s6
	v_or_b32_e32 v1, s7, v0
	s_add_i32 s10, s5, s6
	s_delay_alu instid0(VALU_DEP_1) | instskip(NEXT) | instid1(VALU_DEP_1)
	v_ashrrev_i32_e32 v2, 31, v1
	v_lshlrev_b64 v[1:2], 2, v[1:2]
	s_waitcnt lgkmcnt(0)
	s_delay_alu instid0(VALU_DEP_1) | instskip(NEXT) | instid1(VALU_DEP_2)
	v_add_co_u32 v1, vcc_lo, s0, v1
	v_add_co_ci_u32_e32 v2, vcc_lo, s1, v2, vcc_lo
	s_add_i32 s0, s9, s15
	s_lshl_b32 s1, s10, 3
	s_delay_alu instid0(SALU_CYCLE_1) | instskip(SKIP_2) | instid1(SALU_CYCLE_1)
	s_add_i32 s0, s0, s1
	global_load_b32 v5, v[1:2], off
	s_add_i32 s0, s0, -8
	s_ashr_i32 s1, s0, 31
	s_delay_alu instid0(SALU_CYCLE_1) | instskip(NEXT) | instid1(SALU_CYCLE_1)
	s_lshl_b64 s[0:1], s[0:1], 3
	s_add_u32 s0, s2, s0
	s_addc_u32 s1, s3, s1
	s_add_i32 s7, s10, -2
	s_load_b32 s11, s[0:1], 0x4
	s_cmp_lt_i32 s7, s5
	s_cbranch_scc1 .LBB18_4
; %bb.2:
	s_lshl_b32 s16, s4, 5
	s_load_b32 s12, s[0:1], 0x0
	s_ashr_i32 s17, s16, 31
	s_delay_alu instid0(SALU_CYCLE_1) | instskip(NEXT) | instid1(SALU_CYCLE_1)
	s_lshl_b64 s[0:1], s[16:17], 2
	s_add_u32 s7, s2, s0
	s_addc_u32 s8, s3, s1
	s_add_i32 s13, s13, 1
	s_lshl_b32 s0, s14, 11
	s_lshl_b32 s1, s15, 9
	s_mul_i32 s6, s6, s13
	s_add_i32 s0, s1, s0
	s_lshl_b32 s1, s6, 12
	s_delay_alu instid0(SALU_CYCLE_1)
	s_add_i32 s0, s0, s1
	s_lshl_b32 s1, s6, 3
	v_or_b32_e32 v0, s0, v0
	s_lshl_b32 s0, s4, 3
	s_add_i32 s1, s15, s1
	s_waitcnt lgkmcnt(0)
	v_mov_b32_e32 v6, s11
	s_add_i32 s0, s1, s0
	v_dual_mov_b32 v0, s12 :: v_dual_add_nc_u32 v3, 0xffffe000, v0
	s_add_i32 s0, s0, s9
	s_add_i32 s4, s10, -1
	s_add_i32 s0, s0, -16
.LBB18_3:                               ; =>This Inner Loop Header: Depth=1
	s_delay_alu instid0(VALU_DEP_1) | instskip(SKIP_1) | instid1(SALU_CYCLE_1)
	v_ashrrev_i32_e32 v4, 31, v3
	s_ashr_i32 s1, s0, 31
	s_lshl_b64 s[10:11], s[0:1], 3
	s_delay_alu instid0(SALU_CYCLE_1) | instskip(NEXT) | instid1(VALU_DEP_1)
	s_add_u32 s10, s2, s10
	v_lshlrev_b64 v[7:8], 2, v[3:4]
	s_addc_u32 s11, s3, s11
	s_add_i32 s4, s4, -1
	s_add_i32 s0, s0, -8
	s_cmp_le_i32 s4, s5
	s_load_b64 s[10:11], s[10:11], 0x0
	v_add_co_u32 v7, vcc_lo, s7, v7
	v_add_co_ci_u32_e32 v8, vcc_lo, s8, v8, vcc_lo
	global_load_b32 v4, v[7:8], off
	v_max_f32_e32 v7, v0, v0
	s_waitcnt lgkmcnt(0)
	v_max_f32_e64 v8, s10, s10
	s_delay_alu instid0(VALU_DEP_1) | instskip(NEXT) | instid1(VALU_DEP_1)
	v_max_f32_e32 v7, v7, v8
	v_sub_f32_e32 v8, s10, v7
	s_delay_alu instid0(VALU_DEP_1) | instskip(NEXT) | instid1(VALU_DEP_1)
	v_dual_sub_f32 v0, v0, v7 :: v_dual_mul_f32 v9, 0x3fb8aa3b, v8
	v_fma_f32 v10, 0x3fb8aa3b, v8, -v9
	v_rndne_f32_e32 v11, v9
	s_delay_alu instid0(VALU_DEP_3) | instskip(NEXT) | instid1(VALU_DEP_2)
	v_mul_f32_e32 v12, 0x3fb8aa3b, v0
	v_dual_fmac_f32 v10, 0x32a5705f, v8 :: v_dual_sub_f32 v9, v9, v11
	v_cvt_i32_f32_e32 v11, v11
	s_delay_alu instid0(VALU_DEP_3) | instskip(SKIP_1) | instid1(VALU_DEP_4)
	v_fma_f32 v13, 0x3fb8aa3b, v0, -v12
	v_rndne_f32_e32 v14, v12
	v_add_f32_e32 v9, v9, v10
	v_cmp_ngt_f32_e32 vcc_lo, 0xc2ce8ed0, v8
	s_delay_alu instid0(VALU_DEP_3) | instskip(NEXT) | instid1(VALU_DEP_3)
	v_sub_f32_e32 v10, v12, v14
	v_exp_f32_e32 v9, v9
	s_waitcnt_depctr 0xfff
	v_ldexp_f32 v9, v9, v11
	v_cvt_i32_f32_e32 v11, v14
	s_delay_alu instid0(VALU_DEP_2) | instskip(SKIP_1) | instid1(VALU_DEP_2)
	v_cndmask_b32_e32 v9, 0, v9, vcc_lo
	v_cmp_nlt_f32_e32 vcc_lo, 0x42b17218, v8
	v_cndmask_b32_e32 v9, 0x7f800000, v9, vcc_lo
	v_cmp_ngt_f32_e32 vcc_lo, 0xc2ce8ed0, v0
	v_fmac_f32_e32 v13, 0x32a5705f, v0
	s_delay_alu instid0(VALU_DEP_1) | instskip(NEXT) | instid1(VALU_DEP_1)
	v_add_f32_e32 v10, v10, v13
	v_exp_f32_e32 v10, v10
	s_waitcnt_depctr 0xfff
	v_ldexp_f32 v10, v10, v11
	s_delay_alu instid0(VALU_DEP_1)
	v_dual_mov_b32 v11, v6 :: v_dual_cndmask_b32 v10, 0, v10
	v_cmp_le_f32_e32 vcc_lo, 0xc1a00000, v8
	s_waitcnt vmcnt(1)
	v_dual_cndmask_b32 v8, 0, v9 :: v_dual_mov_b32 v9, v5
	v_cmp_nlt_f32_e32 vcc_lo, 0x42b17218, v0
	v_cndmask_b32_e32 v5, 0x7f800000, v10, vcc_lo
	s_delay_alu instid0(VALU_DEP_3) | instskip(SKIP_2) | instid1(VALU_DEP_3)
	v_mul_f32_e32 v10, s11, v8
	v_cmp_le_f32_e32 vcc_lo, 0xc1a00000, v0
	v_mov_b32_e32 v0, v7
	v_mov_b32_e32 v6, v10
	s_waitcnt vmcnt(0)
	v_dual_cndmask_b32 v12, 0, v5 :: v_dual_mul_f32 v5, v4, v8
	s_delay_alu instid0(VALU_DEP_1) | instskip(NEXT) | instid1(VALU_DEP_2)
	v_dual_fmac_f32 v6, v11, v12 :: v_dual_add_nc_u32 v3, 0xfffff000, v3
	v_fmac_f32_e32 v5, v9, v12
	s_cbranch_scc0 .LBB18_3
	s_branch .LBB18_5
.LBB18_4:
	s_waitcnt lgkmcnt(0)
	v_mov_b32_e32 v6, s11
.LBB18_5:
	s_waitcnt vmcnt(0)
	s_delay_alu instid0(VALU_DEP_1) | instskip(NEXT) | instid1(VALU_DEP_1)
	v_div_scale_f32 v0, null, v6, v6, v5
	v_rcp_f32_e32 v3, v0
	s_waitcnt_depctr 0xfff
	v_fma_f32 v4, -v0, v3, 1.0
	s_delay_alu instid0(VALU_DEP_1) | instskip(SKIP_1) | instid1(VALU_DEP_1)
	v_fmac_f32_e32 v3, v4, v3
	v_div_scale_f32 v4, vcc_lo, v5, v6, v5
	v_mul_f32_e32 v7, v4, v3
	s_delay_alu instid0(VALU_DEP_1) | instskip(NEXT) | instid1(VALU_DEP_1)
	v_fma_f32 v8, -v0, v7, v4
	v_fmac_f32_e32 v7, v8, v3
	s_delay_alu instid0(VALU_DEP_1) | instskip(NEXT) | instid1(VALU_DEP_1)
	v_fma_f32 v0, -v0, v7, v4
	v_div_fmas_f32 v0, v0, v3, v7
	s_delay_alu instid0(VALU_DEP_1)
	v_div_fixup_f32 v0, v0, v6, v5
	global_store_b32 v[1:2], v0, off
.LBB18_6:
	s_nop 0
	s_sendmsg sendmsg(MSG_DEALLOC_VGPRS)
	s_endpgm
	.section	.rodata,"a",@progbits
	.p2align	6, 0x0
	.amdhsa_kernel _ZL33flash_attn_stream_k_fixup_uniformILi512ELi2ELi4EEvPfPK15HIP_vector_typeIfLj2EEiiiiiiS1_IjLj3EES5_S5_
		.amdhsa_group_segment_fixed_size 0
		.amdhsa_private_segment_fixed_size 0
		.amdhsa_kernarg_size 76
		.amdhsa_user_sgpr_count 13
		.amdhsa_user_sgpr_dispatch_ptr 0
		.amdhsa_user_sgpr_queue_ptr 0
		.amdhsa_user_sgpr_kernarg_segment_ptr 1
		.amdhsa_user_sgpr_dispatch_id 0
		.amdhsa_user_sgpr_private_segment_size 0
		.amdhsa_wavefront_size32 1
		.amdhsa_uses_dynamic_stack 0
		.amdhsa_enable_private_segment 0
		.amdhsa_system_sgpr_workgroup_id_x 1
		.amdhsa_system_sgpr_workgroup_id_y 1
		.amdhsa_system_sgpr_workgroup_id_z 1
		.amdhsa_system_sgpr_workgroup_info 0
		.amdhsa_system_vgpr_workitem_id 0
		.amdhsa_next_free_vgpr 15
		.amdhsa_next_free_sgpr 20
		.amdhsa_reserve_vcc 1
		.amdhsa_float_round_mode_32 0
		.amdhsa_float_round_mode_16_64 0
		.amdhsa_float_denorm_mode_32 3
		.amdhsa_float_denorm_mode_16_64 3
		.amdhsa_dx10_clamp 1
		.amdhsa_ieee_mode 1
		.amdhsa_fp16_overflow 0
		.amdhsa_workgroup_processor_mode 1
		.amdhsa_memory_ordered 1
		.amdhsa_forward_progress 0
		.amdhsa_shared_vgpr_count 0
		.amdhsa_exception_fp_ieee_invalid_op 0
		.amdhsa_exception_fp_denorm_src 0
		.amdhsa_exception_fp_ieee_div_zero 0
		.amdhsa_exception_fp_ieee_overflow 0
		.amdhsa_exception_fp_ieee_underflow 0
		.amdhsa_exception_fp_ieee_inexact 0
		.amdhsa_exception_int_div_zero 0
	.end_amdhsa_kernel
	.section	.text._ZL33flash_attn_stream_k_fixup_uniformILi512ELi2ELi4EEvPfPK15HIP_vector_typeIfLj2EEiiiiiiS1_IjLj3EES5_S5_,"axG",@progbits,_ZL33flash_attn_stream_k_fixup_uniformILi512ELi2ELi4EEvPfPK15HIP_vector_typeIfLj2EEiiiiiiS1_IjLj3EES5_S5_,comdat
.Lfunc_end18:
	.size	_ZL33flash_attn_stream_k_fixup_uniformILi512ELi2ELi4EEvPfPK15HIP_vector_typeIfLj2EEiiiiiiS1_IjLj3EES5_S5_, .Lfunc_end18-_ZL33flash_attn_stream_k_fixup_uniformILi512ELi2ELi4EEvPfPK15HIP_vector_typeIfLj2EEiiiiiiS1_IjLj3EES5_S5_
                                        ; -- End function
	.section	.AMDGPU.csdata,"",@progbits
; Kernel info:
; codeLenInByte = 996
; NumSgprs: 22
; NumVgprs: 15
; ScratchSize: 0
; MemoryBound: 0
; FloatMode: 240
; IeeeMode: 1
; LDSByteSize: 0 bytes/workgroup (compile time only)
; SGPRBlocks: 2
; VGPRBlocks: 1
; NumSGPRsForWavesPerEU: 22
; NumVGPRsForWavesPerEU: 15
; Occupancy: 16
; WaveLimiterHint : 0
; COMPUTE_PGM_RSRC2:SCRATCH_EN: 0
; COMPUTE_PGM_RSRC2:USER_SGPR: 13
; COMPUTE_PGM_RSRC2:TRAP_HANDLER: 0
; COMPUTE_PGM_RSRC2:TGID_X_EN: 1
; COMPUTE_PGM_RSRC2:TGID_Y_EN: 1
; COMPUTE_PGM_RSRC2:TGID_Z_EN: 1
; COMPUTE_PGM_RSRC2:TIDIG_COMP_CNT: 0
	.section	.text._ZL33flash_attn_stream_k_fixup_generalILi512ELi2ELi4EEvPfPK15HIP_vector_typeIfLj2EEiiiiS1_IjLj3EES5_S5_S5_,"axG",@progbits,_ZL33flash_attn_stream_k_fixup_generalILi512ELi2ELi4EEvPfPK15HIP_vector_typeIfLj2EEiiiiS1_IjLj3EES5_S5_S5_,comdat
	.globl	_ZL33flash_attn_stream_k_fixup_generalILi512ELi2ELi4EEvPfPK15HIP_vector_typeIfLj2EEiiiiS1_IjLj3EES5_S5_S5_ ; -- Begin function _ZL33flash_attn_stream_k_fixup_generalILi512ELi2ELi4EEvPfPK15HIP_vector_typeIfLj2EEiiiiS1_IjLj3EES5_S5_S5_
	.p2align	8
	.type	_ZL33flash_attn_stream_k_fixup_generalILi512ELi2ELi4EEvPfPK15HIP_vector_typeIfLj2EEiiiiS1_IjLj3EES5_S5_S5_,@function
_ZL33flash_attn_stream_k_fixup_generalILi512ELi2ELi4EEvPfPK15HIP_vector_typeIfLj2EEiiiiS1_IjLj3EES5_S5_S5_: ; @_ZL33flash_attn_stream_k_fixup_generalILi512ELi2ELi4EEvPfPK15HIP_vector_typeIfLj2EEiiiiS1_IjLj3EES5_S5_S5_
; %bb.0:
	s_clause 0x1
	s_load_b128 s[4:7], s[0:1], 0x10
	s_load_b32 s20, s[0:1], 0x50
	s_mov_b32 s2, 0
	s_waitcnt lgkmcnt(0)
	s_mul_hi_i32 s3, s7, s13
	s_mul_i32 s12, s7, s13
	s_cmp_lg_u64 s[2:3], 0
	s_cbranch_scc0 .LBB19_21
; %bb.1:
	v_cvt_f32_ubyte0_e32 v1, 0
	v_cvt_f32_u32_e32 v2, s20
	s_sub_u32 s10, 0, s20
	s_subb_u32 s11, 0, 0
	s_delay_alu instid0(VALU_DEP_1) | instskip(NEXT) | instid1(VALU_DEP_1)
	v_fmamk_f32 v1, v1, 0x4f800000, v2
	v_rcp_f32_e32 v1, v1
	s_waitcnt_depctr 0xfff
	v_mul_f32_e32 v1, 0x5f7ffffc, v1
	s_delay_alu instid0(VALU_DEP_1) | instskip(NEXT) | instid1(VALU_DEP_1)
	v_mul_f32_e32 v2, 0x2f800000, v1
	v_trunc_f32_e32 v2, v2
	s_delay_alu instid0(VALU_DEP_1) | instskip(SKIP_1) | instid1(VALU_DEP_2)
	v_fmamk_f32 v1, v2, 0xcf800000, v1
	v_cvt_u32_f32_e32 v2, v2
	v_cvt_u32_f32_e32 v1, v1
	s_delay_alu instid0(VALU_DEP_2) | instskip(NEXT) | instid1(VALU_DEP_2)
	v_readfirstlane_b32 s8, v2
	v_readfirstlane_b32 s9, v1
	s_delay_alu instid0(VALU_DEP_2) | instskip(NEXT) | instid1(VALU_DEP_1)
	s_mul_i32 s16, s10, s8
	s_mul_hi_u32 s18, s10, s9
	s_mul_i32 s17, s11, s9
	s_add_i32 s16, s18, s16
	s_mul_i32 s19, s10, s9
	s_add_i32 s16, s16, s17
	s_mul_hi_u32 s18, s9, s19
	s_mul_hi_u32 s21, s8, s19
	s_mul_i32 s17, s8, s19
	s_mul_hi_u32 s19, s9, s16
	s_mul_i32 s9, s9, s16
	s_mul_hi_u32 s22, s8, s16
	s_add_u32 s9, s18, s9
	s_addc_u32 s18, 0, s19
	s_add_u32 s9, s9, s17
	s_mul_i32 s16, s8, s16
	s_addc_u32 s9, s18, s21
	s_addc_u32 s17, s22, 0
	s_add_u32 s9, s9, s16
	s_addc_u32 s16, 0, s17
	v_add_co_u32 v1, s9, v1, s9
	s_delay_alu instid0(VALU_DEP_1) | instskip(SKIP_1) | instid1(VALU_DEP_1)
	s_cmp_lg_u32 s9, 0
	s_addc_u32 s8, s8, s16
	v_readfirstlane_b32 s9, v1
	s_mul_i32 s16, s10, s8
	s_delay_alu instid0(VALU_DEP_1)
	s_mul_hi_u32 s17, s10, s9
	s_mul_i32 s11, s11, s9
	s_add_i32 s16, s17, s16
	s_mul_i32 s10, s10, s9
	s_add_i32 s16, s16, s11
	s_mul_hi_u32 s17, s8, s10
	s_mul_i32 s18, s8, s10
	s_mul_hi_u32 s10, s9, s10
	s_mul_hi_u32 s19, s9, s16
	s_mul_i32 s9, s9, s16
	s_mul_hi_u32 s11, s8, s16
	s_add_u32 s9, s10, s9
	s_addc_u32 s10, 0, s19
	s_add_u32 s9, s9, s18
	s_mul_i32 s16, s8, s16
	s_addc_u32 s9, s10, s17
	s_addc_u32 s10, s11, 0
	s_add_u32 s9, s9, s16
	s_addc_u32 s10, 0, s10
	v_add_co_u32 v1, s9, v1, s9
	s_delay_alu instid0(VALU_DEP_1) | instskip(SKIP_2) | instid1(SALU_CYCLE_1)
	s_cmp_lg_u32 s9, 0
	s_addc_u32 s16, s8, s10
	s_ashr_i32 s8, s3, 31
	s_add_u32 s10, s12, s8
	s_addc_u32 s11, s3, s8
	v_readfirstlane_b32 s3, v1
	s_mov_b32 s9, s8
	s_delay_alu instid0(SALU_CYCLE_1) | instskip(NEXT) | instid1(SALU_CYCLE_1)
	s_xor_b64 s[10:11], s[10:11], s[8:9]
	s_mul_i32 s18, s10, s16
	s_delay_alu instid0(VALU_DEP_1)
	s_mul_hi_u32 s19, s10, s3
	s_mul_hi_u32 s17, s10, s16
	;; [unrolled: 1-line block ×3, first 2 shown]
	s_mul_i32 s3, s11, s3
	s_add_u32 s18, s19, s18
	s_addc_u32 s17, 0, s17
	s_mul_hi_u32 s21, s11, s16
	s_add_u32 s3, s18, s3
	s_mul_i32 s16, s11, s16
	s_addc_u32 s3, s17, s22
	s_addc_u32 s17, s21, 0
	s_add_u32 s3, s3, s16
	s_addc_u32 s16, 0, s17
	s_mul_i32 s18, s20, s3
	s_add_u32 s17, s3, 1
	v_sub_co_u32 v1, s10, s10, s18
	s_mul_hi_u32 s18, s20, s3
	s_addc_u32 s19, s16, 0
	s_mul_i32 s21, s20, s16
	s_delay_alu instid0(VALU_DEP_1)
	v_sub_co_u32 v2, s22, v1, s20
	s_add_u32 s23, s3, 2
	s_addc_u32 s24, s16, 0
	s_add_i32 s18, s18, s21
	s_cmp_lg_u32 s10, 0
	v_readfirstlane_b32 s10, v2
	s_subb_u32 s11, s11, s18
	s_cmp_lg_u32 s22, 0
	s_subb_u32 s18, s11, 0
	s_delay_alu instid0(VALU_DEP_1) | instskip(SKIP_4) | instid1(SALU_CYCLE_1)
	s_cmp_ge_u32 s10, s20
	s_cselect_b32 s10, -1, 0
	s_cmp_eq_u32 s18, 0
	v_readfirstlane_b32 s18, v1
	s_cselect_b32 s10, s10, -1
	s_cmp_lg_u32 s10, 0
	s_cselect_b32 s10, s23, s17
	s_cselect_b32 s17, s24, s19
	s_cmp_ge_u32 s18, s20
	s_cselect_b32 s18, -1, 0
	s_cmp_eq_u32 s11, 0
	s_cselect_b32 s11, s18, -1
	s_delay_alu instid0(SALU_CYCLE_1) | instskip(SKIP_2) | instid1(SALU_CYCLE_1)
	s_cmp_lg_u32 s11, 0
	s_cselect_b32 s11, s17, s16
	s_cselect_b32 s10, s10, s3
	s_xor_b64 s[10:11], s[10:11], s[8:9]
	s_delay_alu instid0(SALU_CYCLE_1)
	s_sub_u32 s16, s10, s8
	s_load_b128 s[8:11], s[0:1], 0x44
	s_and_not1_b32 vcc_lo, exec_lo, s2
	s_cbranch_vccnz .LBB19_3
.LBB19_2:
	v_cvt_f32_u32_e32 v1, s20
	s_sub_i32 s3, 0, s20
	s_delay_alu instid0(VALU_DEP_1) | instskip(SKIP_2) | instid1(VALU_DEP_1)
	v_rcp_iflag_f32_e32 v1, v1
	s_waitcnt_depctr 0xfff
	v_mul_f32_e32 v1, 0x4f7ffffe, v1
	v_cvt_u32_f32_e32 v1, v1
	s_delay_alu instid0(VALU_DEP_1) | instskip(NEXT) | instid1(VALU_DEP_1)
	v_readfirstlane_b32 s2, v1
	s_mul_i32 s3, s3, s2
	s_delay_alu instid0(SALU_CYCLE_1) | instskip(NEXT) | instid1(SALU_CYCLE_1)
	s_mul_hi_u32 s3, s2, s3
	s_add_i32 s2, s2, s3
	s_delay_alu instid0(SALU_CYCLE_1) | instskip(NEXT) | instid1(SALU_CYCLE_1)
	s_mul_hi_u32 s2, s12, s2
	s_mul_i32 s3, s2, s20
	s_waitcnt lgkmcnt(0)
	s_add_i32 s11, s2, 1
	s_sub_i32 s3, s12, s3
	s_delay_alu instid0(SALU_CYCLE_1)
	s_sub_i32 s12, s3, s20
	s_cmp_ge_u32 s3, s20
	s_cselect_b32 s2, s11, s2
	s_cselect_b32 s3, s12, s3
	s_add_i32 s11, s2, 1
	s_cmp_ge_u32 s3, s20
	s_cselect_b32 s16, s11, s2
.LBB19_3:
	s_waitcnt lgkmcnt(0)
	s_add_i32 s11, s13, 1
	s_mov_b32 s2, 0
	s_mul_hi_i32 s3, s7, s11
	s_mul_i32 s11, s7, s11
	s_cmp_lg_u64 s[2:3], 0
	s_cbranch_scc0 .LBB19_22
; %bb.4:
	v_cvt_f32_ubyte0_e32 v1, 0
	v_cvt_f32_u32_e32 v2, s20
	s_sub_u32 s18, 0, s20
	s_subb_u32 s19, 0, 0
	s_delay_alu instid0(VALU_DEP_1) | instskip(NEXT) | instid1(VALU_DEP_1)
	v_fmamk_f32 v1, v1, 0x4f800000, v2
	v_rcp_f32_e32 v1, v1
	s_waitcnt_depctr 0xfff
	v_mul_f32_e32 v1, 0x5f7ffffc, v1
	s_delay_alu instid0(VALU_DEP_1) | instskip(NEXT) | instid1(VALU_DEP_1)
	v_mul_f32_e32 v2, 0x2f800000, v1
	v_trunc_f32_e32 v2, v2
	s_delay_alu instid0(VALU_DEP_1) | instskip(SKIP_1) | instid1(VALU_DEP_2)
	v_fmamk_f32 v1, v2, 0xcf800000, v1
	v_cvt_u32_f32_e32 v2, v2
	v_cvt_u32_f32_e32 v1, v1
	s_delay_alu instid0(VALU_DEP_2) | instskip(NEXT) | instid1(VALU_DEP_2)
	v_readfirstlane_b32 s12, v2
	v_readfirstlane_b32 s17, v1
	s_delay_alu instid0(VALU_DEP_2) | instskip(NEXT) | instid1(VALU_DEP_1)
	s_mul_i32 s21, s18, s12
	s_mul_hi_u32 s23, s18, s17
	s_mul_i32 s22, s19, s17
	s_add_i32 s21, s23, s21
	s_mul_i32 s24, s18, s17
	s_add_i32 s21, s21, s22
	s_mul_hi_u32 s23, s17, s24
	s_mul_hi_u32 s25, s12, s24
	s_mul_i32 s22, s12, s24
	s_mul_hi_u32 s24, s17, s21
	s_mul_i32 s17, s17, s21
	s_mul_hi_u32 s26, s12, s21
	s_add_u32 s17, s23, s17
	s_addc_u32 s23, 0, s24
	s_add_u32 s17, s17, s22
	s_mul_i32 s21, s12, s21
	s_addc_u32 s17, s23, s25
	s_addc_u32 s22, s26, 0
	s_add_u32 s17, s17, s21
	s_addc_u32 s21, 0, s22
	v_add_co_u32 v1, s17, v1, s17
	s_delay_alu instid0(VALU_DEP_1) | instskip(SKIP_1) | instid1(VALU_DEP_1)
	s_cmp_lg_u32 s17, 0
	s_addc_u32 s12, s12, s21
	v_readfirstlane_b32 s17, v1
	s_mul_i32 s21, s18, s12
	s_delay_alu instid0(VALU_DEP_1)
	s_mul_hi_u32 s22, s18, s17
	s_mul_i32 s19, s19, s17
	s_add_i32 s21, s22, s21
	s_mul_i32 s18, s18, s17
	s_add_i32 s21, s21, s19
	s_mul_hi_u32 s22, s12, s18
	s_mul_i32 s23, s12, s18
	s_mul_hi_u32 s18, s17, s18
	s_mul_hi_u32 s24, s17, s21
	s_mul_i32 s17, s17, s21
	s_mul_hi_u32 s19, s12, s21
	s_add_u32 s17, s18, s17
	s_addc_u32 s18, 0, s24
	s_add_u32 s17, s17, s23
	s_mul_i32 s21, s12, s21
	s_addc_u32 s17, s18, s22
	s_addc_u32 s18, s19, 0
	s_add_u32 s17, s17, s21
	s_addc_u32 s18, 0, s18
	v_add_co_u32 v1, s17, v1, s17
	s_delay_alu instid0(VALU_DEP_1) | instskip(SKIP_2) | instid1(SALU_CYCLE_1)
	s_cmp_lg_u32 s17, 0
	s_addc_u32 s12, s12, s18
	s_ashr_i32 s18, s3, 31
	s_add_u32 s22, s11, s18
	s_addc_u32 s23, s3, s18
	v_readfirstlane_b32 s3, v1
	s_mov_b32 s19, s18
	s_delay_alu instid0(SALU_CYCLE_1) | instskip(NEXT) | instid1(SALU_CYCLE_1)
	s_xor_b64 s[22:23], s[22:23], s[18:19]
	s_mul_i32 s21, s22, s12
	s_delay_alu instid0(VALU_DEP_1)
	s_mul_hi_u32 s24, s22, s3
	s_mul_hi_u32 s17, s22, s12
	;; [unrolled: 1-line block ×3, first 2 shown]
	s_mul_i32 s3, s23, s3
	s_add_u32 s21, s24, s21
	s_addc_u32 s17, 0, s17
	s_mul_hi_u32 s25, s23, s12
	s_add_u32 s3, s21, s3
	s_mul_i32 s12, s23, s12
	s_addc_u32 s3, s17, s26
	s_addc_u32 s17, s25, 0
	s_add_u32 s3, s3, s12
	s_addc_u32 s12, 0, s17
	s_mul_i32 s21, s20, s3
	s_add_u32 s17, s3, 1
	v_sub_co_u32 v1, s21, s22, s21
	s_mul_hi_u32 s22, s20, s3
	s_addc_u32 s24, s12, 0
	s_mul_i32 s25, s20, s12
	s_delay_alu instid0(VALU_DEP_1)
	v_sub_co_u32 v2, s26, v1, s20
	s_add_u32 s27, s3, 2
	s_addc_u32 s28, s12, 0
	s_add_i32 s22, s22, s25
	s_cmp_lg_u32 s21, 0
	v_readfirstlane_b32 s21, v2
	s_subb_u32 s22, s23, s22
	s_cmp_lg_u32 s26, 0
	s_subb_u32 s23, s22, 0
	s_delay_alu instid0(VALU_DEP_1) | instskip(SKIP_4) | instid1(SALU_CYCLE_1)
	s_cmp_ge_u32 s21, s20
	s_cselect_b32 s21, -1, 0
	s_cmp_eq_u32 s23, 0
	v_readfirstlane_b32 s23, v1
	s_cselect_b32 s21, s21, -1
	s_cmp_lg_u32 s21, 0
	s_cselect_b32 s17, s27, s17
	s_cselect_b32 s21, s28, s24
	s_cmp_ge_u32 s23, s20
	s_cselect_b32 s23, -1, 0
	s_cmp_eq_u32 s22, 0
	s_cselect_b32 s22, s23, -1
	s_delay_alu instid0(SALU_CYCLE_1) | instskip(SKIP_2) | instid1(SALU_CYCLE_1)
	s_cmp_lg_u32 s22, 0
	s_cselect_b32 s23, s21, s12
	s_cselect_b32 s22, s17, s3
	s_xor_b64 s[22:23], s[22:23], s[18:19]
	s_delay_alu instid0(SALU_CYCLE_1)
	s_sub_u32 s18, s22, s18
	s_and_not1_b32 vcc_lo, exec_lo, s2
	s_cbranch_vccnz .LBB19_6
.LBB19_5:
	v_cvt_f32_u32_e32 v1, s20
	s_sub_i32 s3, 0, s20
	s_delay_alu instid0(VALU_DEP_1) | instskip(SKIP_2) | instid1(VALU_DEP_1)
	v_rcp_iflag_f32_e32 v1, v1
	s_waitcnt_depctr 0xfff
	v_mul_f32_e32 v1, 0x4f7ffffe, v1
	v_cvt_u32_f32_e32 v1, v1
	s_delay_alu instid0(VALU_DEP_1) | instskip(NEXT) | instid1(VALU_DEP_1)
	v_readfirstlane_b32 s2, v1
	s_mul_i32 s3, s3, s2
	s_delay_alu instid0(SALU_CYCLE_1) | instskip(NEXT) | instid1(SALU_CYCLE_1)
	s_mul_hi_u32 s3, s2, s3
	s_add_i32 s2, s2, s3
	s_delay_alu instid0(SALU_CYCLE_1) | instskip(NEXT) | instid1(SALU_CYCLE_1)
	s_mul_hi_u32 s2, s11, s2
	s_mul_i32 s3, s2, s20
	s_delay_alu instid0(SALU_CYCLE_1)
	s_sub_i32 s3, s11, s3
	s_add_i32 s11, s2, 1
	s_sub_i32 s12, s3, s20
	s_cmp_ge_u32 s3, s20
	s_cselect_b32 s2, s11, s2
	s_cselect_b32 s3, s12, s3
	s_add_i32 s11, s2, 1
	s_cmp_ge_u32 s3, s20
	s_cselect_b32 s18, s11, s2
.LBB19_6:
	s_delay_alu instid0(SALU_CYCLE_1) | instskip(SKIP_3) | instid1(SALU_CYCLE_1)
	s_cmp_eq_u32 s16, s18
	s_mul_hi_u32 s2, s16, s8
	s_cselect_b32 s3, -1, 0
	s_add_i32 s2, s2, s16
	s_lshr_b32 s11, s2, s9
	s_delay_alu instid0(SALU_CYCLE_1) | instskip(NEXT) | instid1(SALU_CYCLE_1)
	s_mul_i32 s2, s11, s10
	s_cmp_eq_u32 s2, s16
	s_mul_hi_u32 s2, s18, s8
	s_cselect_b32 s12, -1, 0
	s_add_i32 s2, s2, s18
	s_delay_alu instid0(SALU_CYCLE_1) | instskip(NEXT) | instid1(SALU_CYCLE_1)
	s_lshr_b32 s2, s2, s9
	s_cmp_eq_u32 s11, s2
	s_mul_i32 s2, s2, s10
	s_cselect_b32 s17, -1, 0
	s_cmp_lg_u32 s2, s18
	s_cselect_b32 s2, -1, 0
	s_or_b32 s3, s3, s12
	s_and_b32 s2, s17, s2
	s_delay_alu instid0(SALU_CYCLE_1) | instskip(NEXT) | instid1(SALU_CYCLE_1)
	s_or_b32 s2, s3, s2
	s_and_b32 vcc_lo, exec_lo, s2
	s_cbranch_vccnz .LBB19_24
; %bb.7:
	s_load_b256 s[24:31], s[0:1], 0x20
	s_waitcnt lgkmcnt(0)
	s_mul_hi_u32 s2, s16, s24
	s_delay_alu instid0(SALU_CYCLE_1) | instskip(NEXT) | instid1(SALU_CYCLE_1)
	s_add_i32 s2, s2, s16
	s_lshr_b32 s17, s2, s25
	s_load_b32 s2, s[0:1], 0x40
	s_mul_i32 s3, s17, s26
	s_delay_alu instid0(SALU_CYCLE_1) | instskip(NEXT) | instid1(SALU_CYCLE_1)
	s_sub_i32 s3, s16, s3
	s_mul_hi_u32 s12, s3, s27
	s_delay_alu instid0(SALU_CYCLE_1) | instskip(NEXT) | instid1(SALU_CYCLE_1)
	s_add_i32 s12, s3, s12
	s_lshr_b32 s21, s12, s28
	s_delay_alu instid0(SALU_CYCLE_1) | instskip(NEXT) | instid1(SALU_CYCLE_1)
	s_mul_i32 s12, s21, s29
	s_sub_i32 s3, s3, s12
	s_delay_alu instid0(SALU_CYCLE_1) | instskip(NEXT) | instid1(SALU_CYCLE_1)
	s_mul_hi_u32 s12, s3, s30
	s_add_i32 s12, s3, s12
	s_delay_alu instid0(SALU_CYCLE_1)
	s_lshr_b32 s12, s12, s31
	s_waitcnt lgkmcnt(0)
	s_mul_i32 s2, s12, s2
	s_lshl_b32 s23, s12, 2
	s_sub_i32 s2, s3, s2
	s_mov_b32 s12, 0
	s_mul_hi_u32 s3, s2, s8
	s_delay_alu instid0(SALU_CYCLE_1) | instskip(NEXT) | instid1(SALU_CYCLE_1)
	s_add_i32 s2, s2, s3
	s_lshr_b32 s22, s2, s9
	s_delay_alu instid0(SALU_CYCLE_1) | instskip(NEXT) | instid1(SALU_CYCLE_1)
	s_lshl_b32 s2, s22, 1
	s_add_i32 s2, s2, s14
	s_delay_alu instid0(SALU_CYCLE_1) | instskip(SKIP_2) | instid1(SALU_CYCLE_1)
	s_cmp_lt_i32 s2, s4
	s_cselect_b32 s2, -1, 0
	s_add_i32 s3, s23, s15
	s_cmp_lt_i32 s3, s6
	s_cselect_b32 s3, -1, 0
	s_delay_alu instid0(SALU_CYCLE_1) | instskip(NEXT) | instid1(SALU_CYCLE_1)
	s_and_b32 s2, s2, s3
	s_and_not1_b32 vcc_lo, exec_lo, s2
	s_cbranch_vccnz .LBB19_24
; %bb.8:
	s_load_b128 s[0:3], s[0:1], 0x0
	s_lshl_b32 s18, s20, 5
	s_mov_b32 s19, s12
	s_lshl_b32 s24, s14, 2
	s_lshl_b64 s[18:19], s[18:19], 2
	s_mul_i32 s4, s17, s4
	s_add_i32 s17, s24, s15
	s_mul_i32 s21, s21, s6
	v_cvt_f32_ubyte0_e32 v4, 0
	v_cvt_f32_u32_e32 v5, s20
	s_waitcnt lgkmcnt(0)
	s_add_u32 s18, s2, s18
	s_addc_u32 s19, s3, s19
	s_add_i32 s4, s4, s14
	s_delay_alu instid0(SALU_CYCLE_1) | instskip(SKIP_4) | instid1(SALU_CYCLE_1)
	s_mul_i32 s4, s4, s5
	s_mul_i32 s5, s5, s22
	s_add_i32 s4, s4, s15
	s_lshl_b32 s5, s5, 10
	s_add_i32 s4, s4, s21
	s_add_i32 s4, s4, s23
	s_delay_alu instid0(SALU_CYCLE_1) | instskip(NEXT) | instid1(SALU_CYCLE_1)
	s_lshl_b32 s4, s4, 9
	s_add_i32 s5, s5, s4
	s_delay_alu instid0(SALU_CYCLE_1) | instskip(SKIP_1) | instid1(VALU_DEP_2)
	v_or_b32_e32 v1, s5, v0
	v_lshl_or_b32 v0, s17, 9, v0
	v_ashrrev_i32_e32 v2, 31, v1
	s_delay_alu instid0(VALU_DEP_1) | instskip(NEXT) | instid1(VALU_DEP_1)
	v_lshlrev_b64 v[1:2], 2, v[1:2]
	v_add_co_u32 v1, vcc_lo, s0, v1
	s_delay_alu instid0(VALU_DEP_2) | instskip(SKIP_1) | instid1(SALU_CYCLE_1)
	v_add_co_ci_u32_e32 v2, vcc_lo, s1, v2, vcc_lo
	s_lshl_b32 s0, s13, 3
	s_add_i32 s0, s17, s0
	global_load_b32 v3, v[1:2], off
	s_ashr_i32 s1, s0, 31
	s_delay_alu instid0(SALU_CYCLE_1) | instskip(NEXT) | instid1(SALU_CYCLE_1)
	s_lshl_b64 s[0:1], s[0:1], 3
	s_add_u32 s0, s2, s0
	s_addc_u32 s1, s3, s1
	s_add_i32 s14, s13, -1
	s_load_b64 s[0:1], s[0:1], 0x0
	v_fmac_f32_e32 v5, 0x4f800000, v4
	s_sub_i32 s6, 0, s20
	s_waitcnt lgkmcnt(0)
	v_mov_b32_e32 v8, s0
	s_delay_alu instid0(VALU_DEP_2) | instskip(SKIP_2) | instid1(VALU_DEP_2)
	v_rcp_f32_e32 v4, v5
	v_cvt_f32_u32_e32 v5, s20
	v_mov_b32_e32 v7, s1
	v_rcp_iflag_f32_e32 v5, v5
	s_waitcnt_depctr 0xfff
	v_mul_f32_e32 v4, 0x5f7ffffc, v4
	s_delay_alu instid0(VALU_DEP_1) | instskip(SKIP_1) | instid1(VALU_DEP_2)
	v_mul_f32_e32 v6, 0x2f800000, v4
	v_mul_f32_e32 v9, 0x4f7ffffe, v5
	v_trunc_f32_e32 v6, v6
	s_delay_alu instid0(VALU_DEP_1) | instskip(SKIP_1) | instid1(VALU_DEP_4)
	v_fmac_f32_e32 v4, 0xcf800000, v6
	v_cvt_u32_f32_e32 v5, v6
	v_cvt_u32_f32_e32 v6, v9
	s_delay_alu instid0(VALU_DEP_3)
	v_cvt_u32_f32_e32 v4, v4
.LBB19_9:                               ; =>This Inner Loop Header: Depth=1
	s_mul_hi_i32 s13, s14, s7
	s_mul_i32 s4, s14, s7
	s_cmp_lg_u64 s[12:13], 0
	s_mov_b32 s5, -1
                                        ; implicit-def: $sgpr0_sgpr1
	s_cbranch_scc0 .LBB19_11
; %bb.10:                               ;   in Loop: Header=BB19_9 Depth=1
	v_readfirstlane_b32 s0, v4
	v_readfirstlane_b32 s1, v5
	s_sub_u32 s5, 0, s20
	s_subb_u32 s15, 0, 0
	s_delay_alu instid0(VALU_DEP_2) | instskip(NEXT) | instid1(VALU_DEP_1)
	s_mul_hi_u32 s21, s5, s0
	s_mul_i32 s22, s5, s1
	s_mul_i32 s23, s15, s0
	s_add_i32 s21, s21, s22
	s_mul_i32 s22, s5, s0
	s_add_i32 s21, s21, s23
	s_mul_hi_u32 s23, s0, s22
	s_mul_i32 s24, s0, s21
	s_mul_hi_u32 s0, s0, s21
	s_add_u32 s23, s23, s24
	s_mul_i32 s25, s1, s22
	s_addc_u32 s0, 0, s0
	s_mul_hi_u32 s22, s1, s22
	s_mul_hi_u32 s24, s1, s21
	s_add_u32 s23, s23, s25
	s_addc_u32 s0, s0, s22
	s_mul_i32 s21, s1, s21
	s_addc_u32 s22, s24, 0
	s_add_u32 s0, s0, s21
	s_addc_u32 s21, 0, s22
	v_add_co_u32 v9, s0, v4, s0
	s_delay_alu instid0(VALU_DEP_1) | instskip(SKIP_1) | instid1(VALU_DEP_1)
	s_cmp_lg_u32 s0, 0
	s_addc_u32 s1, s1, s21
	v_readfirstlane_b32 s0, v9
	s_mul_i32 s21, s5, s1
	s_delay_alu instid0(VALU_DEP_1)
	s_mul_hi_u32 s22, s5, s0
	s_mul_i32 s15, s15, s0
	s_add_i32 s21, s22, s21
	s_mul_i32 s5, s5, s0
	s_add_i32 s21, s21, s15
	s_mul_hi_u32 s15, s1, s5
	s_mul_i32 s23, s1, s5
	s_mul_i32 s24, s0, s21
	s_mul_hi_u32 s5, s0, s5
	s_mul_hi_u32 s0, s0, s21
	s_add_u32 s5, s5, s24
	s_addc_u32 s0, 0, s0
	s_mul_hi_u32 s22, s1, s21
	s_add_u32 s5, s5, s23
	s_addc_u32 s0, s0, s15
	s_mul_i32 s5, s1, s21
	s_addc_u32 s15, s22, 0
	s_add_u32 s0, s0, s5
	s_addc_u32 s5, 0, s15
	v_add_co_u32 v9, s0, v9, s0
	s_delay_alu instid0(VALU_DEP_1) | instskip(SKIP_2) | instid1(SALU_CYCLE_1)
	s_cmp_lg_u32 s0, 0
	s_addc_u32 s5, s1, s5
	s_ashr_i32 s0, s13, 31
	s_add_u32 s22, s4, s0
	s_addc_u32 s23, s13, s0
	v_readfirstlane_b32 s13, v9
	s_mov_b32 s1, s0
	s_delay_alu instid0(SALU_CYCLE_1) | instskip(NEXT) | instid1(SALU_CYCLE_1)
	s_xor_b64 s[22:23], s[22:23], s[0:1]
	s_mul_i32 s15, s22, s5
	s_delay_alu instid0(VALU_DEP_1)
	s_mul_hi_u32 s21, s22, s13
	s_mul_hi_u32 s24, s22, s5
	s_add_u32 s15, s21, s15
	s_mul_i32 s25, s23, s13
	s_addc_u32 s21, 0, s24
	s_mul_hi_u32 s13, s23, s13
	s_mul_hi_u32 s24, s23, s5
	s_add_u32 s15, s15, s25
	s_addc_u32 s13, s21, s13
	s_mul_i32 s5, s23, s5
	s_addc_u32 s15, s24, 0
	s_add_u32 s5, s13, s5
	s_addc_u32 s13, 0, s15
	s_mul_i32 s21, s20, s5
	s_add_u32 s15, s5, 1
	v_sub_co_u32 v9, s21, s22, s21
	s_addc_u32 s22, s13, 0
	s_mul_i32 s25, s20, s13
	s_mul_hi_u32 s27, s20, s5
	s_delay_alu instid0(VALU_DEP_1)
	v_sub_co_u32 v10, s26, v9, s20
	s_add_u32 s24, s5, 2
	s_addc_u32 s28, s13, 0
	s_add_i32 s27, s27, s25
	s_cmp_lg_u32 s21, 0
	v_readfirstlane_b32 s21, v10
	s_subb_u32 s23, s23, s27
	s_cmp_lg_u32 s26, 0
	s_subb_u32 s25, s23, 0
	s_delay_alu instid0(VALU_DEP_1) | instskip(SKIP_4) | instid1(SALU_CYCLE_1)
	s_cmp_ge_u32 s21, s20
	s_cselect_b32 s21, -1, 0
	s_cmp_eq_u32 s25, 0
	v_readfirstlane_b32 s25, v9
	s_cselect_b32 s21, s21, -1
	s_cmp_lg_u32 s21, 0
	s_cselect_b32 s15, s24, s15
	s_cselect_b32 s21, s28, s22
	s_cmp_ge_u32 s25, s20
	s_cselect_b32 s22, -1, 0
	s_cmp_eq_u32 s23, 0
	s_cselect_b32 s22, s22, -1
	s_delay_alu instid0(SALU_CYCLE_1) | instskip(SKIP_4) | instid1(SALU_CYCLE_1)
	s_cmp_lg_u32 s22, 0
	s_cselect_b32 s23, s21, s13
	s_cselect_b32 s22, s15, s5
	s_mov_b32 s5, 0
	s_xor_b64 s[22:23], s[22:23], s[0:1]
	s_sub_u32 s0, s22, s0
.LBB19_11:                              ;   in Loop: Header=BB19_9 Depth=1
	s_and_not1_b32 vcc_lo, exec_lo, s5
	s_cbranch_vccnz .LBB19_13
; %bb.12:                               ;   in Loop: Header=BB19_9 Depth=1
	v_readfirstlane_b32 s0, v6
	s_delay_alu instid0(VALU_DEP_1) | instskip(NEXT) | instid1(SALU_CYCLE_1)
	s_mul_i32 s1, s6, s0
	s_mul_hi_u32 s1, s0, s1
	s_delay_alu instid0(SALU_CYCLE_1) | instskip(NEXT) | instid1(SALU_CYCLE_1)
	s_add_i32 s0, s0, s1
	s_mul_hi_u32 s0, s4, s0
	s_delay_alu instid0(SALU_CYCLE_1) | instskip(NEXT) | instid1(SALU_CYCLE_1)
	s_mul_i32 s1, s0, s20
	s_sub_i32 s1, s4, s1
	s_add_i32 s4, s0, 1
	s_sub_i32 s5, s1, s20
	s_cmp_ge_u32 s1, s20
	s_cselect_b32 s0, s4, s0
	s_cselect_b32 s1, s5, s1
	s_add_i32 s4, s0, 1
	s_cmp_ge_u32 s1, s20
	s_cselect_b32 s0, s4, s0
.LBB19_13:                              ;   in Loop: Header=BB19_9 Depth=1
	s_delay_alu instid0(SALU_CYCLE_1)
	s_cmp_lg_u32 s16, s0
	s_cbranch_scc0 .LBB19_17
; %bb.14:                               ;   in Loop: Header=BB19_9 Depth=1
	s_add_i32 s1, s14, s20
	s_mov_b32 s5, s12
	s_lshl_b32 s1, s1, 3
	s_mov_b32 s15, s16
	s_add_i32 s4, s1, s17
	s_mul_hi_u32 s1, s0, s8
	s_lshl_b64 s[4:5], s[4:5], 3
	s_delay_alu instid0(SALU_CYCLE_1) | instskip(SKIP_2) | instid1(SALU_CYCLE_1)
	s_add_u32 s4, s2, s4
	s_addc_u32 s5, s3, s5
	s_add_i32 s1, s1, s0
	s_lshr_b32 s1, s1, s9
	s_delay_alu instid0(SALU_CYCLE_1) | instskip(NEXT) | instid1(SALU_CYCLE_1)
	s_mul_i32 s13, s1, s10
	s_cmp_eq_u32 s13, s0
	s_cselect_b32 s13, -1, 0
	s_cmp_lt_u32 s1, s11
	s_cselect_b32 s1, -1, 0
	s_delay_alu instid0(SALU_CYCLE_1)
	s_or_b32 s1, s1, s13
	s_mov_b32 s13, -1
	s_and_b32 vcc_lo, exec_lo, s1
	s_mov_b32 s1, s14
	s_cbranch_vccnz .LBB19_16
; %bb.15:                               ;   in Loop: Header=BB19_9 Depth=1
	s_add_i32 s1, s14, -1
	s_mov_b32 s13, 0
	s_mov_b32 s15, s0
.LBB19_16:                              ;   in Loop: Header=BB19_9 Depth=1
	v_lshl_add_u32 v9, s14, 12, v0
	s_load_b64 s[4:5], s[4:5], 0x0
	s_delay_alu instid0(VALU_DEP_1) | instskip(NEXT) | instid1(VALU_DEP_1)
	v_ashrrev_i32_e32 v10, 31, v9
	v_lshlrev_b64 v[9:10], 2, v[9:10]
	s_delay_alu instid0(VALU_DEP_1) | instskip(NEXT) | instid1(VALU_DEP_2)
	v_add_co_u32 v9, vcc_lo, s18, v9
	v_add_co_ci_u32_e32 v10, vcc_lo, s19, v10, vcc_lo
	s_waitcnt lgkmcnt(0)
	v_max_f32_e64 v11, s4, s4
	global_load_b32 v10, v[9:10], off
	v_max_f32_e32 v9, v8, v8
	s_delay_alu instid0(VALU_DEP_1) | instskip(NEXT) | instid1(VALU_DEP_1)
	v_max_f32_e32 v9, v9, v11
	v_sub_f32_e32 v12, v8, v9
	s_delay_alu instid0(VALU_DEP_1) | instskip(NEXT) | instid1(VALU_DEP_1)
	v_dual_mul_f32 v14, 0x3fb8aa3b, v12 :: v_dual_sub_f32 v11, s4, v9
	v_rndne_f32_e32 v18, v14
	s_delay_alu instid0(VALU_DEP_2) | instskip(SKIP_2) | instid1(VALU_DEP_4)
	v_mul_f32_e32 v13, 0x3fb8aa3b, v11
	v_fma_f32 v17, 0x3fb8aa3b, v12, -v14
	v_cmp_ngt_f32_e32 vcc_lo, 0xc2ce8ed0, v11
	v_sub_f32_e32 v14, v14, v18
	s_delay_alu instid0(VALU_DEP_4) | instskip(SKIP_2) | instid1(VALU_DEP_3)
	v_fma_f32 v15, 0x3fb8aa3b, v11, -v13
	v_rndne_f32_e32 v16, v13
	v_fmac_f32_e32 v17, 0x32a5705f, v12
	v_fmac_f32_e32 v15, 0x32a5705f, v11
	s_delay_alu instid0(VALU_DEP_2) | instskip(NEXT) | instid1(VALU_DEP_1)
	v_dual_sub_f32 v13, v13, v16 :: v_dual_add_f32 v14, v14, v17
	v_add_f32_e32 v13, v13, v15
	s_delay_alu instid0(VALU_DEP_2) | instskip(SKIP_2) | instid1(VALU_DEP_3)
	v_exp_f32_e32 v14, v14
	v_cvt_i32_f32_e32 v15, v16
	v_cvt_i32_f32_e32 v16, v18
	v_exp_f32_e32 v13, v13
	s_waitcnt_depctr 0xfff
	v_ldexp_f32 v14, v14, v16
	v_ldexp_f32 v13, v13, v15
	s_delay_alu instid0(VALU_DEP_1) | instskip(SKIP_1) | instid1(VALU_DEP_4)
	v_cndmask_b32_e32 v13, 0, v13, vcc_lo
	v_cmp_ngt_f32_e32 vcc_lo, 0xc2ce8ed0, v12
	v_cndmask_b32_e32 v14, 0, v14, vcc_lo
	v_cmp_nlt_f32_e32 vcc_lo, 0x42b17218, v11
	s_delay_alu instid0(VALU_DEP_4) | instskip(SKIP_1) | instid1(VALU_DEP_4)
	v_cndmask_b32_e32 v13, 0x7f800000, v13, vcc_lo
	v_cmp_nlt_f32_e32 vcc_lo, 0x42b17218, v12
	v_cndmask_b32_e32 v14, 0x7f800000, v14, vcc_lo
	v_cmp_le_f32_e32 vcc_lo, 0xc1a00000, v11
	s_delay_alu instid0(VALU_DEP_4) | instskip(SKIP_1) | instid1(VALU_DEP_4)
	v_cndmask_b32_e32 v11, 0, v13, vcc_lo
	v_cmp_le_f32_e32 vcc_lo, 0xc1a00000, v12
	v_cndmask_b32_e32 v12, 0, v14, vcc_lo
	s_waitcnt vmcnt(0)
	s_delay_alu instid0(VALU_DEP_3) | instskip(NEXT) | instid1(VALU_DEP_1)
	v_mul_f32_e32 v10, v10, v11
	v_dual_mul_f32 v11, s5, v11 :: v_dual_fmac_f32 v10, v3, v12
	s_delay_alu instid0(VALU_DEP_1)
	v_fmac_f32_e32 v11, v7, v12
	s_cbranch_execz .LBB19_18
	s_branch .LBB19_19
.LBB19_17:                              ;   in Loop: Header=BB19_9 Depth=1
                                        ; implicit-def: $sgpr13
                                        ; implicit-def: $vgpr10
                                        ; implicit-def: $vgpr9
                                        ; implicit-def: $vgpr11
                                        ; implicit-def: $sgpr1
                                        ; implicit-def: $sgpr15
.LBB19_18:                              ;   in Loop: Header=BB19_9 Depth=1
	v_mov_b32_e32 v11, v7
	s_waitcnt vmcnt(0)
	v_dual_mov_b32 v9, v8 :: v_dual_mov_b32 v10, v3
	s_add_i32 s1, s14, -1
	s_mov_b32 s13, 0
	s_mov_b32 s15, s16
.LBB19_19:                              ;   in Loop: Header=BB19_9 Depth=1
	s_and_not1_b32 vcc_lo, exec_lo, s13
	s_cbranch_vccz .LBB19_23
; %bb.20:                               ;   in Loop: Header=BB19_9 Depth=1
	v_dual_mov_b32 v7, v11 :: v_dual_mov_b32 v8, v9
	s_waitcnt vmcnt(0)
	v_mov_b32_e32 v3, v10
	s_mov_b32 s16, s15
	s_mov_b32 s14, s1
	s_branch .LBB19_9
.LBB19_21:
                                        ; implicit-def: $sgpr16_sgpr17
	s_load_b128 s[8:11], s[0:1], 0x44
	s_branch .LBB19_2
.LBB19_22:
                                        ; implicit-def: $sgpr18_sgpr19
	s_branch .LBB19_5
.LBB19_23:
	v_div_scale_f32 v0, null, v11, v11, v10
	s_waitcnt vmcnt(0)
	s_delay_alu instid0(VALU_DEP_1) | instskip(SKIP_2) | instid1(VALU_DEP_1)
	v_rcp_f32_e32 v3, v0
	s_waitcnt_depctr 0xfff
	v_fma_f32 v4, -v0, v3, 1.0
	v_fmac_f32_e32 v3, v4, v3
	v_div_scale_f32 v4, vcc_lo, v10, v11, v10
	s_delay_alu instid0(VALU_DEP_1) | instskip(NEXT) | instid1(VALU_DEP_1)
	v_mul_f32_e32 v5, v4, v3
	v_fma_f32 v6, -v0, v5, v4
	s_delay_alu instid0(VALU_DEP_1) | instskip(NEXT) | instid1(VALU_DEP_1)
	v_fmac_f32_e32 v5, v6, v3
	v_fma_f32 v0, -v0, v5, v4
	s_delay_alu instid0(VALU_DEP_1) | instskip(NEXT) | instid1(VALU_DEP_1)
	v_div_fmas_f32 v0, v0, v3, v5
	v_div_fixup_f32 v0, v0, v11, v10
	global_store_b32 v[1:2], v0, off
.LBB19_24:
	s_nop 0
	s_sendmsg sendmsg(MSG_DEALLOC_VGPRS)
	s_endpgm
	.section	.rodata,"a",@progbits
	.p2align	6, 0x0
	.amdhsa_kernel _ZL33flash_attn_stream_k_fixup_generalILi512ELi2ELi4EEvPfPK15HIP_vector_typeIfLj2EEiiiiS1_IjLj3EES5_S5_S5_
		.amdhsa_group_segment_fixed_size 0
		.amdhsa_private_segment_fixed_size 0
		.amdhsa_kernarg_size 336
		.amdhsa_user_sgpr_count 13
		.amdhsa_user_sgpr_dispatch_ptr 0
		.amdhsa_user_sgpr_queue_ptr 0
		.amdhsa_user_sgpr_kernarg_segment_ptr 1
		.amdhsa_user_sgpr_dispatch_id 0
		.amdhsa_user_sgpr_private_segment_size 0
		.amdhsa_wavefront_size32 1
		.amdhsa_uses_dynamic_stack 0
		.amdhsa_enable_private_segment 0
		.amdhsa_system_sgpr_workgroup_id_x 1
		.amdhsa_system_sgpr_workgroup_id_y 1
		.amdhsa_system_sgpr_workgroup_id_z 1
		.amdhsa_system_sgpr_workgroup_info 0
		.amdhsa_system_vgpr_workitem_id 0
		.amdhsa_next_free_vgpr 19
		.amdhsa_next_free_sgpr 32
		.amdhsa_reserve_vcc 1
		.amdhsa_float_round_mode_32 0
		.amdhsa_float_round_mode_16_64 0
		.amdhsa_float_denorm_mode_32 3
		.amdhsa_float_denorm_mode_16_64 3
		.amdhsa_dx10_clamp 1
		.amdhsa_ieee_mode 1
		.amdhsa_fp16_overflow 0
		.amdhsa_workgroup_processor_mode 1
		.amdhsa_memory_ordered 1
		.amdhsa_forward_progress 0
		.amdhsa_shared_vgpr_count 0
		.amdhsa_exception_fp_ieee_invalid_op 0
		.amdhsa_exception_fp_denorm_src 0
		.amdhsa_exception_fp_ieee_div_zero 0
		.amdhsa_exception_fp_ieee_overflow 0
		.amdhsa_exception_fp_ieee_underflow 0
		.amdhsa_exception_fp_ieee_inexact 0
		.amdhsa_exception_int_div_zero 0
	.end_amdhsa_kernel
	.section	.text._ZL33flash_attn_stream_k_fixup_generalILi512ELi2ELi4EEvPfPK15HIP_vector_typeIfLj2EEiiiiS1_IjLj3EES5_S5_S5_,"axG",@progbits,_ZL33flash_attn_stream_k_fixup_generalILi512ELi2ELi4EEvPfPK15HIP_vector_typeIfLj2EEiiiiS1_IjLj3EES5_S5_S5_,comdat
.Lfunc_end19:
	.size	_ZL33flash_attn_stream_k_fixup_generalILi512ELi2ELi4EEvPfPK15HIP_vector_typeIfLj2EEiiiiS1_IjLj3EES5_S5_S5_, .Lfunc_end19-_ZL33flash_attn_stream_k_fixup_generalILi512ELi2ELi4EEvPfPK15HIP_vector_typeIfLj2EEiiiiS1_IjLj3EES5_S5_S5_
                                        ; -- End function
	.section	.AMDGPU.csdata,"",@progbits
; Kernel info:
; codeLenInByte = 3224
; NumSgprs: 34
; NumVgprs: 19
; ScratchSize: 0
; MemoryBound: 0
; FloatMode: 240
; IeeeMode: 1
; LDSByteSize: 0 bytes/workgroup (compile time only)
; SGPRBlocks: 4
; VGPRBlocks: 2
; NumSGPRsForWavesPerEU: 34
; NumVGPRsForWavesPerEU: 19
; Occupancy: 16
; WaveLimiterHint : 0
; COMPUTE_PGM_RSRC2:SCRATCH_EN: 0
; COMPUTE_PGM_RSRC2:USER_SGPR: 13
; COMPUTE_PGM_RSRC2:TRAP_HANDLER: 0
; COMPUTE_PGM_RSRC2:TGID_X_EN: 1
; COMPUTE_PGM_RSRC2:TGID_Y_EN: 1
; COMPUTE_PGM_RSRC2:TGID_Z_EN: 1
; COMPUTE_PGM_RSRC2:TIDIG_COMP_CNT: 0
	.section	.text._ZL15flash_attn_tileILi576ELi512ELi1ELi4ELb0EEvPKcS1_S1_S1_S1_PKiPfP15HIP_vector_typeIfLj2EEffffjfiS5_IjLj3EEiiiiiiiiiiiliiliiiiil,"axG",@progbits,_ZL15flash_attn_tileILi576ELi512ELi1ELi4ELb0EEvPKcS1_S1_S1_S1_PKiPfP15HIP_vector_typeIfLj2EEffffjfiS5_IjLj3EEiiiiiiiiiiiliiliiiiil,comdat
	.globl	_ZL15flash_attn_tileILi576ELi512ELi1ELi4ELb0EEvPKcS1_S1_S1_S1_PKiPfP15HIP_vector_typeIfLj2EEffffjfiS5_IjLj3EEiiiiiiiiiiiliiliiiiil ; -- Begin function _ZL15flash_attn_tileILi576ELi512ELi1ELi4ELb0EEvPKcS1_S1_S1_S1_PKiPfP15HIP_vector_typeIfLj2EEffffjfiS5_IjLj3EEiiiiiiiiiiiliiliiiiil
	.p2align	8
	.type	_ZL15flash_attn_tileILi576ELi512ELi1ELi4ELb0EEvPKcS1_S1_S1_S1_PKiPfP15HIP_vector_typeIfLj2EEffffjfiS5_IjLj3EEiiiiiiiiiiiliiliiiiil,@function
_ZL15flash_attn_tileILi576ELi512ELi1ELi4ELb0EEvPKcS1_S1_S1_S1_PKiPfP15HIP_vector_typeIfLj2EEffffjfiS5_IjLj3EEiiiiiiiiiiiliiliiiiil: ; @_ZL15flash_attn_tileILi576ELi512ELi1ELi4ELb0EEvPKcS1_S1_S1_S1_PKiPfP15HIP_vector_typeIfLj2EEffffjfiS5_IjLj3EEiiiiiiiiiiiliiliiiiil
; %bb.0:
	s_clause 0x1
	s_load_b128 s[8:11], s[0:1], 0x5c
	s_load_b64 s[34:35], s[0:1], 0x80
	s_mov_b64 s[36:37], 0
	s_waitcnt lgkmcnt(0)
	s_ashr_i32 s2, s11, 31
	s_delay_alu instid0(SALU_CYCLE_1) | instskip(NEXT) | instid1(SALU_CYCLE_1)
	s_lshr_b32 s2, s2, 30
	s_add_i32 s2, s11, s2
	s_delay_alu instid0(SALU_CYCLE_1) | instskip(NEXT) | instid1(SALU_CYCLE_1)
	s_ashr_i32 s2, s2, 2
	v_cvt_f32_u32_e32 v1, s2
	s_sub_i32 s4, 0, s2
	s_delay_alu instid0(VALU_DEP_1) | instskip(SKIP_2) | instid1(VALU_DEP_1)
	v_rcp_iflag_f32_e32 v1, v1
	s_waitcnt_depctr 0xfff
	v_mul_f32_e32 v1, 0x4f7ffffe, v1
	v_cvt_u32_f32_e32 v1, v1
	s_delay_alu instid0(VALU_DEP_1) | instskip(NEXT) | instid1(VALU_DEP_1)
	v_readfirstlane_b32 s3, v1
	s_mul_i32 s4, s4, s3
	s_delay_alu instid0(SALU_CYCLE_1) | instskip(NEXT) | instid1(SALU_CYCLE_1)
	s_mul_hi_u32 s4, s3, s4
	s_add_i32 s3, s3, s4
	s_delay_alu instid0(SALU_CYCLE_1) | instskip(NEXT) | instid1(SALU_CYCLE_1)
	s_mul_hi_u32 s3, s15, s3
	s_mul_i32 s4, s3, s2
	s_add_i32 s5, s3, 1
	s_sub_i32 s4, s15, s4
	s_delay_alu instid0(SALU_CYCLE_1)
	s_sub_i32 s6, s4, s2
	s_cmp_ge_u32 s4, s2
	s_cselect_b32 s3, s5, s3
	s_cselect_b32 s4, s6, s4
	s_add_i32 s5, s3, 1
	s_cmp_ge_u32 s4, s2
	s_cselect_b32 s33, s5, s3
	s_abs_i32 s2, s35
	s_abs_i32 s7, s11
	v_cvt_f32_u32_e32 v1, s2
	s_sub_i32 s4, 0, s2
	s_lshl_b32 s5, s15, 2
	s_mul_i32 s6, s33, s11
	s_delay_alu instid0(VALU_DEP_1) | instskip(SKIP_3) | instid1(VALU_DEP_1)
	v_rcp_iflag_f32_e32 v1, v1
	s_sub_i32 s15, s5, s6
	s_waitcnt_depctr 0xfff
	v_mul_f32_e32 v1, 0x4f7ffffe, v1
	v_cvt_u32_f32_e32 v1, v1
	s_delay_alu instid0(VALU_DEP_1) | instskip(NEXT) | instid1(VALU_DEP_1)
	v_readfirstlane_b32 s3, v1
	s_mul_i32 s4, s4, s3
	s_delay_alu instid0(SALU_CYCLE_1) | instskip(NEXT) | instid1(SALU_CYCLE_1)
	s_mul_hi_u32 s4, s3, s4
	s_add_i32 s3, s3, s4
	s_xor_b32 s4, s11, s35
	s_mul_hi_u32 s3, s7, s3
	s_ashr_i32 s4, s4, 31
	s_mul_i32 s5, s3, s2
	s_add_i32 s6, s3, 1
	s_sub_i32 s5, s7, s5
	s_delay_alu instid0(SALU_CYCLE_1)
	s_sub_i32 s7, s5, s2
	s_cmp_ge_u32 s5, s2
	s_cselect_b32 s3, s6, s3
	s_cselect_b32 s5, s7, s5
	s_add_i32 s6, s3, 1
	s_cmp_ge_u32 s5, s2
	s_cselect_b32 s2, s6, s3
	s_delay_alu instid0(SALU_CYCLE_1) | instskip(NEXT) | instid1(SALU_CYCLE_1)
	s_xor_b32 s2, s2, s4
	s_sub_i32 s35, s2, s4
	s_clause 0x1
	s_load_b512 s[16:31], s[0:1], 0x0
	s_load_b64 s[2:3], s[0:1], 0xb8
	s_abs_i32 s12, s35
	s_delay_alu instid0(SALU_CYCLE_1) | instskip(NEXT) | instid1(VALU_DEP_1)
	v_cvt_f32_u32_e32 v1, s12
	v_rcp_iflag_f32_e32 v1, v1
	s_waitcnt_depctr 0xfff
	v_mul_f32_e32 v1, 0x4f7ffffe, v1
	s_waitcnt lgkmcnt(0)
	s_cmp_eq_u64 s[22:23], 0
	s_delay_alu instid0(VALU_DEP_1) | instskip(NEXT) | instid1(VALU_DEP_1)
	v_cvt_u32_f32_e32 v1, v1
	v_readfirstlane_b32 s38, v1
	s_cbranch_scc1 .LBB20_2
; %bb.1:
	s_abs_i32 s2, s2
	s_abs_i32 s6, s33
	v_cvt_f32_u32_e32 v1, s2
	s_sub_i32 s5, 0, s2
	s_delay_alu instid0(VALU_DEP_1) | instskip(SKIP_2) | instid1(VALU_DEP_1)
	v_rcp_iflag_f32_e32 v1, v1
	s_waitcnt_depctr 0xfff
	v_mul_f32_e32 v1, 0x4f7ffffe, v1
	v_cvt_u32_f32_e32 v1, v1
	s_delay_alu instid0(VALU_DEP_1) | instskip(NEXT) | instid1(VALU_DEP_1)
	v_readfirstlane_b32 s4, v1
	s_mul_i32 s5, s5, s4
	s_delay_alu instid0(SALU_CYCLE_1) | instskip(NEXT) | instid1(SALU_CYCLE_1)
	s_mul_hi_u32 s5, s4, s5
	s_add_i32 s7, s4, s5
	s_load_b64 s[4:5], s[0:1], 0xc8
	s_mul_hi_u32 s7, s6, s7
	s_delay_alu instid0(SALU_CYCLE_1) | instskip(NEXT) | instid1(SALU_CYCLE_1)
	s_mul_i32 s7, s7, s2
	s_sub_i32 s6, s6, s7
	s_ashr_i32 s7, s33, 31
	s_sub_i32 s36, s6, s2
	s_cmp_ge_u32 s6, s2
	s_cselect_b32 s6, s36, s6
	s_delay_alu instid0(SALU_CYCLE_1) | instskip(SKIP_2) | instid1(SALU_CYCLE_1)
	s_sub_i32 s36, s6, s2
	s_cmp_ge_u32 s6, s2
	s_cselect_b32 s2, s36, s6
	s_xor_b32 s2, s2, s7
	s_delay_alu instid0(SALU_CYCLE_1)
	s_sub_i32 s2, s2, s7
	s_waitcnt lgkmcnt(0)
	s_mul_i32 s5, s2, s5
	s_mul_hi_u32 s6, s2, s4
	s_ashr_i32 s7, s2, 31
	s_add_i32 s5, s6, s5
	s_mul_i32 s7, s7, s4
	s_mul_i32 s2, s2, s4
	s_add_i32 s5, s5, s7
	s_add_u32 s36, s22, s2
	s_addc_u32 s37, s23, s5
.LBB20_2:
	v_bfe_u32 v4, v0, 10, 10
	s_load_b128 s[4:7], s[0:1], 0x70
	v_and_b32_e32 v0, 0x3ff, v0
	s_delay_alu instid0(VALU_DEP_2) | instskip(SKIP_1) | instid1(VALU_DEP_3)
	v_lshrrev_b32_e32 v1, 2, v4
	v_and_b32_e32 v39, 3, v4
	v_lshlrev_b32_e32 v23, 1, v0
	s_delay_alu instid0(VALU_DEP_3) | instskip(NEXT) | instid1(VALU_DEP_1)
	v_add_nc_u32_e32 v1, s13, v1
	v_mul_hi_u32 v2, s8, v1
	s_waitcnt lgkmcnt(0)
	s_mul_i32 s2, s33, s6
	s_mul_i32 s6, s15, s5
	s_delay_alu instid0(VALU_DEP_1)
	v_add_nc_u32_e32 v2, v1, v2
	s_ashr_i32 s7, s2, 31
	s_add_u32 s2, s16, s2
	s_addc_u32 s7, s17, s7
	s_ashr_i32 s8, s6, 31
	v_lshrrev_b32_e32 v2, s9, v2
	s_add_u32 s2, s2, s6
	s_addc_u32 s6, s7, s8
	s_ashr_i32 s7, s5, 31
	s_ashr_i32 s8, s4, 31
	v_mul_lo_u32 v2, v2, s10
	v_alignbit_b32 v6, s7, s5, 2
	v_alignbit_b32 v8, s8, s4, 2
	s_lshr_b32 s4, s7, 2
	s_delay_alu instid0(VALU_DEP_3) | instskip(NEXT) | instid1(VALU_DEP_3)
	v_sub_nc_u32_e32 v5, v1, v2
	v_mad_u64_u32 v[2:3], null, v6, v39, 0
	s_delay_alu instid0(VALU_DEP_2) | instskip(NEXT) | instid1(VALU_DEP_2)
	v_mad_u64_u32 v[6:7], null, v8, v5, 0
	v_mad_u64_u32 v[8:9], null, s4, v39, v[3:4]
	s_lshr_b32 s4, s8, 2
	s_delay_alu instid0(VALU_DEP_1) | instskip(NEXT) | instid1(VALU_DEP_3)
	v_mov_b32_e32 v3, v8
	v_mad_u64_u32 v[9:10], null, s4, v5, v[7:8]
	v_lshlrev_b32_e32 v8, 4, v0
	s_mov_b32 s4, exec_lo
	s_delay_alu instid0(VALU_DEP_3) | instskip(NEXT) | instid1(VALU_DEP_3)
	v_lshlrev_b64 v[2:3], 2, v[2:3]
	v_mov_b32_e32 v7, v9
	s_delay_alu instid0(VALU_DEP_2) | instskip(NEXT) | instid1(VALU_DEP_3)
	v_add_co_u32 v2, vcc_lo, s2, v2
	v_add_co_ci_u32_e32 v3, vcc_lo, s6, v3, vcc_lo
	s_delay_alu instid0(VALU_DEP_3) | instskip(SKIP_1) | instid1(VALU_DEP_1)
	v_lshlrev_b64 v[6:7], 2, v[6:7]
	s_load_b32 s2, s[0:1], 0x40
	v_add_co_u32 v2, vcc_lo, v2, v6
	s_delay_alu instid0(VALU_DEP_2) | instskip(SKIP_1) | instid1(VALU_DEP_3)
	v_add_co_ci_u32_e32 v3, vcc_lo, v3, v7, vcc_lo
	v_mul_u32_u24_e32 v6, 0x120, v4
	v_add_co_u32 v2, vcc_lo, v2, v8
	s_delay_alu instid0(VALU_DEP_3)
	v_add_co_ci_u32_e32 v3, vcc_lo, 0, v3, vcc_lo
	s_clause 0x3
	global_load_b128 v[7:10], v[2:3], off
	global_load_b128 v[11:14], v[2:3], off offset:512
	global_load_b128 v[15:18], v[2:3], off offset:1024
	;; [unrolled: 1-line block ×3, first 2 shown]
	v_add_lshl_u32 v6, v23, v6, 2
	s_delay_alu instid0(VALU_DEP_1)
	v_add_nc_u32_e32 v31, 0x2000, v6
	s_waitcnt vmcnt(3) lgkmcnt(0)
	v_fma_mixlo_f16 v23, v7, s2, 0
	v_fma_mixlo_f16 v24, v9, s2, 0
	s_waitcnt vmcnt(2)
	v_fma_mixlo_f16 v25, v11, s2, 0
	v_fma_mixlo_f16 v26, v13, s2, 0
	s_waitcnt vmcnt(1)
	;; [unrolled: 3-line block ×3, first 2 shown]
	v_fma_mixlo_f16 v29, v19, s2, 0
	v_fma_mixlo_f16 v30, v21, s2, 0
	v_fma_mixhi_f16 v24, v10, s2, 0
	v_fma_mixhi_f16 v23, v8, s2, 0
	;; [unrolled: 1-line block ×8, first 2 shown]
	ds_store_2addr_b64 v31, v[23:24], v[25:26] offset0:128 offset1:160
	ds_store_2addr_b64 v31, v[27:28], v[29:30] offset0:192 offset1:224
	v_cmpx_gt_u32_e32 16, v0
	s_cbranch_execz .LBB20_4
; %bb.3:
	global_load_b128 v[7:10], v[2:3], off offset:2048
	v_add_nc_u32_e32 v6, 0x2400, v6
	s_waitcnt vmcnt(0)
	v_fma_mixlo_f16 v3, v9, s2, 0
	v_fma_mixlo_f16 v2, v7, s2, 0
	s_delay_alu instid0(VALU_DEP_2) | instskip(NEXT) | instid1(VALU_DEP_2)
	v_fma_mixhi_f16 v3, v10, s2, 0
	v_fma_mixhi_f16 v2, v8, s2, 0
	ds_store_b64 v6, v[2:3] offset:1024
.LBB20_4:
	s_or_b32 exec_lo, exec_lo, s4
	s_cmp_eq_u64 s[26:27], 0
	s_waitcnt lgkmcnt(0)
	s_barrier
	buffer_gl0_inv
	s_cbranch_scc1 .LBB20_6
; %bb.5:
	s_load_b32 s2, s[0:1], 0xd0
	s_mov_b32 s5, 0
	s_waitcnt lgkmcnt(0)
	s_mul_i32 s2, s2, s33
	s_delay_alu instid0(SALU_CYCLE_1) | instskip(NEXT) | instid1(SALU_CYCLE_1)
	s_add_i32 s4, s2, s13
	s_lshl_b64 s[4:5], s[4:5], 2
	s_delay_alu instid0(SALU_CYCLE_1)
	s_add_u32 s4, s26, s4
	s_addc_u32 s5, s27, s5
	s_load_b32 s34, s[4:5], 0x0
.LBB20_6:
	v_lshlrev_b32_e32 v38, 2, v0
	v_mbcnt_lo_u32_b32 v40, -1, 0
	s_lshl_b32 s16, s14, 6
	s_waitcnt lgkmcnt(0)
	s_cmp_lt_i32 s16, s34
	s_cbranch_scc1 .LBB20_8
; %bb.7:
	v_mbcnt_lo_u32_b32 v3, -1, 0
	v_mov_b32_e32 v2, 32
	s_mov_b32 s2, 0
	s_mov_b32 s4, 0xfeffffff
	s_delay_alu instid0(VALU_DEP_2)
	v_xor_b32_e32 v45, 16, v3
	v_xor_b32_e32 v44, 8, v3
	;; [unrolled: 1-line block ×5, first 2 shown]
	s_branch .LBB20_9
.LBB20_8:
	s_mov_b32 s2, -1
                                        ; implicit-def: $sgpr4
                                        ; implicit-def: $vgpr3
                                        ; implicit-def: $vgpr2
                                        ; implicit-def: $vgpr45
                                        ; implicit-def: $vgpr44
                                        ; implicit-def: $vgpr43
                                        ; implicit-def: $vgpr42
                                        ; implicit-def: $vgpr41
.LBB20_9:
	s_delay_alu instid0(SALU_CYCLE_1) | instskip(SKIP_2) | instid1(VALU_DEP_3)
	v_cndmask_b32_e64 v6, 0, 1, s2
	v_dual_mov_b32 v69, s2 :: v_dual_mov_b32 v16, s2
	v_dual_mov_b32 v15, s4 :: v_dual_mov_b32 v68, s2
	v_cmp_ne_u32_e32 vcc_lo, 1, v6
	v_dual_mov_b32 v71, s2 :: v_dual_mov_b32 v70, s2
	v_dual_mov_b32 v66, s2 :: v_dual_mov_b32 v67, s2
	;; [unrolled: 1-line block ×3, first 2 shown]
	s_cbranch_vccnz .LBB20_13
; %bb.10:
	s_clause 0x1
	s_load_b64 s[8:9], s[0:1], 0x8c
	s_load_b128 s[4:7], s[0:1], 0x98
	s_sub_i32 s2, 0, s12
	s_abs_i32 s13, s15
	s_mul_i32 s2, s2, s38
	s_ashr_i32 s23, s15, 31
	s_mul_hi_u32 s2, s38, s2
	s_ashr_i32 s35, s35, 31
	s_add_i32 s38, s38, s2
	s_ashr_i32 s2, s3, 1
	s_mul_hi_u32 s3, s13, s38
	s_ashr_i32 s38, s33, 31
	s_load_b64 s[26:27], s[0:1], 0xa8
	s_mul_i32 s39, s3, s12
	v_lshrrev_b32_e32 v2, 3, v0
	v_dual_mov_b32 v15, 0xfeffffff :: v_dual_and_b32 v14, 28, v38
	v_lshlrev_b32_e32 v50, 2, v38
	v_mov_b32_e32 v64, 0
	s_delay_alu instid0(VALU_DEP_4)
	v_lshl_add_u32 v2, v4, 2, v2
	s_waitcnt lgkmcnt(0)
	s_ashr_i32 s17, s8, 2
	s_mul_i32 s5, s33, s5
	s_mul_hi_u32 s8, s33, s4
	s_mul_i32 s40, s38, s4
	s_add_i32 s5, s8, s5
	s_mul_i32 s4, s33, s4
	s_ashr_i32 s22, s6, 2
	s_add_i32 s5, s5, s40
	s_add_u32 s4, s18, s4
	s_addc_u32 s5, s19, s5
	s_sub_i32 s13, s13, s39
	s_xor_b32 s8, s23, s35
	s_add_i32 s18, s3, 1
	s_sub_i32 s19, s13, s12
	s_cmp_ge_u32 s13, s12
	s_mul_i32 s38, s38, s26
	s_cselect_b32 s3, s18, s3
	s_cselect_b32 s13, s19, s13
	s_add_i32 s18, s3, 1
	s_cmp_ge_u32 s13, s12
	s_mul_i32 s12, s33, s27
	s_cselect_b32 s3, s18, s3
	s_mul_hi_u32 s13, s33, s26
	s_xor_b32 s3, s3, s8
	v_mul_lo_u32 v6, s17, v2
	s_sub_i32 s3, s3, s8
	v_mul_lo_u32 v16, s22, v4
	s_mul_i32 s8, s3, s9
	s_mul_i32 s9, s33, s26
	s_ashr_i32 s19, s8, 31
	s_add_u32 s18, s4, s8
	s_addc_u32 s19, s5, s19
	s_add_i32 s4, s13, s12
	s_mul_i32 s3, s3, s7
	s_add_i32 s4, s4, s38
	s_add_u32 s5, s20, s9
	s_addc_u32 s4, s21, s4
	s_ashr_i32 s7, s3, 31
	s_add_u32 s20, s5, s3
	s_addc_u32 s21, s4, s7
	s_lshl_b32 s3, s17, 4
	s_delay_alu instid0(SALU_CYCLE_1)
	v_dual_mov_b32 v65, 0 :: v_dual_add_nc_u32 v8, s3, v6
	v_mov_b32_e32 v67, 0
	v_lshlrev_b32_e32 v3, 2, v14
	v_ashrrev_i32_e32 v7, 31, v6
	v_ashrrev_i32_e32 v17, 31, v16
	v_add_nc_u32_e32 v10, s3, v8
	v_ashrrev_i32_e32 v9, 31, v8
	v_mov_b32_e32 v69, 0
	v_mad_u32_u24 v46, 0x90, v2, v3
	v_lshl_add_u32 v53, v4, 7, 0x3600
	v_add_nc_u32_e32 v12, s3, v10
	s_movk_i32 s3, 0x480
	v_ashrrev_i32_e32 v11, 31, v10
	v_mad_u32_u24 v51, v4, s3, 0x2400
	s_and_b32 s3, s6, -4
	v_ashrrev_i32_e32 v13, 31, v12
	v_add_nc_u32_e32 v18, s3, v16
	v_lshl_add_u32 v54, v4, 10, v50
	v_lshlrev_b32_e32 v59, 3, v0
	v_mad_u64_u32 v[2:3], null, v5, s2, v[0:1]
	s_delay_alu instid0(VALU_DEP_4)
	v_ashrrev_i32_e32 v19, 31, v18
	v_lshlrev_b64 v[3:4], 2, v[6:7]
	v_lshlrev_b32_e32 v60, 2, v14
	v_lshlrev_b64 v[5:6], 2, v[8:9]
	v_lshlrev_b64 v[7:8], 2, v[10:11]
	;; [unrolled: 1-line block ×4, first 2 shown]
	v_mov_b32_e32 v16, 0
	v_lshlrev_b64 v[13:14], 2, v[18:19]
	v_dual_mov_b32 v66, 0 :: v_dual_add_nc_u32 v47, 0x900, v46
	v_dual_mov_b32 v71, 0 :: v_dual_add_nc_u32 v48, 0x1200, v46
	;; [unrolled: 1-line block ×3, first 2 shown]
	v_mul_u32_u24_e32 v52, 0x90, v0
	v_lshl_add_u32 v55, v0, 1, v53
	v_add_nc_u32_e32 v56, 0x200, v54
	v_dual_mov_b32 v68, 0 :: v_dual_add_nc_u32 v57, 0x1000, v54
	v_add_nc_u32_e32 v58, 0x1200, v54
	v_xor_b32_e32 v45, 16, v40
	v_xor_b32_e32 v44, 8, v40
	;; [unrolled: 1-line block ×5, first 2 shown]
	v_add_nc_u32_e32 v61, 0x800, v59
	v_add_nc_u32_e32 v62, 0x1000, v59
	;; [unrolled: 1-line block ×3, first 2 shown]
	s_add_u32 s8, s0, 0xd0
	s_addc_u32 s9, s1, 0
.LBB20_11:                              ; =>This Inner Loop Header: Depth=1
	s_mul_hi_i32 s7, s16, s17
	s_mul_i32 s6, s16, s17
	v_cmp_gt_i32_e64 s5, 32, v41
	v_cmp_gt_i32_e32 vcc_lo, 32, v45
	v_cmp_gt_i32_e64 s2, 32, v44
	v_cmp_gt_i32_e64 s3, 32, v43
	;; [unrolled: 1-line block ×3, first 2 shown]
	s_lshl_b64 s[6:7], s[6:7], 2
	s_mul_hi_i32 s13, s16, s22
	s_mul_i32 s12, s16, s22
	s_add_u32 s23, s18, s6
	v_cndmask_b32_e64 v21, v40, v41, s5
	s_addc_u32 s5, s19, s7
	s_lshl_b64 s[6:7], s[12:13], 2
	v_cndmask_b32_e64 v18, v40, v44, s2
	v_cndmask_b32_e64 v19, v40, v43, s3
	v_cndmask_b32_e32 v17, v40, v45, vcc_lo
	v_cndmask_b32_e64 v20, v40, v42, s4
	v_add_co_u32 v22, vcc_lo, s23, v5
	s_delay_alu instid0(VALU_DEP_4)
	v_lshlrev_b32_e32 v78, 2, v19
	v_add_co_u32 v23, s2, s23, v7
	v_add_co_u32 v24, s3, s23, v9
	;; [unrolled: 1-line block ×3, first 2 shown]
	s_add_u32 s6, s20, s6
	v_add_co_ci_u32_e64 v26, s4, s5, v4, s4
	v_add_co_ci_u32_e32 v27, vcc_lo, s5, v6, vcc_lo
	v_add_co_ci_u32_e64 v28, vcc_lo, s5, v8, s2
	v_add_co_ci_u32_e64 v29, vcc_lo, s5, v10, s3
	s_addc_u32 s3, s21, s7
	s_or_b32 s4, s16, 8
	v_add_co_u32 v81, vcc_lo, s6, v13
	v_add_co_u32 v82, s2, s6, v11
	v_lshlrev_b32_e32 v79, 2, v18
	s_mul_hi_i32 s7, s4, s22
	s_mul_i32 s6, s4, s22
	v_add_co_ci_u32_e32 v18, vcc_lo, s3, v14, vcc_lo
	v_add_co_u32 v36, s4, v25, v60
	v_dual_mov_b32 v75, v16 :: v_dual_lshlrev_b32 v80, 2, v17
	v_add_co_ci_u32_e64 v17, s2, s3, v12, s2
	v_add_co_u32 v30, vcc_lo, v22, v60
	v_add_co_u32 v32, s2, v23, v60
	v_add_co_ci_u32_e64 v37, s4, 0, v26, s4
	v_add_co_u32 v34, s3, v24, v60
	v_add_co_ci_u32_e32 v31, vcc_lo, 0, v27, vcc_lo
	v_add_co_ci_u32_e64 v33, vcc_lo, 0, v28, s2
	v_add_co_ci_u32_e64 v35, vcc_lo, 0, v29, s3
	v_add_co_u32 v24, vcc_lo, v81, v50
	v_add_co_u32 v26, s2, v82, v50
	s_clause 0x3
	global_load_b128 v[81:84], v[36:37], off
	global_load_b128 v[85:88], v[30:31], off
	;; [unrolled: 1-line block ×4, first 2 shown]
	v_dual_mov_b32 v72, v15 :: v_dual_mov_b32 v73, 0
	v_dual_mov_b32 v74, 0 :: v_dual_add_nc_u32 v15, s16, v2
	s_lshl_b64 s[6:7], s[6:7], 2
	v_add_co_ci_u32_e64 v27, s2, 0, v17, s2
	s_add_u32 s3, s20, s6
	s_delay_alu instid0(VALU_DEP_2) | instskip(SKIP_3) | instid1(VALU_DEP_2)
	v_ashrrev_i32_e32 v16, 31, v15
	v_add_co_ci_u32_e32 v25, vcc_lo, 0, v18, vcc_lo
	s_addc_u32 s6, s21, s7
	s_or_b32 s4, s16, 16
	v_lshlrev_b64 v[15:16], 1, v[15:16]
	s_mul_hi_i32 s5, s4, s22
	s_mul_i32 s4, s4, s22
	v_lshlrev_b32_e32 v77, 2, v20
	s_waitcnt vmcnt(3)
	ds_store_b128 v46, v[81:84]
	s_waitcnt vmcnt(2)
	ds_store_b128 v47, v[85:88]
	;; [unrolled: 2-line block ×4, first 2 shown]
	s_waitcnt lgkmcnt(0)
	s_barrier
	buffer_gl0_inv
	ds_load_b128 v[81:84], v52
	ds_load_b128 v[85:88], v51
	ds_load_b128 v[89:92], v52 offset:4608
	s_waitcnt lgkmcnt(1)
	;;#ASMSTART
	v_dot2_f32_f16 v73, v81, v85, v73
	;;#ASMEND
	;;#ASMSTART
	v_dot2_f32_f16 v73, v82, v86, v73
	;;#ASMEND
	;;#ASMSTART
	v_dot2_f32_f16 v73, v83, v87, v73
	;;#ASMEND
	;;#ASMSTART
	v_dot2_f32_f16 v73, v84, v88, v73
	;;#ASMEND
	s_waitcnt lgkmcnt(0)
	;;#ASMSTART
	v_dot2_f32_f16 v74, v89, v85, v74
	;;#ASMEND
	;;#ASMSTART
	v_dot2_f32_f16 v74, v90, v86, v74
	;;#ASMEND
	;;#ASMSTART
	v_dot2_f32_f16 v74, v91, v87, v74
	;;#ASMEND
	;;#ASMSTART
	v_dot2_f32_f16 v74, v92, v88, v74
	;;#ASMEND
	ds_load_b128 v[81:84], v52 offset:16
	ds_load_b128 v[85:88], v51 offset:16
	ds_load_b128 v[89:92], v52 offset:4624
	s_waitcnt lgkmcnt(1)
	;;#ASMSTART
	v_dot2_f32_f16 v73, v81, v85, v73
	;;#ASMEND
	;;#ASMSTART
	v_dot2_f32_f16 v73, v82, v86, v73
	;;#ASMEND
	;;#ASMSTART
	v_dot2_f32_f16 v73, v83, v87, v73
	;;#ASMEND
	;;#ASMSTART
	v_dot2_f32_f16 v73, v84, v88, v73
	;;#ASMEND
	s_waitcnt lgkmcnt(0)
	;;#ASMSTART
	v_dot2_f32_f16 v74, v89, v85, v74
	;;#ASMEND
	;;#ASMSTART
	v_dot2_f32_f16 v74, v90, v86, v74
	;;#ASMEND
	;;#ASMSTART
	v_dot2_f32_f16 v74, v91, v87, v74
	;;#ASMEND
	;;#ASMSTART
	v_dot2_f32_f16 v74, v92, v88, v74
	;;#ASMEND
	ds_load_b128 v[81:84], v52 offset:32
	ds_load_b128 v[85:88], v51 offset:32
	;; [unrolled: 29-line block ×7, first 2 shown]
	ds_load_b128 v[89:92], v52 offset:4720
	s_waitcnt lgkmcnt(1)
	;;#ASMSTART
	v_dot2_f32_f16 v73, v81, v85, v73
	;;#ASMEND
	;;#ASMSTART
	v_dot2_f32_f16 v73, v82, v86, v73
	;;#ASMEND
	;; [unrolled: 3-line block ×4, first 2 shown]
	s_waitcnt lgkmcnt(0)
	;;#ASMSTART
	v_dot2_f32_f16 v74, v89, v85, v74
	;;#ASMEND
	;;#ASMSTART
	v_dot2_f32_f16 v74, v90, v86, v74
	;;#ASMEND
	;; [unrolled: 3-line block ×4, first 2 shown]
	s_barrier
	buffer_gl0_inv
	s_clause 0x3
	global_load_b128 v[81:84], v[36:37], off offset:128
	global_load_b128 v[85:88], v[30:31], off offset:128
	;; [unrolled: 1-line block ×4, first 2 shown]
	v_add_co_u32 v28, vcc_lo, s36, v15
	v_add_co_u32 v15, s2, s3, v11
	v_add_co_u32 v17, s3, s3, v13
	v_add_co_ci_u32_e32 v29, vcc_lo, s37, v16, vcc_lo
	v_add_co_ci_u32_e64 v18, vcc_lo, s6, v14, s3
	v_add_co_ci_u32_e64 v16, vcc_lo, s6, v12, s2
	s_lshl_b64 s[2:3], s[4:5], 2
	v_add_co_u32 v20, vcc_lo, v17, v50
	s_add_u32 s4, s20, s2
	v_add_co_u32 v22, s2, v15, v50
	s_addc_u32 s3, s21, s3
	s_or_b32 s6, s16, 24
	v_add_co_ci_u32_e64 v23, s2, 0, v16, s2
	v_add_co_u32 v17, s2, s4, v11
	s_mul_hi_i32 s5, s6, s22
	v_add_co_ci_u32_e64 v19, s2, s3, v12, s2
	s_waitcnt vmcnt(3)
	ds_store_b128 v46, v[81:84]
	s_waitcnt vmcnt(2)
	ds_store_b128 v47, v[85:88]
	s_waitcnt vmcnt(1)
	ds_store_b128 v48, v[89:92]
	s_waitcnt vmcnt(0)
	ds_store_b128 v49, v[93:96]
	s_waitcnt lgkmcnt(0)
	s_barrier
	buffer_gl0_inv
	ds_load_b128 v[81:84], v52
	ds_load_b128 v[85:88], v51 offset:128
	ds_load_b128 v[89:92], v52 offset:4608
	s_waitcnt lgkmcnt(1)
	;;#ASMSTART
	v_dot2_f32_f16 v73, v81, v85, v73
	;;#ASMEND
	;;#ASMSTART
	v_dot2_f32_f16 v73, v82, v86, v73
	;;#ASMEND
	;;#ASMSTART
	v_dot2_f32_f16 v73, v83, v87, v73
	;;#ASMEND
	;;#ASMSTART
	v_dot2_f32_f16 v73, v84, v88, v73
	;;#ASMEND
	s_waitcnt lgkmcnt(0)
	;;#ASMSTART
	v_dot2_f32_f16 v74, v89, v85, v74
	;;#ASMEND
	;;#ASMSTART
	v_dot2_f32_f16 v74, v90, v86, v74
	;;#ASMEND
	;;#ASMSTART
	v_dot2_f32_f16 v74, v91, v87, v74
	;;#ASMEND
	;;#ASMSTART
	v_dot2_f32_f16 v74, v92, v88, v74
	;;#ASMEND
	ds_load_b128 v[81:84], v52 offset:16
	ds_load_b128 v[85:88], v51 offset:144
	ds_load_b128 v[89:92], v52 offset:4624
	s_waitcnt lgkmcnt(1)
	;;#ASMSTART
	v_dot2_f32_f16 v73, v81, v85, v73
	;;#ASMEND
	;;#ASMSTART
	v_dot2_f32_f16 v73, v82, v86, v73
	;;#ASMEND
	;;#ASMSTART
	v_dot2_f32_f16 v73, v83, v87, v73
	;;#ASMEND
	;;#ASMSTART
	v_dot2_f32_f16 v73, v84, v88, v73
	;;#ASMEND
	s_waitcnt lgkmcnt(0)
	;;#ASMSTART
	v_dot2_f32_f16 v74, v89, v85, v74
	;;#ASMEND
	;;#ASMSTART
	v_dot2_f32_f16 v74, v90, v86, v74
	;;#ASMEND
	;;#ASMSTART
	v_dot2_f32_f16 v74, v91, v87, v74
	;;#ASMEND
	;;#ASMSTART
	v_dot2_f32_f16 v74, v92, v88, v74
	;;#ASMEND
	ds_load_b128 v[81:84], v52 offset:32
	;; [unrolled: 29-line block ×7, first 2 shown]
	ds_load_b128 v[85:88], v51 offset:240
	ds_load_b128 v[89:92], v52 offset:4720
	s_waitcnt lgkmcnt(1)
	;;#ASMSTART
	v_dot2_f32_f16 v73, v81, v85, v73
	;;#ASMEND
	;;#ASMSTART
	v_dot2_f32_f16 v73, v82, v86, v73
	;;#ASMEND
	;; [unrolled: 3-line block ×4, first 2 shown]
	s_waitcnt lgkmcnt(0)
	;;#ASMSTART
	v_dot2_f32_f16 v74, v89, v85, v74
	;;#ASMEND
	;;#ASMSTART
	v_dot2_f32_f16 v74, v90, v86, v74
	;;#ASMEND
	;; [unrolled: 3-line block ×4, first 2 shown]
	s_barrier
	buffer_gl0_inv
	s_clause 0x3
	global_load_b128 v[81:84], v[36:37], off offset:256
	global_load_b128 v[85:88], v[30:31], off offset:256
	;; [unrolled: 1-line block ×4, first 2 shown]
	s_waitcnt vmcnt(3)
	ds_store_b128 v46, v[81:84]
	s_waitcnt vmcnt(2)
	ds_store_b128 v47, v[85:88]
	;; [unrolled: 2-line block ×4, first 2 shown]
	s_waitcnt lgkmcnt(0)
	s_barrier
	buffer_gl0_inv
	ds_load_b128 v[81:84], v52
	ds_load_b128 v[85:88], v51 offset:256
	ds_load_b128 v[89:92], v52 offset:4608
	s_waitcnt lgkmcnt(1)
	;;#ASMSTART
	v_dot2_f32_f16 v73, v81, v85, v73
	;;#ASMEND
	;;#ASMSTART
	v_dot2_f32_f16 v73, v82, v86, v73
	;;#ASMEND
	;;#ASMSTART
	v_dot2_f32_f16 v73, v83, v87, v73
	;;#ASMEND
	;;#ASMSTART
	v_dot2_f32_f16 v73, v84, v88, v73
	;;#ASMEND
	s_waitcnt lgkmcnt(0)
	;;#ASMSTART
	v_dot2_f32_f16 v74, v89, v85, v74
	;;#ASMEND
	;;#ASMSTART
	v_dot2_f32_f16 v74, v90, v86, v74
	;;#ASMEND
	;;#ASMSTART
	v_dot2_f32_f16 v74, v91, v87, v74
	;;#ASMEND
	;;#ASMSTART
	v_dot2_f32_f16 v74, v92, v88, v74
	;;#ASMEND
	ds_load_b128 v[81:84], v52 offset:16
	ds_load_b128 v[85:88], v51 offset:272
	ds_load_b128 v[89:92], v52 offset:4624
	s_waitcnt lgkmcnt(1)
	;;#ASMSTART
	v_dot2_f32_f16 v73, v81, v85, v73
	;;#ASMEND
	;;#ASMSTART
	v_dot2_f32_f16 v73, v82, v86, v73
	;;#ASMEND
	;;#ASMSTART
	v_dot2_f32_f16 v73, v83, v87, v73
	;;#ASMEND
	;;#ASMSTART
	v_dot2_f32_f16 v73, v84, v88, v73
	;;#ASMEND
	s_waitcnt lgkmcnt(0)
	;;#ASMSTART
	v_dot2_f32_f16 v74, v89, v85, v74
	;;#ASMEND
	;;#ASMSTART
	v_dot2_f32_f16 v74, v90, v86, v74
	;;#ASMEND
	;;#ASMSTART
	v_dot2_f32_f16 v74, v91, v87, v74
	;;#ASMEND
	;;#ASMSTART
	v_dot2_f32_f16 v74, v92, v88, v74
	;;#ASMEND
	ds_load_b128 v[81:84], v52 offset:32
	ds_load_b128 v[85:88], v51 offset:288
	ds_load_b128 v[89:92], v52 offset:4640
	s_waitcnt lgkmcnt(1)
	;;#ASMSTART
	v_dot2_f32_f16 v73, v81, v85, v73
	;;#ASMEND
	;;#ASMSTART
	v_dot2_f32_f16 v73, v82, v86, v73
	;;#ASMEND
	;;#ASMSTART
	v_dot2_f32_f16 v73, v83, v87, v73
	;;#ASMEND
	;;#ASMSTART
	v_dot2_f32_f16 v73, v84, v88, v73
	;;#ASMEND
	s_waitcnt lgkmcnt(0)
	;;#ASMSTART
	v_dot2_f32_f16 v74, v89, v85, v74
	;;#ASMEND
	;;#ASMSTART
	v_dot2_f32_f16 v74, v90, v86, v74
	;;#ASMEND
	;;#ASMSTART
	v_dot2_f32_f16 v74, v91, v87, v74
	;;#ASMEND
	;;#ASMSTART
	v_dot2_f32_f16 v74, v92, v88, v74
	;;#ASMEND
	ds_load_b128 v[81:84], v52 offset:48
	ds_load_b128 v[85:88], v51 offset:304
	ds_load_b128 v[89:92], v52 offset:4656
	s_waitcnt lgkmcnt(1)
	;;#ASMSTART
	v_dot2_f32_f16 v73, v81, v85, v73
	;;#ASMEND
	;;#ASMSTART
	v_dot2_f32_f16 v73, v82, v86, v73
	;;#ASMEND
	;;#ASMSTART
	v_dot2_f32_f16 v73, v83, v87, v73
	;;#ASMEND
	;;#ASMSTART
	v_dot2_f32_f16 v73, v84, v88, v73
	;;#ASMEND
	s_waitcnt lgkmcnt(0)
	;;#ASMSTART
	v_dot2_f32_f16 v74, v89, v85, v74
	;;#ASMEND
	;;#ASMSTART
	v_dot2_f32_f16 v74, v90, v86, v74
	;;#ASMEND
	;;#ASMSTART
	v_dot2_f32_f16 v74, v91, v87, v74
	;;#ASMEND
	;;#ASMSTART
	v_dot2_f32_f16 v74, v92, v88, v74
	;;#ASMEND
	ds_load_b128 v[81:84], v52 offset:64
	ds_load_b128 v[85:88], v51 offset:320
	ds_load_b128 v[89:92], v52 offset:4672
	s_waitcnt lgkmcnt(1)
	;;#ASMSTART
	v_dot2_f32_f16 v73, v81, v85, v73
	;;#ASMEND
	;;#ASMSTART
	v_dot2_f32_f16 v73, v82, v86, v73
	;;#ASMEND
	;;#ASMSTART
	v_dot2_f32_f16 v73, v83, v87, v73
	;;#ASMEND
	;;#ASMSTART
	v_dot2_f32_f16 v73, v84, v88, v73
	;;#ASMEND
	s_waitcnt lgkmcnt(0)
	;;#ASMSTART
	v_dot2_f32_f16 v74, v89, v85, v74
	;;#ASMEND
	;;#ASMSTART
	v_dot2_f32_f16 v74, v90, v86, v74
	;;#ASMEND
	;;#ASMSTART
	v_dot2_f32_f16 v74, v91, v87, v74
	;;#ASMEND
	;;#ASMSTART
	v_dot2_f32_f16 v74, v92, v88, v74
	;;#ASMEND
	ds_load_b128 v[81:84], v52 offset:80
	ds_load_b128 v[85:88], v51 offset:336
	ds_load_b128 v[89:92], v52 offset:4688
	s_waitcnt lgkmcnt(1)
	;;#ASMSTART
	v_dot2_f32_f16 v73, v81, v85, v73
	;;#ASMEND
	;;#ASMSTART
	v_dot2_f32_f16 v73, v82, v86, v73
	;;#ASMEND
	;;#ASMSTART
	v_dot2_f32_f16 v73, v83, v87, v73
	;;#ASMEND
	;;#ASMSTART
	v_dot2_f32_f16 v73, v84, v88, v73
	;;#ASMEND
	s_waitcnt lgkmcnt(0)
	;;#ASMSTART
	v_dot2_f32_f16 v74, v89, v85, v74
	;;#ASMEND
	;;#ASMSTART
	v_dot2_f32_f16 v74, v90, v86, v74
	;;#ASMEND
	;;#ASMSTART
	v_dot2_f32_f16 v74, v91, v87, v74
	;;#ASMEND
	;;#ASMSTART
	v_dot2_f32_f16 v74, v92, v88, v74
	;;#ASMEND
	ds_load_b128 v[81:84], v52 offset:96
	ds_load_b128 v[85:88], v51 offset:352
	ds_load_b128 v[89:92], v52 offset:4704
	s_waitcnt lgkmcnt(1)
	;;#ASMSTART
	v_dot2_f32_f16 v73, v81, v85, v73
	;;#ASMEND
	;;#ASMSTART
	v_dot2_f32_f16 v73, v82, v86, v73
	;;#ASMEND
	;;#ASMSTART
	v_dot2_f32_f16 v73, v83, v87, v73
	;;#ASMEND
	;;#ASMSTART
	v_dot2_f32_f16 v73, v84, v88, v73
	;;#ASMEND
	s_waitcnt lgkmcnt(0)
	;;#ASMSTART
	v_dot2_f32_f16 v74, v89, v85, v74
	;;#ASMEND
	;;#ASMSTART
	v_dot2_f32_f16 v74, v90, v86, v74
	;;#ASMEND
	;;#ASMSTART
	v_dot2_f32_f16 v74, v91, v87, v74
	;;#ASMEND
	;;#ASMSTART
	v_dot2_f32_f16 v74, v92, v88, v74
	;;#ASMEND
	ds_load_b128 v[81:84], v52 offset:112
	ds_load_b128 v[85:88], v51 offset:368
	ds_load_b128 v[89:92], v52 offset:4720
	s_waitcnt lgkmcnt(1)
	;;#ASMSTART
	v_dot2_f32_f16 v73, v81, v85, v73
	;;#ASMEND
	;;#ASMSTART
	v_dot2_f32_f16 v73, v82, v86, v73
	;;#ASMEND
	;; [unrolled: 3-line block ×4, first 2 shown]
	s_waitcnt lgkmcnt(0)
	;;#ASMSTART
	v_dot2_f32_f16 v74, v89, v85, v74
	;;#ASMEND
	;;#ASMSTART
	v_dot2_f32_f16 v74, v90, v86, v74
	;;#ASMEND
	;; [unrolled: 3-line block ×4, first 2 shown]
	s_barrier
	buffer_gl0_inv
	s_clause 0x3
	global_load_b128 v[81:84], v[36:37], off offset:384
	global_load_b128 v[85:88], v[30:31], off offset:384
	;; [unrolled: 1-line block ×4, first 2 shown]
	s_waitcnt vmcnt(3)
	ds_store_b128 v46, v[81:84]
	s_waitcnt vmcnt(2)
	ds_store_b128 v47, v[85:88]
	;; [unrolled: 2-line block ×4, first 2 shown]
	s_waitcnt lgkmcnt(0)
	s_barrier
	buffer_gl0_inv
	ds_load_b128 v[81:84], v52
	ds_load_b128 v[85:88], v51 offset:384
	ds_load_b128 v[89:92], v52 offset:4608
	s_waitcnt lgkmcnt(1)
	;;#ASMSTART
	v_dot2_f32_f16 v73, v81, v85, v73
	;;#ASMEND
	;;#ASMSTART
	v_dot2_f32_f16 v73, v82, v86, v73
	;;#ASMEND
	;;#ASMSTART
	v_dot2_f32_f16 v73, v83, v87, v73
	;;#ASMEND
	;;#ASMSTART
	v_dot2_f32_f16 v73, v84, v88, v73
	;;#ASMEND
	s_waitcnt lgkmcnt(0)
	;;#ASMSTART
	v_dot2_f32_f16 v74, v89, v85, v74
	;;#ASMEND
	;;#ASMSTART
	v_dot2_f32_f16 v74, v90, v86, v74
	;;#ASMEND
	;;#ASMSTART
	v_dot2_f32_f16 v74, v91, v87, v74
	;;#ASMEND
	;;#ASMSTART
	v_dot2_f32_f16 v74, v92, v88, v74
	;;#ASMEND
	ds_load_b128 v[81:84], v52 offset:16
	ds_load_b128 v[85:88], v51 offset:400
	ds_load_b128 v[89:92], v52 offset:4624
	s_waitcnt lgkmcnt(1)
	;;#ASMSTART
	v_dot2_f32_f16 v73, v81, v85, v73
	;;#ASMEND
	;;#ASMSTART
	v_dot2_f32_f16 v73, v82, v86, v73
	;;#ASMEND
	;;#ASMSTART
	v_dot2_f32_f16 v73, v83, v87, v73
	;;#ASMEND
	;;#ASMSTART
	v_dot2_f32_f16 v73, v84, v88, v73
	;;#ASMEND
	s_waitcnt lgkmcnt(0)
	;;#ASMSTART
	v_dot2_f32_f16 v74, v89, v85, v74
	;;#ASMEND
	;;#ASMSTART
	v_dot2_f32_f16 v74, v90, v86, v74
	;;#ASMEND
	;;#ASMSTART
	v_dot2_f32_f16 v74, v91, v87, v74
	;;#ASMEND
	;;#ASMSTART
	v_dot2_f32_f16 v74, v92, v88, v74
	;;#ASMEND
	ds_load_b128 v[81:84], v52 offset:32
	;; [unrolled: 29-line block ×7, first 2 shown]
	ds_load_b128 v[85:88], v51 offset:496
	ds_load_b128 v[89:92], v52 offset:4720
	s_waitcnt lgkmcnt(1)
	;;#ASMSTART
	v_dot2_f32_f16 v73, v81, v85, v73
	;;#ASMEND
	;;#ASMSTART
	v_dot2_f32_f16 v73, v82, v86, v73
	;;#ASMEND
	;;#ASMSTART
	v_dot2_f32_f16 v73, v83, v87, v73
	;;#ASMEND
	;;#ASMSTART
	v_dot2_f32_f16 v73, v84, v88, v73
	;;#ASMEND
	s_waitcnt lgkmcnt(0)
	;;#ASMSTART
	v_dot2_f32_f16 v74, v89, v85, v74
	;;#ASMEND
	;;#ASMSTART
	v_dot2_f32_f16 v74, v90, v86, v74
	;;#ASMEND
	;; [unrolled: 3-line block ×4, first 2 shown]
	s_barrier
	buffer_gl0_inv
	s_clause 0x3
	global_load_b128 v[81:84], v[36:37], off offset:512
	global_load_b128 v[85:88], v[30:31], off offset:512
	global_load_b128 v[89:92], v[32:33], off offset:512
	global_load_b128 v[93:96], v[34:35], off offset:512
	s_waitcnt vmcnt(3)
	ds_store_b128 v46, v[81:84]
	s_waitcnt vmcnt(2)
	ds_store_b128 v47, v[85:88]
	;; [unrolled: 2-line block ×4, first 2 shown]
	s_waitcnt lgkmcnt(0)
	s_barrier
	buffer_gl0_inv
	ds_load_b128 v[81:84], v52
	ds_load_b128 v[85:88], v51 offset:512
	ds_load_b128 v[89:92], v52 offset:4608
	s_waitcnt lgkmcnt(1)
	;;#ASMSTART
	v_dot2_f32_f16 v73, v81, v85, v73
	;;#ASMEND
	;;#ASMSTART
	v_dot2_f32_f16 v73, v82, v86, v73
	;;#ASMEND
	;;#ASMSTART
	v_dot2_f32_f16 v73, v83, v87, v73
	;;#ASMEND
	;;#ASMSTART
	v_dot2_f32_f16 v73, v84, v88, v73
	;;#ASMEND
	s_waitcnt lgkmcnt(0)
	;;#ASMSTART
	v_dot2_f32_f16 v74, v89, v85, v74
	;;#ASMEND
	;;#ASMSTART
	v_dot2_f32_f16 v74, v90, v86, v74
	;;#ASMEND
	;;#ASMSTART
	v_dot2_f32_f16 v74, v91, v87, v74
	;;#ASMEND
	;;#ASMSTART
	v_dot2_f32_f16 v74, v92, v88, v74
	;;#ASMEND
	ds_load_b128 v[81:84], v52 offset:16
	ds_load_b128 v[85:88], v51 offset:528
	ds_load_b128 v[89:92], v52 offset:4624
	s_waitcnt lgkmcnt(1)
	;;#ASMSTART
	v_dot2_f32_f16 v73, v81, v85, v73
	;;#ASMEND
	;;#ASMSTART
	v_dot2_f32_f16 v73, v82, v86, v73
	;;#ASMEND
	;;#ASMSTART
	v_dot2_f32_f16 v73, v83, v87, v73
	;;#ASMEND
	;;#ASMSTART
	v_dot2_f32_f16 v73, v84, v88, v73
	;;#ASMEND
	s_waitcnt lgkmcnt(0)
	;;#ASMSTART
	v_dot2_f32_f16 v74, v89, v85, v74
	;;#ASMEND
	;;#ASMSTART
	v_dot2_f32_f16 v74, v90, v86, v74
	;;#ASMEND
	;;#ASMSTART
	v_dot2_f32_f16 v74, v91, v87, v74
	;;#ASMEND
	;;#ASMSTART
	v_dot2_f32_f16 v74, v92, v88, v74
	;;#ASMEND
	ds_load_b128 v[81:84], v52 offset:32
	;; [unrolled: 29-line block ×7, first 2 shown]
	ds_load_b128 v[85:88], v51 offset:624
	ds_load_b128 v[89:92], v52 offset:4720
	s_waitcnt lgkmcnt(1)
	;;#ASMSTART
	v_dot2_f32_f16 v73, v81, v85, v73
	;;#ASMEND
	;;#ASMSTART
	v_dot2_f32_f16 v73, v82, v86, v73
	;;#ASMEND
	;;#ASMSTART
	v_dot2_f32_f16 v73, v83, v87, v73
	;;#ASMEND
	;;#ASMSTART
	v_dot2_f32_f16 v73, v84, v88, v73
	;;#ASMEND
	s_waitcnt lgkmcnt(0)
	;;#ASMSTART
	v_dot2_f32_f16 v74, v89, v85, v74
	;;#ASMEND
	;;#ASMSTART
	v_dot2_f32_f16 v74, v90, v86, v74
	;;#ASMEND
	;; [unrolled: 3-line block ×4, first 2 shown]
	s_barrier
	buffer_gl0_inv
	s_clause 0x3
	global_load_b128 v[81:84], v[36:37], off offset:640
	global_load_b128 v[85:88], v[30:31], off offset:640
	;; [unrolled: 1-line block ×4, first 2 shown]
	s_waitcnt vmcnt(3)
	ds_store_b128 v46, v[81:84]
	s_waitcnt vmcnt(2)
	ds_store_b128 v47, v[85:88]
	s_waitcnt vmcnt(1)
	ds_store_b128 v48, v[89:92]
	s_waitcnt vmcnt(0)
	ds_store_b128 v49, v[93:96]
	s_waitcnt lgkmcnt(0)
	s_barrier
	buffer_gl0_inv
	ds_load_b128 v[81:84], v52
	ds_load_b128 v[85:88], v51 offset:640
	ds_load_b128 v[89:92], v52 offset:4608
	s_waitcnt lgkmcnt(1)
	;;#ASMSTART
	v_dot2_f32_f16 v73, v81, v85, v73
	;;#ASMEND
	;;#ASMSTART
	v_dot2_f32_f16 v73, v82, v86, v73
	;;#ASMEND
	;;#ASMSTART
	v_dot2_f32_f16 v73, v83, v87, v73
	;;#ASMEND
	;;#ASMSTART
	v_dot2_f32_f16 v73, v84, v88, v73
	;;#ASMEND
	s_waitcnt lgkmcnt(0)
	;;#ASMSTART
	v_dot2_f32_f16 v74, v89, v85, v74
	;;#ASMEND
	;;#ASMSTART
	v_dot2_f32_f16 v74, v90, v86, v74
	;;#ASMEND
	;;#ASMSTART
	v_dot2_f32_f16 v74, v91, v87, v74
	;;#ASMEND
	;;#ASMSTART
	v_dot2_f32_f16 v74, v92, v88, v74
	;;#ASMEND
	ds_load_b128 v[81:84], v52 offset:16
	ds_load_b128 v[85:88], v51 offset:656
	ds_load_b128 v[89:92], v52 offset:4624
	s_waitcnt lgkmcnt(1)
	;;#ASMSTART
	v_dot2_f32_f16 v73, v81, v85, v73
	;;#ASMEND
	;;#ASMSTART
	v_dot2_f32_f16 v73, v82, v86, v73
	;;#ASMEND
	;;#ASMSTART
	v_dot2_f32_f16 v73, v83, v87, v73
	;;#ASMEND
	;;#ASMSTART
	v_dot2_f32_f16 v73, v84, v88, v73
	;;#ASMEND
	s_waitcnt lgkmcnt(0)
	;;#ASMSTART
	v_dot2_f32_f16 v74, v89, v85, v74
	;;#ASMEND
	;;#ASMSTART
	v_dot2_f32_f16 v74, v90, v86, v74
	;;#ASMEND
	;;#ASMSTART
	v_dot2_f32_f16 v74, v91, v87, v74
	;;#ASMEND
	;;#ASMSTART
	v_dot2_f32_f16 v74, v92, v88, v74
	;;#ASMEND
	ds_load_b128 v[81:84], v52 offset:32
	;; [unrolled: 29-line block ×7, first 2 shown]
	ds_load_b128 v[85:88], v51 offset:752
	ds_load_b128 v[89:92], v52 offset:4720
	s_waitcnt lgkmcnt(1)
	;;#ASMSTART
	v_dot2_f32_f16 v73, v81, v85, v73
	;;#ASMEND
	;;#ASMSTART
	v_dot2_f32_f16 v73, v82, v86, v73
	;;#ASMEND
	;; [unrolled: 3-line block ×4, first 2 shown]
	s_waitcnt lgkmcnt(0)
	;;#ASMSTART
	v_dot2_f32_f16 v74, v89, v85, v74
	;;#ASMEND
	;;#ASMSTART
	v_dot2_f32_f16 v74, v90, v86, v74
	;;#ASMEND
	;; [unrolled: 3-line block ×4, first 2 shown]
	s_barrier
	buffer_gl0_inv
	s_clause 0x3
	global_load_b128 v[81:84], v[36:37], off offset:768
	global_load_b128 v[85:88], v[30:31], off offset:768
	;; [unrolled: 1-line block ×4, first 2 shown]
	s_waitcnt vmcnt(3)
	ds_store_b128 v46, v[81:84]
	s_waitcnt vmcnt(2)
	ds_store_b128 v47, v[85:88]
	;; [unrolled: 2-line block ×4, first 2 shown]
	s_waitcnt lgkmcnt(0)
	s_barrier
	buffer_gl0_inv
	ds_load_b128 v[81:84], v52
	ds_load_b128 v[85:88], v51 offset:768
	ds_load_b128 v[89:92], v52 offset:4608
	s_waitcnt lgkmcnt(1)
	;;#ASMSTART
	v_dot2_f32_f16 v73, v81, v85, v73
	;;#ASMEND
	;;#ASMSTART
	v_dot2_f32_f16 v73, v82, v86, v73
	;;#ASMEND
	;;#ASMSTART
	v_dot2_f32_f16 v73, v83, v87, v73
	;;#ASMEND
	;;#ASMSTART
	v_dot2_f32_f16 v73, v84, v88, v73
	;;#ASMEND
	s_waitcnt lgkmcnt(0)
	;;#ASMSTART
	v_dot2_f32_f16 v74, v89, v85, v74
	;;#ASMEND
	;;#ASMSTART
	v_dot2_f32_f16 v74, v90, v86, v74
	;;#ASMEND
	;;#ASMSTART
	v_dot2_f32_f16 v74, v91, v87, v74
	;;#ASMEND
	;;#ASMSTART
	v_dot2_f32_f16 v74, v92, v88, v74
	;;#ASMEND
	ds_load_b128 v[81:84], v52 offset:16
	ds_load_b128 v[85:88], v51 offset:784
	ds_load_b128 v[89:92], v52 offset:4624
	s_waitcnt lgkmcnt(1)
	;;#ASMSTART
	v_dot2_f32_f16 v73, v81, v85, v73
	;;#ASMEND
	;;#ASMSTART
	v_dot2_f32_f16 v73, v82, v86, v73
	;;#ASMEND
	;;#ASMSTART
	v_dot2_f32_f16 v73, v83, v87, v73
	;;#ASMEND
	;;#ASMSTART
	v_dot2_f32_f16 v73, v84, v88, v73
	;;#ASMEND
	s_waitcnt lgkmcnt(0)
	;;#ASMSTART
	v_dot2_f32_f16 v74, v89, v85, v74
	;;#ASMEND
	;;#ASMSTART
	v_dot2_f32_f16 v74, v90, v86, v74
	;;#ASMEND
	;;#ASMSTART
	v_dot2_f32_f16 v74, v91, v87, v74
	;;#ASMEND
	;;#ASMSTART
	v_dot2_f32_f16 v74, v92, v88, v74
	;;#ASMEND
	ds_load_b128 v[81:84], v52 offset:32
	;; [unrolled: 29-line block ×7, first 2 shown]
	ds_load_b128 v[85:88], v51 offset:880
	ds_load_b128 v[89:92], v52 offset:4720
	s_waitcnt lgkmcnt(1)
	;;#ASMSTART
	v_dot2_f32_f16 v73, v81, v85, v73
	;;#ASMEND
	;;#ASMSTART
	v_dot2_f32_f16 v73, v82, v86, v73
	;;#ASMEND
	;; [unrolled: 3-line block ×4, first 2 shown]
	s_waitcnt lgkmcnt(0)
	;;#ASMSTART
	v_dot2_f32_f16 v74, v89, v85, v74
	;;#ASMEND
	;;#ASMSTART
	v_dot2_f32_f16 v74, v90, v86, v74
	;;#ASMEND
	;; [unrolled: 3-line block ×4, first 2 shown]
	s_barrier
	buffer_gl0_inv
	s_clause 0x3
	global_load_b128 v[81:84], v[36:37], off offset:896
	global_load_b128 v[85:88], v[30:31], off offset:896
	;; [unrolled: 1-line block ×4, first 2 shown]
	s_waitcnt vmcnt(3)
	ds_store_b128 v46, v[81:84]
	s_waitcnt vmcnt(2)
	ds_store_b128 v47, v[85:88]
	;; [unrolled: 2-line block ×4, first 2 shown]
	s_waitcnt lgkmcnt(0)
	s_barrier
	buffer_gl0_inv
	ds_load_b128 v[81:84], v52
	ds_load_b128 v[85:88], v51 offset:896
	ds_load_b128 v[89:92], v52 offset:4608
	s_waitcnt lgkmcnt(1)
	;;#ASMSTART
	v_dot2_f32_f16 v73, v81, v85, v73
	;;#ASMEND
	;;#ASMSTART
	v_dot2_f32_f16 v73, v82, v86, v73
	;;#ASMEND
	;;#ASMSTART
	v_dot2_f32_f16 v73, v83, v87, v73
	;;#ASMEND
	;;#ASMSTART
	v_dot2_f32_f16 v73, v84, v88, v73
	;;#ASMEND
	s_waitcnt lgkmcnt(0)
	;;#ASMSTART
	v_dot2_f32_f16 v74, v89, v85, v74
	;;#ASMEND
	;;#ASMSTART
	v_dot2_f32_f16 v74, v90, v86, v74
	;;#ASMEND
	;;#ASMSTART
	v_dot2_f32_f16 v74, v91, v87, v74
	;;#ASMEND
	;;#ASMSTART
	v_dot2_f32_f16 v74, v92, v88, v74
	;;#ASMEND
	ds_load_b128 v[81:84], v52 offset:16
	ds_load_b128 v[85:88], v51 offset:912
	ds_load_b128 v[89:92], v52 offset:4624
	s_waitcnt lgkmcnt(1)
	;;#ASMSTART
	v_dot2_f32_f16 v73, v81, v85, v73
	;;#ASMEND
	;;#ASMSTART
	v_dot2_f32_f16 v73, v82, v86, v73
	;;#ASMEND
	;;#ASMSTART
	v_dot2_f32_f16 v73, v83, v87, v73
	;;#ASMEND
	;;#ASMSTART
	v_dot2_f32_f16 v73, v84, v88, v73
	;;#ASMEND
	s_waitcnt lgkmcnt(0)
	;;#ASMSTART
	v_dot2_f32_f16 v74, v89, v85, v74
	;;#ASMEND
	;;#ASMSTART
	v_dot2_f32_f16 v74, v90, v86, v74
	;;#ASMEND
	;;#ASMSTART
	v_dot2_f32_f16 v74, v91, v87, v74
	;;#ASMEND
	;;#ASMSTART
	v_dot2_f32_f16 v74, v92, v88, v74
	;;#ASMEND
	ds_load_b128 v[81:84], v52 offset:32
	;; [unrolled: 29-line block ×7, first 2 shown]
	ds_load_b128 v[85:88], v51 offset:1008
	ds_load_b128 v[89:92], v52 offset:4720
	s_waitcnt lgkmcnt(1)
	;;#ASMSTART
	v_dot2_f32_f16 v73, v81, v85, v73
	;;#ASMEND
	;;#ASMSTART
	v_dot2_f32_f16 v73, v82, v86, v73
	;;#ASMEND
	;; [unrolled: 3-line block ×4, first 2 shown]
	s_waitcnt lgkmcnt(0)
	;;#ASMSTART
	v_dot2_f32_f16 v74, v89, v85, v74
	;;#ASMEND
	;;#ASMSTART
	v_dot2_f32_f16 v74, v90, v86, v74
	;;#ASMEND
	;; [unrolled: 3-line block ×4, first 2 shown]
	s_barrier
	buffer_gl0_inv
	s_clause 0x3
	global_load_b128 v[81:84], v[36:37], off offset:1024
	global_load_b128 v[85:88], v[30:31], off offset:1024
	;; [unrolled: 1-line block ×4, first 2 shown]
	s_waitcnt vmcnt(3)
	ds_store_b128 v46, v[81:84]
	s_waitcnt vmcnt(2)
	ds_store_b128 v47, v[85:88]
	;; [unrolled: 2-line block ×4, first 2 shown]
	s_waitcnt lgkmcnt(0)
	s_barrier
	buffer_gl0_inv
	ds_load_b128 v[34:37], v52
	ds_load_b128 v[81:84], v51 offset:1024
	ds_load_b128 v[85:88], v52 offset:4608
	s_waitcnt lgkmcnt(1)
	;;#ASMSTART
	v_dot2_f32_f16 v73, v34, v81, v73
	;;#ASMEND
	;;#ASMSTART
	v_dot2_f32_f16 v73, v35, v82, v73
	;;#ASMEND
	;;#ASMSTART
	v_dot2_f32_f16 v73, v36, v83, v73
	;;#ASMEND
	;;#ASMSTART
	v_dot2_f32_f16 v73, v37, v84, v73
	;;#ASMEND
	s_waitcnt lgkmcnt(0)
	;;#ASMSTART
	v_dot2_f32_f16 v74, v85, v81, v74
	;;#ASMEND
	;;#ASMSTART
	v_dot2_f32_f16 v74, v86, v82, v74
	;;#ASMEND
	;;#ASMSTART
	v_dot2_f32_f16 v74, v87, v83, v74
	;;#ASMEND
	;;#ASMSTART
	v_dot2_f32_f16 v74, v88, v84, v74
	;;#ASMEND
	ds_load_b128 v[34:37], v52 offset:16
	ds_load_b128 v[81:84], v51 offset:1040
	ds_load_b128 v[85:88], v52 offset:4624
	s_waitcnt lgkmcnt(1)
	;;#ASMSTART
	v_dot2_f32_f16 v73, v34, v81, v73
	;;#ASMEND
	;;#ASMSTART
	v_dot2_f32_f16 v73, v35, v82, v73
	;;#ASMEND
	;;#ASMSTART
	v_dot2_f32_f16 v73, v36, v83, v73
	;;#ASMEND
	;;#ASMSTART
	v_dot2_f32_f16 v73, v37, v84, v73
	;;#ASMEND
	s_waitcnt lgkmcnt(0)
	;;#ASMSTART
	v_dot2_f32_f16 v74, v85, v81, v74
	;;#ASMEND
	;;#ASMSTART
	v_dot2_f32_f16 v74, v86, v82, v74
	;;#ASMEND
	;;#ASMSTART
	v_dot2_f32_f16 v74, v87, v83, v74
	;;#ASMEND
	;;#ASMSTART
	v_dot2_f32_f16 v74, v88, v84, v74
	;;#ASMEND
	ds_load_b128 v[34:37], v52 offset:32
	;; [unrolled: 29-line block ×7, first 2 shown]
	ds_load_b128 v[81:84], v51 offset:1136
	ds_load_b128 v[85:88], v52 offset:4720
	s_waitcnt lgkmcnt(1)
	;;#ASMSTART
	v_dot2_f32_f16 v73, v34, v81, v73
	;;#ASMEND
	;;#ASMSTART
	v_dot2_f32_f16 v73, v35, v82, v73
	;;#ASMEND
	;; [unrolled: 3-line block ×4, first 2 shown]
	v_lshlrev_b32_e32 v76, 2, v21
	v_add_co_ci_u32_e32 v21, vcc_lo, 0, v18, vcc_lo
	v_add_co_u32 v15, vcc_lo, s4, v13
	s_mul_i32 s4, s6, s22
	v_add_co_ci_u32_e32 v97, vcc_lo, s3, v14, vcc_lo
	s_lshl_b64 s[2:3], s[4:5], 2
	s_delay_alu instid0(VALU_DEP_2)
	v_add_co_u32 v16, vcc_lo, v15, v50
	s_add_u32 s4, s20, s2
	v_add_co_u32 v18, s2, v17, v50
	v_add_co_ci_u32_e32 v17, vcc_lo, 0, v97, vcc_lo
	s_addc_u32 s3, s21, s3
	s_or_b32 s6, s16, 32
	v_add_co_ci_u32_e64 v19, s2, 0, v19, s2
	v_add_co_u32 v15, vcc_lo, s4, v13
	v_add_co_u32 v97, s2, s4, v11
	s_mul_hi_i32 s5, s6, s22
	s_mul_i32 s4, s6, s22
	v_add_co_ci_u32_e32 v31, vcc_lo, s3, v14, vcc_lo
	v_add_co_ci_u32_e64 v30, s2, s3, v12, s2
	s_lshl_b64 s[2:3], s[4:5], 2
	v_add_co_u32 v152, vcc_lo, v15, v50
	s_add_u32 s4, s20, s2
	v_add_co_ci_u32_e32 v153, vcc_lo, 0, v31, vcc_lo
	v_add_co_u32 v15, vcc_lo, s4, v13
	s_addc_u32 s3, s21, s3
	s_waitcnt lgkmcnt(0)
	;;#ASMSTART
	v_dot2_f32_f16 v74, v85, v81, v74
	;;#ASMEND
	v_add_co_u32 v154, s2, v97, v50
	;;#ASMSTART
	v_dot2_f32_f16 v74, v86, v82, v74
	;;#ASMEND
	v_add_co_ci_u32_e32 v93, vcc_lo, s3, v14, vcc_lo
	;;#ASMSTART
	v_dot2_f32_f16 v74, v87, v83, v74
	;;#ASMEND
	v_add_co_ci_u32_e64 v155, s2, 0, v30, s2
	v_add_co_u32 v30, vcc_lo, v15, v50
	;;#ASMSTART
	v_dot2_f32_f16 v74, v88, v84, v74
	;;#ASMEND
	s_clause 0x1
	flat_load_u16 v15, v[28:29]
	flat_load_u16 v89, v[28:29] offset:64
	s_waitcnt vmcnt(0) lgkmcnt(0)
	s_barrier
	buffer_gl0_inv
	s_clause 0x3
	global_load_b128 v[34:37], v[26:27], off
	global_load_b128 v[26:29], v[26:27], off offset:512
	global_load_b128 v[81:84], v[24:25], off
	global_load_b128 v[85:88], v[24:25], off offset:512
	s_or_b32 s6, s16, 40
	v_add_co_u32 v31, s2, s4, v11
	s_mul_hi_i32 s5, s6, s22
	s_mul_i32 s4, s6, s22
	v_add_co_ci_u32_e64 v33, s2, s3, v12, s2
	s_lshl_b64 s[2:3], s[4:5], 2
	s_delay_alu instid0(SALU_CYCLE_1)
	s_add_u32 s13, s20, s2
	v_add_co_u32 v32, s2, v31, v50
	s_addc_u32 s12, s21, s3
	v_add_co_ci_u32_e64 v33, s2, 0, v33, s2
	v_add_co_ci_u32_e32 v31, vcc_lo, 0, v93, vcc_lo
	v_add_co_u32 v158, vcc_lo, s13, v13
	s_or_b32 s23, s16, 48
	v_cvt_f32_f16_e32 v15, v15
	v_cvt_f32_f16_e32 v24, v89
	s_delay_alu instid0(VALU_DEP_1) | instskip(NEXT) | instid1(VALU_DEP_1)
	v_dual_add_f32 v25, v73, v15 :: v_dual_add_f32 v24, v74, v24
	v_add_f32_e32 v15, 0x40051340, v25
	s_delay_alu instid0(VALU_DEP_2) | instskip(NEXT) | instid1(VALU_DEP_1)
	v_add_f32_e32 v73, 0x40051340, v24
	v_max3_f32 v15, v72, v15, v73
	ds_bpermute_b32 v73, v80, v15
	s_waitcnt lgkmcnt(0)
	v_max_f32_e32 v73, v73, v73
	s_delay_alu instid0(VALU_DEP_1) | instskip(SKIP_3) | instid1(VALU_DEP_1)
	v_max_f32_e32 v15, v15, v73
	ds_bpermute_b32 v73, v79, v15
	s_waitcnt lgkmcnt(0)
	v_max_f32_e32 v73, v73, v73
	v_max_f32_e32 v15, v15, v73
	ds_bpermute_b32 v73, v78, v15
	s_waitcnt lgkmcnt(0)
	v_max_f32_e32 v73, v73, v73
	s_delay_alu instid0(VALU_DEP_1) | instskip(SKIP_3) | instid1(VALU_DEP_1)
	v_max_f32_e32 v15, v15, v73
	ds_bpermute_b32 v73, v77, v15
	s_waitcnt lgkmcnt(0)
	v_max_f32_e32 v73, v73, v73
	v_max_f32_e32 v15, v15, v73
	ds_bpermute_b32 v73, v76, v15
	s_waitcnt lgkmcnt(0)
	v_max_f32_e32 v73, v73, v73
	s_delay_alu instid0(VALU_DEP_1) | instskip(NEXT) | instid1(VALU_DEP_1)
	v_max_f32_e32 v15, v15, v73
	v_sub_f32_e32 v72, v72, v15
	v_sub_f32_e32 v24, v24, v15
	s_delay_alu instid0(VALU_DEP_2) | instskip(NEXT) | instid1(VALU_DEP_2)
	v_mul_f32_e32 v148, 0x3fb8aa3b, v72
	v_mul_f32_e32 v74, 0x3fb8aa3b, v24
	v_cmp_ngt_f32_e64 s2, 0xc2ce8ed0, v24
	v_cmp_nlt_f32_e64 s4, 0x42b17218, v24
	v_cmp_ngt_f32_e64 s6, 0xc2ce8ed0, v72
	v_fma_f32 v149, 0x3fb8aa3b, v72, -v148
	v_fma_f32 v78, 0x3fb8aa3b, v24, -v74
	v_rndne_f32_e32 v79, v74
	v_rndne_f32_e32 v150, v148
	v_cmp_nlt_f32_e64 s7, 0x42b17218, v72
	v_fmac_f32_e32 v149, 0x32a5705f, v72
	v_dual_sub_f32 v25, v25, v15 :: v_dual_fmac_f32 v78, 0x32a5705f, v24
	v_sub_f32_e32 v24, v74, v79
	v_cvt_i32_f32_e32 v74, v79
	s_delay_alu instid0(VALU_DEP_3) | instskip(SKIP_3) | instid1(VALU_DEP_4)
	v_mul_f32_e32 v73, 0x3fb8aa3b, v25
	v_cmp_ngt_f32_e64 s3, 0xc2ce8ed0, v25
	v_cmp_nlt_f32_e64 s5, 0x42b17218, v25
	v_add_f32_e32 v24, v24, v78
	v_fma_f32 v76, 0x3fb8aa3b, v25, -v73
	v_rndne_f32_e32 v77, v73
	s_delay_alu instid0(VALU_DEP_3) | instskip(NEXT) | instid1(VALU_DEP_2)
	v_exp_f32_e32 v24, v24
	v_fmac_f32_e32 v76, 0x32a5705f, v25
	s_delay_alu instid0(VALU_DEP_2) | instskip(SKIP_1) | instid1(VALU_DEP_2)
	v_sub_f32_e32 v25, v73, v77
	v_cvt_i32_f32_e32 v73, v77
	v_add_f32_e32 v25, v25, v76
	s_waitcnt_depctr 0xfff
	v_ldexp_f32 v24, v24, v74
	v_exp_f32_e32 v25, v25
	s_delay_alu instid0(VALU_DEP_1) | instskip(NEXT) | instid1(VALU_DEP_1)
	v_cndmask_b32_e64 v24, 0, v24, s2
	v_cndmask_b32_e64 v74, 0x7f800000, v24, s4
	s_mul_i32 s4, s23, s22
	s_waitcnt_depctr 0xfff
	v_ldexp_f32 v25, v25, v73
	s_delay_alu instid0(VALU_DEP_1) | instskip(NEXT) | instid1(VALU_DEP_1)
	v_cndmask_b32_e64 v25, 0, v25, s3
	v_cndmask_b32_e64 v73, 0x7f800000, v25, s5
	v_cvt_f16_f32_e32 v25, v74
	s_mul_hi_i32 s5, s23, s22
	s_delay_alu instid0(VALU_DEP_2)
	v_cvt_f16_f32_e32 v24, v73
	ds_store_b16 v55, v24
	ds_store_b16 v55, v25 offset:64
	s_waitcnt vmcnt(3)
	ds_store_b128 v54, v[34:37]
	s_waitcnt vmcnt(2)
	ds_store_b128 v56, v[26:29]
	;; [unrolled: 2-line block ×4, first 2 shown]
	s_waitcnt lgkmcnt(0)
	s_barrier
	buffer_gl0_inv
	ds_load_2addr_b64 v[24:27], v59 offset1:32
	ds_load_2addr_b64 v[34:37], v59 offset0:64 offset1:96
	ds_load_b128 v[76:79], v53
	ds_load_2addr_b64 v[80:83], v59 offset0:128 offset1:160
	ds_load_2addr_b64 v[84:87], v59 offset0:192 offset1:224
	ds_load_2addr_b64 v[88:91], v61 offset1:32
	ds_load_2addr_b64 v[92:95], v61 offset0:64 offset1:96
	ds_load_2addr_b64 v[96:99], v61 offset0:128 offset1:160
	ds_load_2addr_b64 v[100:103], v61 offset0:192 offset1:224
	ds_load_2addr_b64 v[104:107], v62 offset1:32
	ds_load_2addr_b64 v[108:111], v62 offset0:64 offset1:96
	;; [unrolled: 4-line block ×3, first 2 shown]
	ds_load_2addr_b64 v[128:131], v63 offset0:128 offset1:160
	ds_load_2addr_b64 v[132:135], v63 offset0:192 offset1:224
	s_waitcnt lgkmcnt(0)
	s_barrier
	buffer_gl0_inv
	s_clause 0x3
	global_load_b128 v[136:139], v[22:23], off
	global_load_b128 v[140:143], v[22:23], off offset:512
	global_load_b128 v[144:147], v[20:21], off
	global_load_b128 v[20:23], v[20:21], off offset:512
	v_sub_f32_e32 v28, v148, v150
	v_cvt_i32_f32_e32 v29, v150
	v_pk_mul_f16 v24, v24, v76 op_sel_hi:[1,0]
	v_pk_mul_f16 v25, v25, v76 op_sel_hi:[1,0]
	s_waitcnt vmcnt(3)
	ds_store_b128 v54, v[136:139]
	s_waitcnt vmcnt(2)
	ds_store_b128 v56, v[140:143]
	;; [unrolled: 2-line block ×4, first 2 shown]
	v_add_f32_e32 v28, v28, v149
	s_waitcnt lgkmcnt(0)
	s_barrier
	buffer_gl0_inv
	v_exp_f32_e32 v28, v28
	s_waitcnt_depctr 0xfff
	v_ldexp_f32 v28, v28, v29
	s_delay_alu instid0(VALU_DEP_1) | instskip(NEXT) | instid1(VALU_DEP_1)
	v_cndmask_b32_e64 v28, 0, v28, s6
	v_cndmask_b32_e64 v28, 0x7f800000, v28, s7
	s_delay_alu instid0(VALU_DEP_1) | instskip(NEXT) | instid1(VALU_DEP_1)
	v_cvt_f16_f32_e32 v29, v28
	v_pk_mul_f16 v68, v29, v68 op_sel_hi:[0,1]
	v_pk_mul_f16 v70, v29, v70 op_sel_hi:[0,1]
	;; [unrolled: 1-line block ×6, first 2 shown]
	v_pk_fma_f16 v26, v26, v76, v68 op_sel_hi:[1,0,1]
	v_pk_fma_f16 v27, v27, v76, v70 op_sel_hi:[1,0,1]
	v_pk_fma_f16 v34, v34, v76, v66 op_sel_hi:[1,0,1]
	v_pk_fma_f16 v35, v35, v76, v67 op_sel_hi:[1,0,1]
	v_pk_fma_f16 v36, v36, v76, v65 op_sel_hi:[1,0,1]
	v_pk_fma_f16 v37, v37, v76, v64 op_sel_hi:[1,0,1]
	v_pk_fma_f16 v24, v69, v29, v24 op_sel_hi:[1,0,1]
	v_pk_fma_f16 v25, v71, v29, v25 op_sel_hi:[1,0,1]
	v_pk_fma_f16 v26, v82, v76, v26 op_sel:[0,1,0]
	v_pk_fma_f16 v27, v83, v76, v27 op_sel:[0,1,0]
	v_pk_fma_f16 v29, v84, v76, v34 op_sel:[0,1,0]
	v_pk_fma_f16 v34, v85, v76, v35 op_sel:[0,1,0]
	v_pk_fma_f16 v35, v86, v76, v36 op_sel:[0,1,0]
	v_pk_fma_f16 v36, v87, v76, v37 op_sel:[0,1,0]
	v_pk_fma_f16 v24, v80, v76, v24 op_sel:[0,1,0]
	v_pk_fma_f16 v25, v81, v76, v25 op_sel:[0,1,0]
	v_pk_fma_f16 v26, v90, v77, v26 op_sel_hi:[1,0,1]
	v_pk_fma_f16 v27, v91, v77, v27 op_sel_hi:[1,0,1]
	v_pk_fma_f16 v29, v92, v77, v29 op_sel_hi:[1,0,1]
	v_pk_fma_f16 v34, v93, v77, v34 op_sel_hi:[1,0,1]
	v_pk_fma_f16 v35, v94, v77, v35 op_sel_hi:[1,0,1]
	v_pk_fma_f16 v36, v95, v77, v36 op_sel_hi:[1,0,1]
	v_pk_fma_f16 v24, v88, v77, v24 op_sel_hi:[1,0,1]
	v_pk_fma_f16 v25, v89, v77, v25 op_sel_hi:[1,0,1]
	v_pk_fma_f16 v26, v98, v77, v26 op_sel:[0,1,0]
	v_pk_fma_f16 v27, v99, v77, v27 op_sel:[0,1,0]
	v_pk_fma_f16 v29, v100, v77, v29 op_sel:[0,1,0]
	v_pk_fma_f16 v34, v101, v77, v34 op_sel:[0,1,0]
	v_pk_fma_f16 v35, v102, v77, v35 op_sel:[0,1,0]
	v_pk_fma_f16 v36, v103, v77, v36 op_sel:[0,1,0]
	v_pk_fma_f16 v24, v96, v77, v24 op_sel:[0,1,0]
	v_pk_fma_f16 v25, v97, v77, v25 op_sel:[0,1,0]
	;; [unrolled: 16-line block ×3, first 2 shown]
	v_pk_fma_f16 v72, v122, v79, v26 op_sel_hi:[1,0,1]
	v_pk_fma_f16 v76, v123, v79, v27 op_sel_hi:[1,0,1]
	;; [unrolled: 1-line block ×8, first 2 shown]
	v_pk_fma_f16 v132, v132, v79, v26 op_sel:[0,1,0]
	v_pk_fma_f16 v133, v133, v79, v27 op_sel:[0,1,0]
	ds_load_2addr_b64 v[20:23], v59 offset1:32
	ds_load_2addr_b64 v[24:27], v59 offset0:64 offset1:96
	ds_load_b128 v[34:37], v53 offset:16
	ds_load_2addr_b64 v[64:67], v59 offset0:128 offset1:160
	ds_load_2addr_b64 v[68:71], v59 offset0:192 offset1:224
	ds_load_2addr_b64 v[80:83], v61 offset1:32
	ds_load_2addr_b64 v[84:87], v61 offset0:64 offset1:96
	ds_load_2addr_b64 v[88:91], v61 offset0:128 offset1:160
	ds_load_2addr_b64 v[92:95], v61 offset0:192 offset1:224
	ds_load_2addr_b64 v[96:99], v62 offset1:32
	ds_load_2addr_b64 v[100:103], v62 offset0:64 offset1:96
	;; [unrolled: 4-line block ×3, first 2 shown]
	ds_load_2addr_b64 v[120:123], v63 offset0:128 offset1:160
	ds_load_2addr_b64 v[124:127], v63 offset0:192 offset1:224
	s_waitcnt lgkmcnt(0)
	s_barrier
	buffer_gl0_inv
	s_clause 0x3
	global_load_b128 v[136:139], v[18:19], off
	global_load_b128 v[140:143], v[18:19], off offset:512
	global_load_b128 v[144:147], v[16:17], off
	global_load_b128 v[148:151], v[16:17], off offset:512
	v_add_co_u32 v16, s2, s13, v11
	s_delay_alu instid0(VALU_DEP_1) | instskip(SKIP_2) | instid1(VALU_DEP_4)
	v_add_co_ci_u32_e64 v19, s2, s12, v12, s2
	v_pk_fma_f16 v17, v134, v79, v29 op_sel:[0,1,0]
	v_add_co_ci_u32_e32 v29, vcc_lo, s12, v14, vcc_lo
	v_add_co_u32 v156, vcc_lo, v16, v50
	s_delay_alu instid0(VALU_DEP_4) | instskip(SKIP_1) | instid1(VALU_DEP_4)
	v_add_co_ci_u32_e32 v157, vcc_lo, 0, v19, vcc_lo
	v_add_co_u32 v158, vcc_lo, v158, v50
	v_add_co_ci_u32_e32 v159, vcc_lo, 0, v29, vcc_lo
	v_pk_fma_f16 v19, v130, v79, v72 op_sel:[0,1,0]
	v_pk_fma_f16 v29, v131, v79, v76 op_sel:[0,1,0]
	;; [unrolled: 1-line block ×5, first 2 shown]
	v_pk_fma_f16 v19, v22, v34, v19 op_sel_hi:[1,0,1]
	v_pk_fma_f16 v22, v23, v34, v29 op_sel_hi:[1,0,1]
	;; [unrolled: 1-line block ×8, first 2 shown]
	v_pk_fma_f16 v20, v64, v34, v20 op_sel:[0,1,0]
	v_pk_fma_f16 v21, v65, v34, v21 op_sel:[0,1,0]
	;; [unrolled: 1-line block ×4, first 2 shown]
	s_lshl_b64 s[2:3], s[4:5], 2
	v_pk_fma_f16 v23, v68, v34, v23 op_sel:[0,1,0]
	v_pk_fma_f16 v24, v69, v34, v24 op_sel:[0,1,0]
	;; [unrolled: 1-line block ×4, first 2 shown]
	v_pk_fma_f16 v20, v80, v35, v20 op_sel_hi:[1,0,1]
	v_pk_fma_f16 v21, v81, v35, v21 op_sel_hi:[1,0,1]
	;; [unrolled: 1-line block ×4, first 2 shown]
	s_add_u32 s2, s20, s2
	s_addc_u32 s3, s21, s3
	s_or_b32 s4, s16, 56
	v_add_co_u32 v16, vcc_lo, s2, v13
	v_add_co_u32 v77, s2, s2, v11
	s_mul_hi_i32 s5, s4, s22
	s_mul_i32 s4, s4, s22
	v_pk_fma_f16 v23, v84, v35, v23 op_sel_hi:[1,0,1]
	v_pk_fma_f16 v24, v85, v35, v24 op_sel_hi:[1,0,1]
	;; [unrolled: 1-line block ×4, first 2 shown]
	v_pk_fma_f16 v20, v88, v35, v20 op_sel:[0,1,0]
	v_pk_fma_f16 v21, v89, v35, v21 op_sel:[0,1,0]
	;; [unrolled: 1-line block ×4, first 2 shown]
	v_add_co_ci_u32_e64 v78, s2, s3, v12, s2
	v_add_co_ci_u32_e32 v79, vcc_lo, s3, v14, vcc_lo
	s_lshl_b64 s[2:3], s[4:5], 2
	v_pk_fma_f16 v23, v92, v35, v23 op_sel:[0,1,0]
	s_add_u32 s4, s20, s2
	v_add_co_u32 v162, s2, v77, v50
	v_pk_fma_f16 v24, v93, v35, v24 op_sel:[0,1,0]
	v_pk_fma_f16 v17, v94, v35, v17 op_sel:[0,1,0]
	;; [unrolled: 1-line block ×3, first 2 shown]
	v_pk_fma_f16 v20, v96, v36, v20 op_sel_hi:[1,0,1]
	v_pk_fma_f16 v21, v97, v36, v21 op_sel_hi:[1,0,1]
	;; [unrolled: 1-line block ×4, first 2 shown]
	v_add_co_u32 v160, vcc_lo, v16, v50
	v_add_co_ci_u32_e64 v163, s2, 0, v78, s2
	s_addc_u32 s3, s21, s3
	v_add_co_u32 v77, s2, s4, v11
	v_add_co_ci_u32_e32 v161, vcc_lo, 0, v79, vcc_lo
	v_add_co_u32 v16, vcc_lo, s4, v13
	v_add_co_ci_u32_e64 v78, s2, s3, v12, s2
	v_pk_fma_f16 v23, v100, v36, v23 op_sel_hi:[1,0,1]
	v_pk_fma_f16 v24, v101, v36, v24 op_sel_hi:[1,0,1]
	;; [unrolled: 1-line block ×4, first 2 shown]
	v_pk_fma_f16 v20, v104, v36, v20 op_sel:[0,1,0]
	v_pk_fma_f16 v21, v105, v36, v21 op_sel:[0,1,0]
	;; [unrolled: 1-line block ×4, first 2 shown]
	v_add_co_ci_u32_e32 v79, vcc_lo, s3, v14, vcc_lo
	v_add_co_u32 v164, vcc_lo, v77, v50
	v_add_co_ci_u32_e32 v165, vcc_lo, 0, v78, vcc_lo
	v_add_co_u32 v166, vcc_lo, v16, v50
	v_add_f32_e32 v16, v73, v74
	v_pk_fma_f16 v23, v108, v36, v23 op_sel:[0,1,0]
	v_pk_fma_f16 v24, v109, v36, v24 op_sel:[0,1,0]
	;; [unrolled: 1-line block ×4, first 2 shown]
	v_pk_fma_f16 v20, v112, v37, v20 op_sel_hi:[1,0,1]
	v_pk_fma_f16 v21, v113, v37, v21 op_sel_hi:[1,0,1]
	;; [unrolled: 1-line block ×4, first 2 shown]
	v_add_co_ci_u32_e32 v167, vcc_lo, 0, v79, vcc_lo
	v_fmac_f32_e32 v16, v75, v28
	v_pk_fma_f16 v29, v116, v37, v23 op_sel_hi:[1,0,1]
	v_pk_fma_f16 v34, v117, v37, v24 op_sel_hi:[1,0,1]
	;; [unrolled: 1-line block ×4, first 2 shown]
	v_pk_fma_f16 v168, v120, v37, v20 op_sel:[0,1,0]
	v_pk_fma_f16 v169, v121, v37, v21 op_sel:[0,1,0]
	;; [unrolled: 1-line block ×4, first 2 shown]
	s_waitcnt vmcnt(3)
	ds_store_b128 v54, v[136:139]
	s_waitcnt vmcnt(2)
	ds_store_b128 v56, v[140:143]
	;; [unrolled: 2-line block ×4, first 2 shown]
	s_waitcnt lgkmcnt(0)
	s_barrier
	buffer_gl0_inv
	ds_load_2addr_b64 v[17:20], v59 offset1:32
	ds_load_2addr_b64 v[21:24], v59 offset0:64 offset1:96
	ds_load_b128 v[25:28], v53 offset:32
	ds_load_2addr_b64 v[64:67], v59 offset0:128 offset1:160
	ds_load_2addr_b64 v[68:71], v59 offset0:192 offset1:224
	ds_load_2addr_b64 v[72:75], v61 offset1:32
	ds_load_2addr_b64 v[76:79], v61 offset0:64 offset1:96
	ds_load_2addr_b64 v[80:83], v61 offset0:128 offset1:160
	ds_load_2addr_b64 v[84:87], v61 offset0:192 offset1:224
	ds_load_2addr_b64 v[88:91], v62 offset1:32
	ds_load_2addr_b64 v[92:95], v62 offset0:64 offset1:96
	;; [unrolled: 4-line block ×3, first 2 shown]
	ds_load_2addr_b64 v[112:115], v63 offset0:128 offset1:160
	ds_load_2addr_b64 v[116:119], v63 offset0:192 offset1:224
	s_waitcnt lgkmcnt(0)
	s_barrier
	buffer_gl0_inv
	s_clause 0x3
	global_load_b128 v[120:123], v[154:155], off
	global_load_b128 v[128:131], v[154:155], off offset:512
	global_load_b128 v[132:135], v[152:153], off
	global_load_b128 v[136:139], v[152:153], off offset:512
	v_pk_fma_f16 v29, v124, v37, v29 op_sel:[0,1,0]
	v_pk_fma_f16 v34, v125, v37, v34 op_sel:[0,1,0]
	v_pk_fma_f16 v35, v126, v37, v35 op_sel:[0,1,0]
	v_pk_fma_f16 v36, v127, v37, v36 op_sel:[0,1,0]
	v_pk_fma_f16 v17, v17, v25, v168 op_sel_hi:[1,0,1]
	v_pk_fma_f16 v18, v18, v25, v169 op_sel_hi:[1,0,1]
	v_pk_fma_f16 v19, v19, v25, v170 op_sel_hi:[1,0,1]
	v_pk_fma_f16 v20, v20, v25, v171 op_sel_hi:[1,0,1]
	v_pk_fma_f16 v21, v21, v25, v29 op_sel_hi:[1,0,1]
	v_pk_fma_f16 v22, v22, v25, v34 op_sel_hi:[1,0,1]
	v_pk_fma_f16 v23, v23, v25, v35 op_sel_hi:[1,0,1]
	v_pk_fma_f16 v24, v24, v25, v36 op_sel_hi:[1,0,1]
	v_pk_fma_f16 v17, v64, v25, v17 op_sel:[0,1,0]
	v_pk_fma_f16 v18, v65, v25, v18 op_sel:[0,1,0]
	v_pk_fma_f16 v19, v66, v25, v19 op_sel:[0,1,0]
	v_pk_fma_f16 v20, v67, v25, v20 op_sel:[0,1,0]
	v_pk_fma_f16 v21, v68, v25, v21 op_sel:[0,1,0]
	v_pk_fma_f16 v22, v69, v25, v22 op_sel:[0,1,0]
	v_pk_fma_f16 v23, v70, v25, v23 op_sel:[0,1,0]
	v_pk_fma_f16 v24, v71, v25, v24 op_sel:[0,1,0]
	v_pk_fma_f16 v17, v72, v26, v17 op_sel_hi:[1,0,1]
	v_pk_fma_f16 v18, v73, v26, v18 op_sel_hi:[1,0,1]
	v_pk_fma_f16 v19, v74, v26, v19 op_sel_hi:[1,0,1]
	v_pk_fma_f16 v20, v75, v26, v20 op_sel_hi:[1,0,1]
	v_pk_fma_f16 v21, v76, v26, v21 op_sel_hi:[1,0,1]
	v_pk_fma_f16 v22, v77, v26, v22 op_sel_hi:[1,0,1]
	v_pk_fma_f16 v23, v78, v26, v23 op_sel_hi:[1,0,1]
	v_pk_fma_f16 v24, v79, v26, v24 op_sel_hi:[1,0,1]
	v_pk_fma_f16 v17, v80, v26, v17 op_sel:[0,1,0]
	v_pk_fma_f16 v18, v81, v26, v18 op_sel:[0,1,0]
	v_pk_fma_f16 v19, v82, v26, v19 op_sel:[0,1,0]
	v_pk_fma_f16 v20, v83, v26, v20 op_sel:[0,1,0]
	;; [unrolled: 16-line block ×3, first 2 shown]
	v_pk_fma_f16 v21, v100, v27, v21 op_sel:[0,1,0]
	v_pk_fma_f16 v22, v101, v27, v22 op_sel:[0,1,0]
	;; [unrolled: 1-line block ×4, first 2 shown]
	v_pk_fma_f16 v25, v104, v28, v17 op_sel_hi:[1,0,1]
	v_pk_fma_f16 v26, v105, v28, v18 op_sel_hi:[1,0,1]
	;; [unrolled: 1-line block ×8, first 2 shown]
	s_waitcnt vmcnt(3)
	ds_store_b128 v54, v[120:123]
	s_waitcnt vmcnt(2)
	ds_store_b128 v56, v[128:131]
	s_waitcnt vmcnt(1)
	ds_store_b128 v57, v[132:135]
	s_waitcnt vmcnt(0)
	ds_store_b128 v58, v[136:139]
	s_waitcnt lgkmcnt(0)
	s_barrier
	buffer_gl0_inv
	ds_load_2addr_b64 v[17:20], v59 offset1:32
	ds_load_2addr_b64 v[21:24], v59 offset0:64 offset1:96
	ds_load_b128 v[34:37], v53 offset:48
	ds_load_2addr_b64 v[64:67], v59 offset0:128 offset1:160
	ds_load_2addr_b64 v[68:71], v59 offset0:192 offset1:224
	ds_load_2addr_b64 v[72:75], v61 offset1:32
	ds_load_2addr_b64 v[76:79], v61 offset0:64 offset1:96
	ds_load_2addr_b64 v[80:83], v61 offset0:128 offset1:160
	ds_load_2addr_b64 v[84:87], v61 offset0:192 offset1:224
	ds_load_2addr_b64 v[88:91], v62 offset1:32
	ds_load_2addr_b64 v[92:95], v62 offset0:64 offset1:96
	;; [unrolled: 4-line block ×3, first 2 shown]
	ds_load_2addr_b64 v[120:123], v63 offset0:128 offset1:160
	ds_load_2addr_b64 v[124:127], v63 offset0:192 offset1:224
	s_waitcnt lgkmcnt(0)
	s_barrier
	buffer_gl0_inv
	s_clause 0x3
	global_load_b128 v[128:131], v[32:33], off
	global_load_b128 v[132:135], v[32:33], off offset:512
	global_load_b128 v[136:139], v[30:31], off
	global_load_b128 v[29:32], v[30:31], off offset:512
	v_pk_fma_f16 v25, v112, v28, v25 op_sel:[0,1,0]
	v_pk_fma_f16 v26, v113, v28, v26 op_sel:[0,1,0]
	v_pk_fma_f16 v27, v114, v28, v27 op_sel:[0,1,0]
	v_pk_fma_f16 v33, v115, v28, v140 op_sel:[0,1,0]
	v_pk_fma_f16 v112, v116, v28, v141 op_sel:[0,1,0]
	v_pk_fma_f16 v113, v117, v28, v142 op_sel:[0,1,0]
	v_pk_fma_f16 v114, v118, v28, v143 op_sel:[0,1,0]
	v_pk_fma_f16 v28, v119, v28, v144 op_sel:[0,1,0]
	v_pk_fma_f16 v17, v17, v34, v25 op_sel_hi:[1,0,1]
	v_pk_fma_f16 v18, v18, v34, v26 op_sel_hi:[1,0,1]
	v_pk_fma_f16 v19, v19, v34, v27 op_sel_hi:[1,0,1]
	v_pk_fma_f16 v20, v20, v34, v33 op_sel_hi:[1,0,1]
	v_pk_fma_f16 v21, v21, v34, v112 op_sel_hi:[1,0,1]
	v_pk_fma_f16 v22, v22, v34, v113 op_sel_hi:[1,0,1]
	v_pk_fma_f16 v23, v23, v34, v114 op_sel_hi:[1,0,1]
	v_pk_fma_f16 v24, v24, v34, v28 op_sel_hi:[1,0,1]
	v_pk_fma_f16 v17, v64, v34, v17 op_sel:[0,1,0]
	v_pk_fma_f16 v18, v65, v34, v18 op_sel:[0,1,0]
	v_pk_fma_f16 v19, v66, v34, v19 op_sel:[0,1,0]
	v_pk_fma_f16 v20, v67, v34, v20 op_sel:[0,1,0]
	v_pk_fma_f16 v21, v68, v34, v21 op_sel:[0,1,0]
	v_pk_fma_f16 v22, v69, v34, v22 op_sel:[0,1,0]
	v_pk_fma_f16 v23, v70, v34, v23 op_sel:[0,1,0]
	v_pk_fma_f16 v24, v71, v34, v24 op_sel:[0,1,0]
	v_pk_fma_f16 v17, v72, v35, v17 op_sel_hi:[1,0,1]
	v_pk_fma_f16 v18, v73, v35, v18 op_sel_hi:[1,0,1]
	v_pk_fma_f16 v19, v74, v35, v19 op_sel_hi:[1,0,1]
	v_pk_fma_f16 v20, v75, v35, v20 op_sel_hi:[1,0,1]
	v_pk_fma_f16 v21, v76, v35, v21 op_sel_hi:[1,0,1]
	v_pk_fma_f16 v22, v77, v35, v22 op_sel_hi:[1,0,1]
	v_pk_fma_f16 v23, v78, v35, v23 op_sel_hi:[1,0,1]
	v_pk_fma_f16 v24, v79, v35, v24 op_sel_hi:[1,0,1]
	v_pk_fma_f16 v17, v80, v35, v17 op_sel:[0,1,0]
	v_pk_fma_f16 v18, v81, v35, v18 op_sel:[0,1,0]
	v_pk_fma_f16 v19, v82, v35, v19 op_sel:[0,1,0]
	v_pk_fma_f16 v20, v83, v35, v20 op_sel:[0,1,0]
	v_pk_fma_f16 v21, v84, v35, v21 op_sel:[0,1,0]
	v_pk_fma_f16 v22, v85, v35, v22 op_sel:[0,1,0]
	v_pk_fma_f16 v23, v86, v35, v23 op_sel:[0,1,0]
	v_pk_fma_f16 v24, v87, v35, v24 op_sel:[0,1,0]
	v_pk_fma_f16 v17, v88, v36, v17 op_sel_hi:[1,0,1]
	v_pk_fma_f16 v18, v89, v36, v18 op_sel_hi:[1,0,1]
	v_pk_fma_f16 v19, v90, v36, v19 op_sel_hi:[1,0,1]
	v_pk_fma_f16 v20, v91, v36, v20 op_sel_hi:[1,0,1]
	v_pk_fma_f16 v21, v92, v36, v21 op_sel_hi:[1,0,1]
	v_pk_fma_f16 v22, v93, v36, v22 op_sel_hi:[1,0,1]
	v_pk_fma_f16 v23, v94, v36, v23 op_sel_hi:[1,0,1]
	v_pk_fma_f16 v24, v95, v36, v24 op_sel_hi:[1,0,1]
	v_pk_fma_f16 v17, v96, v36, v17 op_sel:[0,1,0]
	v_pk_fma_f16 v18, v97, v36, v18 op_sel:[0,1,0]
	;; [unrolled: 1-line block ×8, first 2 shown]
	v_pk_fma_f16 v144, v104, v37, v17 op_sel_hi:[1,0,1]
	v_pk_fma_f16 v145, v105, v37, v18 op_sel_hi:[1,0,1]
	;; [unrolled: 1-line block ×4, first 2 shown]
	s_waitcnt vmcnt(3)
	ds_store_b128 v54, v[128:131]
	s_waitcnt vmcnt(2)
	ds_store_b128 v56, v[132:135]
	;; [unrolled: 2-line block ×4, first 2 shown]
	s_waitcnt lgkmcnt(0)
	s_barrier
	buffer_gl0_inv
	ds_load_2addr_b64 v[17:20], v59 offset1:32
	ds_load_2addr_b64 v[21:24], v59 offset0:64 offset1:96
	ds_load_b128 v[25:28], v53 offset:64
	ds_load_2addr_b64 v[29:32], v59 offset0:128 offset1:160
	ds_load_2addr_b64 v[33:36], v59 offset0:192 offset1:224
	ds_load_2addr_b64 v[64:67], v61 offset1:32
	ds_load_2addr_b64 v[68:71], v61 offset0:64 offset1:96
	ds_load_2addr_b64 v[72:75], v61 offset0:128 offset1:160
	ds_load_2addr_b64 v[76:79], v61 offset0:192 offset1:224
	ds_load_2addr_b64 v[80:83], v62 offset1:32
	ds_load_2addr_b64 v[84:87], v62 offset0:64 offset1:96
	;; [unrolled: 4-line block ×3, first 2 shown]
	ds_load_2addr_b64 v[104:107], v63 offset0:128 offset1:160
	ds_load_2addr_b64 v[112:115], v63 offset0:192 offset1:224
	s_waitcnt lgkmcnt(0)
	s_barrier
	buffer_gl0_inv
	s_clause 0x3
	global_load_b128 v[116:119], v[156:157], off
	global_load_b128 v[128:131], v[156:157], off offset:512
	global_load_b128 v[132:135], v[158:159], off
	global_load_b128 v[136:139], v[158:159], off offset:512
	v_pk_fma_f16 v108, v108, v37, v140 op_sel_hi:[1,0,1]
	v_pk_fma_f16 v109, v109, v37, v141 op_sel_hi:[1,0,1]
	v_pk_fma_f16 v110, v110, v37, v142 op_sel_hi:[1,0,1]
	v_pk_fma_f16 v111, v111, v37, v143 op_sel_hi:[1,0,1]
	v_pk_fma_f16 v120, v120, v37, v144 op_sel:[0,1,0]
	v_pk_fma_f16 v121, v121, v37, v145 op_sel:[0,1,0]
	v_pk_fma_f16 v122, v122, v37, v146 op_sel:[0,1,0]
	v_pk_fma_f16 v123, v123, v37, v147 op_sel:[0,1,0]
	v_pk_fma_f16 v108, v124, v37, v108 op_sel:[0,1,0]
	v_pk_fma_f16 v109, v125, v37, v109 op_sel:[0,1,0]
	v_pk_fma_f16 v110, v126, v37, v110 op_sel:[0,1,0]
	v_pk_fma_f16 v37, v127, v37, v111 op_sel:[0,1,0]
	v_pk_fma_f16 v17, v17, v25, v120 op_sel_hi:[1,0,1]
	v_pk_fma_f16 v18, v18, v25, v121 op_sel_hi:[1,0,1]
	v_pk_fma_f16 v19, v19, v25, v122 op_sel_hi:[1,0,1]
	v_pk_fma_f16 v20, v20, v25, v123 op_sel_hi:[1,0,1]
	v_pk_fma_f16 v21, v21, v25, v108 op_sel_hi:[1,0,1]
	v_pk_fma_f16 v22, v22, v25, v109 op_sel_hi:[1,0,1]
	v_pk_fma_f16 v23, v23, v25, v110 op_sel_hi:[1,0,1]
	v_pk_fma_f16 v24, v24, v25, v37 op_sel_hi:[1,0,1]
	v_pk_fma_f16 v17, v29, v25, v17 op_sel:[0,1,0]
	v_pk_fma_f16 v18, v30, v25, v18 op_sel:[0,1,0]
	v_pk_fma_f16 v19, v31, v25, v19 op_sel:[0,1,0]
	v_pk_fma_f16 v20, v32, v25, v20 op_sel:[0,1,0]
	v_pk_fma_f16 v21, v33, v25, v21 op_sel:[0,1,0]
	v_pk_fma_f16 v22, v34, v25, v22 op_sel:[0,1,0]
	v_pk_fma_f16 v23, v35, v25, v23 op_sel:[0,1,0]
	v_pk_fma_f16 v24, v36, v25, v24 op_sel:[0,1,0]
	v_pk_fma_f16 v17, v64, v26, v17 op_sel_hi:[1,0,1]
	v_pk_fma_f16 v18, v65, v26, v18 op_sel_hi:[1,0,1]
	v_pk_fma_f16 v19, v66, v26, v19 op_sel_hi:[1,0,1]
	v_pk_fma_f16 v20, v67, v26, v20 op_sel_hi:[1,0,1]
	;; [unrolled: 16-line block ×3, first 2 shown]
	v_pk_fma_f16 v21, v84, v27, v21 op_sel_hi:[1,0,1]
	v_pk_fma_f16 v22, v85, v27, v22 op_sel_hi:[1,0,1]
	;; [unrolled: 1-line block ×4, first 2 shown]
	v_pk_fma_f16 v25, v88, v27, v17 op_sel:[0,1,0]
	v_pk_fma_f16 v26, v89, v27, v18 op_sel:[0,1,0]
	;; [unrolled: 1-line block ×8, first 2 shown]
	s_waitcnt vmcnt(3)
	ds_store_b128 v54, v[116:119]
	s_waitcnt vmcnt(2)
	ds_store_b128 v56, v[128:131]
	;; [unrolled: 2-line block ×4, first 2 shown]
	s_waitcnt lgkmcnt(0)
	s_barrier
	buffer_gl0_inv
	ds_load_2addr_b64 v[17:20], v59 offset1:32
	ds_load_2addr_b64 v[21:24], v59 offset0:64 offset1:96
	ds_load_b128 v[29:32], v53 offset:80
	ds_load_2addr_b64 v[33:36], v59 offset0:128 offset1:160
	ds_load_2addr_b64 v[64:67], v59 offset0:192 offset1:224
	ds_load_2addr_b64 v[68:71], v61 offset1:32
	ds_load_2addr_b64 v[72:75], v61 offset0:64 offset1:96
	ds_load_2addr_b64 v[76:79], v61 offset0:128 offset1:160
	ds_load_2addr_b64 v[80:83], v61 offset0:192 offset1:224
	ds_load_2addr_b64 v[84:87], v62 offset1:32
	ds_load_2addr_b64 v[88:91], v62 offset0:64 offset1:96
	;; [unrolled: 4-line block ×3, first 2 shown]
	ds_load_2addr_b64 v[124:127], v63 offset0:128 offset1:160
	ds_load_2addr_b64 v[128:131], v63 offset0:192 offset1:224
	s_waitcnt lgkmcnt(0)
	s_barrier
	buffer_gl0_inv
	s_clause 0x3
	global_load_b128 v[132:135], v[162:163], off
	global_load_b128 v[136:139], v[162:163], off offset:512
	global_load_b128 v[140:143], v[160:161], off
	global_load_b128 v[144:147], v[160:161], off offset:512
	v_pk_fma_f16 v25, v96, v28, v25 op_sel_hi:[1,0,1]
	v_pk_fma_f16 v26, v97, v28, v26 op_sel_hi:[1,0,1]
	v_pk_fma_f16 v37, v98, v28, v37 op_sel_hi:[1,0,1]
	v_pk_fma_f16 v96, v99, v28, v148 op_sel_hi:[1,0,1]
	v_pk_fma_f16 v97, v100, v28, v149 op_sel_hi:[1,0,1]
	v_pk_fma_f16 v98, v101, v28, v150 op_sel_hi:[1,0,1]
	v_pk_fma_f16 v99, v102, v28, v151 op_sel_hi:[1,0,1]
	v_pk_fma_f16 v27, v103, v28, v27 op_sel_hi:[1,0,1]
	v_pk_fma_f16 v25, v104, v28, v25 op_sel:[0,1,0]
	v_pk_fma_f16 v26, v105, v28, v26 op_sel:[0,1,0]
	v_pk_fma_f16 v37, v106, v28, v37 op_sel:[0,1,0]
	v_pk_fma_f16 v96, v107, v28, v96 op_sel:[0,1,0]
	v_pk_fma_f16 v97, v112, v28, v97 op_sel:[0,1,0]
	v_pk_fma_f16 v98, v113, v28, v98 op_sel:[0,1,0]
	v_pk_fma_f16 v99, v114, v28, v99 op_sel:[0,1,0]
	v_pk_fma_f16 v27, v115, v28, v27 op_sel:[0,1,0]
	v_pk_fma_f16 v17, v17, v29, v25 op_sel_hi:[1,0,1]
	v_pk_fma_f16 v18, v18, v29, v26 op_sel_hi:[1,0,1]
	v_pk_fma_f16 v19, v19, v29, v37 op_sel_hi:[1,0,1]
	v_pk_fma_f16 v20, v20, v29, v96 op_sel_hi:[1,0,1]
	v_pk_fma_f16 v21, v21, v29, v97 op_sel_hi:[1,0,1]
	v_pk_fma_f16 v22, v22, v29, v98 op_sel_hi:[1,0,1]
	v_pk_fma_f16 v23, v23, v29, v99 op_sel_hi:[1,0,1]
	v_pk_fma_f16 v24, v24, v29, v27 op_sel_hi:[1,0,1]
	v_pk_fma_f16 v17, v33, v29, v17 op_sel:[0,1,0]
	v_pk_fma_f16 v18, v34, v29, v18 op_sel:[0,1,0]
	v_pk_fma_f16 v19, v35, v29, v19 op_sel:[0,1,0]
	v_pk_fma_f16 v20, v36, v29, v20 op_sel:[0,1,0]
	v_pk_fma_f16 v21, v64, v29, v21 op_sel:[0,1,0]
	v_pk_fma_f16 v22, v65, v29, v22 op_sel:[0,1,0]
	v_pk_fma_f16 v23, v66, v29, v23 op_sel:[0,1,0]
	v_pk_fma_f16 v24, v67, v29, v24 op_sel:[0,1,0]
	;; [unrolled: 16-line block ×3, first 2 shown]
	v_pk_fma_f16 v17, v84, v31, v17 op_sel_hi:[1,0,1]
	v_pk_fma_f16 v18, v85, v31, v18 op_sel_hi:[1,0,1]
	;; [unrolled: 1-line block ×8, first 2 shown]
	v_pk_fma_f16 v153, v92, v31, v17 op_sel:[0,1,0]
	v_pk_fma_f16 v154, v93, v31, v18 op_sel:[0,1,0]
	;; [unrolled: 1-line block ×4, first 2 shown]
	s_waitcnt vmcnt(3)
	ds_store_b128 v54, v[132:135]
	s_waitcnt vmcnt(2)
	ds_store_b128 v56, v[136:139]
	;; [unrolled: 2-line block ×4, first 2 shown]
	s_waitcnt lgkmcnt(0)
	s_barrier
	buffer_gl0_inv
	ds_load_2addr_b64 v[17:20], v59 offset1:32
	ds_load_2addr_b64 v[21:24], v59 offset0:64 offset1:96
	ds_load_b128 v[25:28], v53 offset:96
	ds_load_2addr_b64 v[33:36], v59 offset0:128 offset1:160
	ds_load_2addr_b64 v[64:67], v59 offset0:192 offset1:224
	ds_load_2addr_b64 v[68:71], v61 offset1:32
	ds_load_2addr_b64 v[72:75], v61 offset0:64 offset1:96
	ds_load_2addr_b64 v[76:79], v61 offset0:128 offset1:160
	ds_load_2addr_b64 v[80:83], v61 offset0:192 offset1:224
	ds_load_2addr_b64 v[84:87], v62 offset1:32
	ds_load_2addr_b64 v[88:91], v62 offset0:64 offset1:96
	;; [unrolled: 4-line block ×3, first 2 shown]
	ds_load_2addr_b64 v[112:115], v63 offset0:128 offset1:160
	ds_load_2addr_b64 v[132:135], v63 offset0:192 offset1:224
	s_waitcnt lgkmcnt(0)
	s_barrier
	buffer_gl0_inv
	s_clause 0x3
	global_load_b128 v[136:139], v[164:165], off
	global_load_b128 v[140:143], v[164:165], off offset:512
	global_load_b128 v[144:147], v[166:167], off
	global_load_b128 v[148:151], v[166:167], off offset:512
	v_pk_fma_f16 v29, v108, v31, v29 op_sel:[0,1,0]
	v_pk_fma_f16 v30, v109, v31, v30 op_sel:[0,1,0]
	v_pk_fma_f16 v37, v110, v31, v37 op_sel:[0,1,0]
	v_pk_fma_f16 v31, v111, v31, v152 op_sel:[0,1,0]
	v_pk_fma_f16 v108, v116, v32, v153 op_sel_hi:[1,0,1]
	v_pk_fma_f16 v109, v117, v32, v154 op_sel_hi:[1,0,1]
	v_pk_fma_f16 v110, v118, v32, v155 op_sel_hi:[1,0,1]
	v_pk_fma_f16 v111, v119, v32, v156 op_sel_hi:[1,0,1]
	v_pk_fma_f16 v29, v120, v32, v29 op_sel_hi:[1,0,1]
	v_pk_fma_f16 v30, v121, v32, v30 op_sel_hi:[1,0,1]
	v_pk_fma_f16 v37, v122, v32, v37 op_sel_hi:[1,0,1]
	v_pk_fma_f16 v31, v123, v32, v31 op_sel_hi:[1,0,1]
	v_pk_fma_f16 v108, v124, v32, v108 op_sel:[0,1,0]
	v_pk_fma_f16 v109, v125, v32, v109 op_sel:[0,1,0]
	v_pk_fma_f16 v110, v126, v32, v110 op_sel:[0,1,0]
	v_pk_fma_f16 v111, v127, v32, v111 op_sel:[0,1,0]
	v_pk_fma_f16 v29, v128, v32, v29 op_sel:[0,1,0]
	v_pk_fma_f16 v30, v129, v32, v30 op_sel:[0,1,0]
	v_pk_fma_f16 v37, v130, v32, v37 op_sel:[0,1,0]
	v_pk_fma_f16 v31, v131, v32, v31 op_sel:[0,1,0]
	v_pk_fma_f16 v17, v17, v25, v108 op_sel_hi:[1,0,1]
	v_pk_fma_f16 v18, v18, v25, v109 op_sel_hi:[1,0,1]
	v_pk_fma_f16 v19, v19, v25, v110 op_sel_hi:[1,0,1]
	v_pk_fma_f16 v20, v20, v25, v111 op_sel_hi:[1,0,1]
	v_pk_fma_f16 v21, v21, v25, v29 op_sel_hi:[1,0,1]
	v_pk_fma_f16 v22, v22, v25, v30 op_sel_hi:[1,0,1]
	v_pk_fma_f16 v23, v23, v25, v37 op_sel_hi:[1,0,1]
	v_pk_fma_f16 v24, v24, v25, v31 op_sel_hi:[1,0,1]
	v_pk_fma_f16 v17, v33, v25, v17 op_sel:[0,1,0]
	v_pk_fma_f16 v18, v34, v25, v18 op_sel:[0,1,0]
	v_pk_fma_f16 v19, v35, v25, v19 op_sel:[0,1,0]
	v_pk_fma_f16 v20, v36, v25, v20 op_sel:[0,1,0]
	;; [unrolled: 16-line block ×5, first 2 shown]
	v_pk_fma_f16 v115, v132, v28, v21 op_sel:[0,1,0]
	v_pk_fma_f16 v116, v133, v28, v22 op_sel:[0,1,0]
	;; [unrolled: 1-line block ×4, first 2 shown]
	s_waitcnt vmcnt(3)
	ds_store_b128 v54, v[136:139]
	s_waitcnt vmcnt(2)
	ds_store_b128 v56, v[140:143]
	;; [unrolled: 2-line block ×4, first 2 shown]
	s_waitcnt lgkmcnt(0)
	s_barrier
	buffer_gl0_inv
	ds_load_2addr_b64 v[17:20], v59 offset1:32
	ds_load_2addr_b64 v[21:24], v59 offset0:64 offset1:96
	ds_load_b128 v[25:28], v53 offset:112
	ds_load_2addr_b64 v[29:32], v59 offset0:128 offset1:160
	ds_load_2addr_b64 v[33:36], v59 offset0:192 offset1:224
	ds_load_2addr_b64 v[64:67], v61 offset1:32
	ds_load_2addr_b64 v[68:71], v61 offset0:64 offset1:96
	ds_load_2addr_b64 v[72:75], v61 offset0:128 offset1:160
	ds_load_2addr_b64 v[76:79], v61 offset0:192 offset1:224
	ds_load_2addr_b64 v[80:83], v62 offset1:32
	ds_load_2addr_b64 v[84:87], v62 offset0:64 offset1:96
	;; [unrolled: 4-line block ×3, first 2 shown]
	ds_load_2addr_b64 v[104:107], v63 offset0:128 offset1:160
	ds_load_2addr_b64 v[108:111], v63 offset0:192 offset1:224
	s_waitcnt lgkmcnt(0)
	s_barrier
	buffer_gl0_inv
	s_load_b32 s2, s[8:9], 0x4
	v_pk_fma_f16 v17, v17, v25, v37 op_sel_hi:[1,0,1]
	v_pk_fma_f16 v18, v18, v25, v112 op_sel_hi:[1,0,1]
	v_pk_fma_f16 v19, v19, v25, v113 op_sel_hi:[1,0,1]
	v_pk_fma_f16 v20, v20, v25, v114 op_sel_hi:[1,0,1]
	v_pk_fma_f16 v21, v21, v25, v115 op_sel_hi:[1,0,1]
	v_pk_fma_f16 v22, v22, v25, v116 op_sel_hi:[1,0,1]
	v_pk_fma_f16 v23, v23, v25, v117 op_sel_hi:[1,0,1]
	v_pk_fma_f16 v24, v24, v25, v118 op_sel_hi:[1,0,1]
	v_pk_fma_f16 v17, v29, v25, v17 op_sel:[0,1,0]
	v_pk_fma_f16 v18, v30, v25, v18 op_sel:[0,1,0]
	v_pk_fma_f16 v19, v31, v25, v19 op_sel:[0,1,0]
	v_pk_fma_f16 v20, v32, v25, v20 op_sel:[0,1,0]
	v_pk_fma_f16 v21, v33, v25, v21 op_sel:[0,1,0]
	v_pk_fma_f16 v22, v34, v25, v22 op_sel:[0,1,0]
	v_pk_fma_f16 v23, v35, v25, v23 op_sel:[0,1,0]
	v_pk_fma_f16 v24, v36, v25, v24 op_sel:[0,1,0]
	v_pk_fma_f16 v17, v64, v26, v17 op_sel_hi:[1,0,1]
	v_pk_fma_f16 v18, v65, v26, v18 op_sel_hi:[1,0,1]
	v_pk_fma_f16 v19, v66, v26, v19 op_sel_hi:[1,0,1]
	v_pk_fma_f16 v20, v67, v26, v20 op_sel_hi:[1,0,1]
	v_pk_fma_f16 v21, v68, v26, v21 op_sel_hi:[1,0,1]
	v_pk_fma_f16 v22, v69, v26, v22 op_sel_hi:[1,0,1]
	v_pk_fma_f16 v23, v70, v26, v23 op_sel_hi:[1,0,1]
	v_pk_fma_f16 v24, v71, v26, v24 op_sel_hi:[1,0,1]
	v_pk_fma_f16 v17, v72, v26, v17 op_sel:[0,1,0]
	v_pk_fma_f16 v18, v73, v26, v18 op_sel:[0,1,0]
	v_pk_fma_f16 v19, v74, v26, v19 op_sel:[0,1,0]
	v_pk_fma_f16 v20, v75, v26, v20 op_sel:[0,1,0]
	v_pk_fma_f16 v21, v76, v26, v21 op_sel:[0,1,0]
	v_pk_fma_f16 v22, v77, v26, v22 op_sel:[0,1,0]
	v_pk_fma_f16 v23, v78, v26, v23 op_sel:[0,1,0]
	v_pk_fma_f16 v24, v79, v26, v24 op_sel:[0,1,0]
	;; [unrolled: 16-line block ×3, first 2 shown]
	v_pk_fma_f16 v17, v96, v28, v17 op_sel_hi:[1,0,1]
	v_pk_fma_f16 v18, v97, v28, v18 op_sel_hi:[1,0,1]
	;; [unrolled: 1-line block ×8, first 2 shown]
	s_waitcnt lgkmcnt(0)
	s_lshl_b32 s2, s2, 6
	v_pk_fma_f16 v69, v104, v28, v17 op_sel:[0,1,0]
	v_pk_fma_f16 v71, v105, v28, v18 op_sel:[0,1,0]
	;; [unrolled: 1-line block ×8, first 2 shown]
	s_add_i32 s16, s2, s16
	s_delay_alu instid0(SALU_CYCLE_1)
	s_cmp_lt_i32 s16, s34
	s_cbranch_scc1 .LBB20_11
; %bb.12:
	v_dual_mov_b32 v2, 32 :: v_dual_mov_b32 v3, v40
.LBB20_13:
	s_delay_alu instid0(VALU_DEP_1)
	v_cmp_lt_i32_e32 vcc_lo, v45, v2
	s_cmp_eq_u64 s[24:25], 0
	s_cselect_b32 s2, -1, 0
	s_cmp_lg_u32 s14, 0
	v_cndmask_b32_e32 v4, v3, v45, vcc_lo
	v_cmp_lt_i32_e32 vcc_lo, v44, v2
	s_cselect_b32 s3, -1, 0
	s_delay_alu instid0(SALU_CYCLE_1) | instskip(NEXT) | instid1(VALU_DEP_2)
	s_or_b32 s2, s3, s2
	v_lshlrev_b32_e32 v4, 2, v4
	v_cndmask_b32_e32 v5, v3, v44, vcc_lo
	v_cmp_lt_i32_e32 vcc_lo, v43, v2
	ds_bpermute_b32 v4, v4, v16
	v_cndmask_b32_e32 v6, v3, v43, vcc_lo
	v_cmp_lt_i32_e32 vcc_lo, v42, v2
	s_delay_alu instid0(VALU_DEP_2)
	v_lshlrev_b32_e32 v6, 2, v6
	s_waitcnt lgkmcnt(0)
	v_dual_add_f32 v4, v16, v4 :: v_dual_lshlrev_b32 v5, 2, v5
	ds_bpermute_b32 v5, v5, v4
	s_waitcnt lgkmcnt(0)
	v_add_f32_e32 v4, v4, v5
	ds_bpermute_b32 v5, v6, v4
	v_cndmask_b32_e32 v6, v3, v42, vcc_lo
	v_cmp_lt_i32_e32 vcc_lo, v41, v2
	s_delay_alu instid0(VALU_DEP_2) | instskip(SKIP_2) | instid1(VALU_DEP_1)
	v_lshlrev_b32_e32 v6, 2, v6
	v_cndmask_b32_e32 v2, v3, v41, vcc_lo
	s_and_b32 vcc_lo, exec_lo, s2
	v_lshlrev_b32_e32 v2, 2, v2
	s_waitcnt lgkmcnt(0)
	v_add_f32_e32 v4, v4, v5
	ds_bpermute_b32 v5, v6, v4
	s_waitcnt lgkmcnt(0)
	v_add_f32_e32 v3, v4, v5
	ds_bpermute_b32 v4, v2, v3
	v_add_nc_u32_e32 v2, s15, v39
	s_waitcnt lgkmcnt(0)
	v_add_f32_e32 v16, v3, v4
	s_cbranch_vccnz .LBB20_15
; %bb.14:
	s_delay_alu instid0(VALU_DEP_2) | instskip(NEXT) | instid1(VALU_DEP_1)
	v_ashrrev_i32_e32 v3, 31, v2
	v_lshlrev_b64 v[3:4], 2, v[2:3]
	s_delay_alu instid0(VALU_DEP_1) | instskip(NEXT) | instid1(VALU_DEP_2)
	v_add_co_u32 v3, vcc_lo, s24, v3
	v_add_co_ci_u32_e32 v4, vcc_lo, s25, v4, vcc_lo
	global_load_b32 v3, v[3:4], off
	v_max_f32_e32 v4, v15, v15
	s_waitcnt vmcnt(0)
	v_max_f32_e32 v5, v3, v3
	s_delay_alu instid0(VALU_DEP_1) | instskip(NEXT) | instid1(VALU_DEP_1)
	v_max_f32_e32 v4, v4, v5
	v_sub_f32_e32 v3, v3, v4
	s_delay_alu instid0(VALU_DEP_1) | instskip(NEXT) | instid1(VALU_DEP_1)
	v_mul_f32_e32 v7, 0x3fb8aa3b, v3
	v_fma_f32 v10, 0x3fb8aa3b, v3, -v7
	v_sub_f32_e32 v5, v15, v4
	v_rndne_f32_e32 v11, v7
	s_delay_alu instid0(VALU_DEP_3) | instskip(NEXT) | instid1(VALU_DEP_2)
	v_dual_mov_b32 v15, v4 :: v_dual_fmac_f32 v10, 0x32a5705f, v3
	v_dual_mul_f32 v6, 0x3fb8aa3b, v5 :: v_dual_sub_f32 v7, v7, v11
	v_cmp_ngt_f32_e32 vcc_lo, 0xc2ce8ed0, v5
	s_delay_alu instid0(VALU_DEP_2) | instskip(SKIP_1) | instid1(VALU_DEP_2)
	v_fma_f32 v8, 0x3fb8aa3b, v5, -v6
	v_rndne_f32_e32 v9, v6
	v_dual_add_f32 v7, v7, v10 :: v_dual_fmac_f32 v8, 0x32a5705f, v5
	s_delay_alu instid0(VALU_DEP_2) | instskip(NEXT) | instid1(VALU_DEP_2)
	v_sub_f32_e32 v6, v6, v9
	v_exp_f32_e32 v7, v7
	s_delay_alu instid0(VALU_DEP_1) | instskip(SKIP_2) | instid1(VALU_DEP_3)
	v_add_f32_e32 v6, v6, v8
	v_cvt_i32_f32_e32 v8, v9
	v_cvt_i32_f32_e32 v9, v11
	v_exp_f32_e32 v6, v6
	s_waitcnt_depctr 0xfff
	v_ldexp_f32 v7, v7, v9
	v_ldexp_f32 v6, v6, v8
	s_delay_alu instid0(VALU_DEP_1) | instskip(SKIP_1) | instid1(VALU_DEP_4)
	v_cndmask_b32_e32 v6, 0, v6, vcc_lo
	v_cmp_ngt_f32_e32 vcc_lo, 0xc2ce8ed0, v3
	v_cndmask_b32_e32 v7, 0, v7, vcc_lo
	v_cmp_nlt_f32_e32 vcc_lo, 0x42b17218, v5
	s_delay_alu instid0(VALU_DEP_4) | instskip(SKIP_1) | instid1(VALU_DEP_2)
	v_cndmask_b32_e32 v5, 0x7f800000, v6, vcc_lo
	v_cmp_nlt_f32_e32 vcc_lo, 0x42b17218, v3
	v_cvt_f16_f32_e32 v6, v5
	v_cndmask_b32_e32 v3, 0x7f800000, v7, vcc_lo
	s_delay_alu instid0(VALU_DEP_2) | instskip(NEXT) | instid1(VALU_DEP_2)
	v_pk_mul_f16 v69, v6, v69 op_sel_hi:[0,1]
	v_fmac_f32_e32 v3, v16, v5
	v_pk_mul_f16 v71, v6, v71 op_sel_hi:[0,1]
	v_pk_mul_f16 v68, v6, v68 op_sel_hi:[0,1]
	;; [unrolled: 1-line block ×7, first 2 shown]
	v_mov_b32_e32 v16, v3
.LBB20_15:
	s_delay_alu instid0(VALU_DEP_1) | instskip(SKIP_2) | instid1(VALU_DEP_2)
	v_div_scale_f32 v6, null, v16, v16, 1.0
	s_load_b32 s0, s[0:1], 0xd4
	v_mad_u64_u32 v[3:4], null, s33, s10, v[1:2]
	v_rcp_f32_e32 v7, v6
	v_div_scale_f32 v8, vcc_lo, 1.0, v16, 1.0
	v_cvt_f32_f16_e32 v10, v71
	v_cvt_f32_f16_e32 v12, v69
	v_lshrrev_b32_e32 v11, 16, v69
	v_mad_u64_u32 v[4:5], null, v3, s11, v[2:3]
	v_lshrrev_b32_e32 v3, 16, v70
	v_lshrrev_b32_e32 v14, 16, v68
	s_delay_alu instid0(TRANS32_DEP_1)
	v_fma_f32 v1, -v6, v7, 1.0
	v_cvt_f32_f16_e32 v13, v70
	v_lshrrev_b32_e32 v20, 16, v67
	v_cvt_f32_f16_e32 v26, v3
	v_cvt_f32_f16_e32 v11, v11
	v_dual_fmac_f32 v7, v1, v7 :: v_dual_mov_b32 v18, 0
	s_waitcnt lgkmcnt(0)
	v_mad_u64_u32 v[1:2], null, s0, v4, s[14:15]
	s_cmp_lg_u32 s0, 1
	v_lshrrev_b32_e32 v25, 16, v66
	s_cselect_b32 s1, -1, 0
	v_cvt_f32_f16_e32 v14, v14
	v_cvt_f32_f16_e32 v19, v68
	;; [unrolled: 1-line block ×3, first 2 shown]
	v_lshl_add_u32 v17, v1, 9, v38
	v_mul_f32_e32 v5, v8, v7
	v_lshrrev_b32_e32 v9, 16, v71
	v_lshrrev_b32_e32 v27, 16, v65
	v_cvt_f32_f16_e32 v31, v65
	s_delay_alu instid0(VALU_DEP_4) | instskip(NEXT) | instid1(VALU_DEP_4)
	v_fma_f32 v2, -v6, v5, v8
	v_cvt_f32_f16_e32 v9, v9
	s_delay_alu instid0(VALU_DEP_4) | instskip(NEXT) | instid1(VALU_DEP_3)
	v_cvt_f32_f16_e32 v30, v27
	v_dual_fmac_f32 v5, v2, v7 :: v_dual_add_nc_u32 v2, 0x80, v17
	s_delay_alu instid0(VALU_DEP_1) | instskip(NEXT) | instid1(VALU_DEP_1)
	v_fma_f32 v4, -v6, v5, v8
	v_div_fmas_f32 v6, v4, v7, v5
	v_lshlrev_b64 v[4:5], 2, v[17:18]
	s_delay_alu instid0(VALU_DEP_2) | instskip(NEXT) | instid1(VALU_DEP_2)
	v_div_fixup_f32 v6, v6, v16, 1.0
	v_add_co_u32 v21, vcc_lo, s28, v4
	s_delay_alu instid0(VALU_DEP_3) | instskip(NEXT) | instid1(VALU_DEP_3)
	v_add_co_ci_u32_e32 v22, vcc_lo, s29, v5, vcc_lo
	v_cndmask_b32_e64 v29, v6, 1.0, s1
	s_delay_alu instid0(VALU_DEP_1) | instskip(NEXT) | instid1(VALU_DEP_1)
	v_dual_mov_b32 v3, v18 :: v_dual_mul_f32 v4, v29, v10
	v_lshlrev_b64 v[2:3], 2, v[2:3]
	v_mul_f32_e32 v8, v29, v13
	v_dual_mul_f32 v7, v29, v14 :: v_dual_add_nc_u32 v10, 0x100, v17
	v_cvt_f32_f16_e32 v14, v25
	v_dual_mul_f32 v6, v29, v19 :: v_dual_add_nc_u32 v17, 0x180, v17
	v_add_co_u32 v23, vcc_lo, s28, v2
	v_add_co_ci_u32_e32 v24, vcc_lo, s29, v3, vcc_lo
	v_mul_f32_e32 v3, v29, v11
	v_mov_b32_e32 v11, v18
	v_mul_f32_e32 v13, v29, v20
	v_cvt_f32_f16_e32 v25, v66
	v_lshlrev_b64 v[27:28], 2, v[17:18]
	v_mul_f32_e32 v2, v29, v12
	v_lshlrev_b64 v[19:20], 2, v[10:11]
	v_mul_f32_e32 v11, v29, v14
	v_lshrrev_b32_e32 v14, 16, v64
	v_cvt_f32_f16_e32 v12, v67
	v_mul_f32_e32 v10, v29, v25
	v_mul_f32_e32 v5, v29, v9
	v_add_co_u32 v25, vcc_lo, s28, v19
	v_cvt_f32_f16_e32 v14, v14
	v_cvt_f32_f16_e32 v19, v64
	v_mul_f32_e32 v9, v29, v26
	v_add_co_ci_u32_e32 v26, vcc_lo, s29, v20, vcc_lo
	v_cmp_eq_u32_e32 vcc_lo, 0, v0
	v_add_co_u32 v27, s0, s28, v27
	v_mul_f32_e32 v12, v29, v12
	v_mul_f32_e32 v20, v29, v14
	;; [unrolled: 1-line block ×5, first 2 shown]
	v_add_co_ci_u32_e64 v28, s0, s29, v28, s0
	s_and_b32 s0, vcc_lo, s1
	s_clause 0x3
	global_store_b128 v[21:22], v[2:5], off
	global_store_b128 v[23:24], v[6:9], off
	;; [unrolled: 1-line block ×4, first 2 shown]
	s_and_saveexec_b32 s1, s0
	s_cbranch_execz .LBB20_17
; %bb.16:
	v_ashrrev_i32_e32 v2, 31, v1
	s_delay_alu instid0(VALU_DEP_1) | instskip(NEXT) | instid1(VALU_DEP_1)
	v_lshlrev_b64 v[0:1], 3, v[1:2]
	v_add_co_u32 v0, vcc_lo, s30, v0
	s_delay_alu instid0(VALU_DEP_2)
	v_add_co_ci_u32_e32 v1, vcc_lo, s31, v1, vcc_lo
	global_store_b64 v[0:1], v[15:16], off
.LBB20_17:
	s_nop 0
	s_sendmsg sendmsg(MSG_DEALLOC_VGPRS)
	s_endpgm
	.section	.rodata,"a",@progbits
	.p2align	6, 0x0
	.amdhsa_kernel _ZL15flash_attn_tileILi576ELi512ELi1ELi4ELb0EEvPKcS1_S1_S1_S1_PKiPfP15HIP_vector_typeIfLj2EEffffjfiS5_IjLj3EEiiiiiiiiiiiliiliiiiil
		.amdhsa_group_segment_fixed_size 14336
		.amdhsa_private_segment_fixed_size 0
		.amdhsa_kernarg_size 464
		.amdhsa_user_sgpr_count 13
		.amdhsa_user_sgpr_dispatch_ptr 0
		.amdhsa_user_sgpr_queue_ptr 0
		.amdhsa_user_sgpr_kernarg_segment_ptr 1
		.amdhsa_user_sgpr_dispatch_id 0
		.amdhsa_user_sgpr_private_segment_size 0
		.amdhsa_wavefront_size32 1
		.amdhsa_uses_dynamic_stack 0
		.amdhsa_enable_private_segment 0
		.amdhsa_system_sgpr_workgroup_id_x 1
		.amdhsa_system_sgpr_workgroup_id_y 1
		.amdhsa_system_sgpr_workgroup_id_z 1
		.amdhsa_system_sgpr_workgroup_info 0
		.amdhsa_system_vgpr_workitem_id 1
		.amdhsa_next_free_vgpr 172
		.amdhsa_next_free_sgpr 41
		.amdhsa_reserve_vcc 1
		.amdhsa_float_round_mode_32 0
		.amdhsa_float_round_mode_16_64 0
		.amdhsa_float_denorm_mode_32 3
		.amdhsa_float_denorm_mode_16_64 3
		.amdhsa_dx10_clamp 1
		.amdhsa_ieee_mode 1
		.amdhsa_fp16_overflow 0
		.amdhsa_workgroup_processor_mode 1
		.amdhsa_memory_ordered 1
		.amdhsa_forward_progress 0
		.amdhsa_shared_vgpr_count 0
		.amdhsa_exception_fp_ieee_invalid_op 0
		.amdhsa_exception_fp_denorm_src 0
		.amdhsa_exception_fp_ieee_div_zero 0
		.amdhsa_exception_fp_ieee_overflow 0
		.amdhsa_exception_fp_ieee_underflow 0
		.amdhsa_exception_fp_ieee_inexact 0
		.amdhsa_exception_int_div_zero 0
	.end_amdhsa_kernel
	.section	.text._ZL15flash_attn_tileILi576ELi512ELi1ELi4ELb0EEvPKcS1_S1_S1_S1_PKiPfP15HIP_vector_typeIfLj2EEffffjfiS5_IjLj3EEiiiiiiiiiiiliiliiiiil,"axG",@progbits,_ZL15flash_attn_tileILi576ELi512ELi1ELi4ELb0EEvPKcS1_S1_S1_S1_PKiPfP15HIP_vector_typeIfLj2EEffffjfiS5_IjLj3EEiiiiiiiiiiiliiliiiiil,comdat
.Lfunc_end20:
	.size	_ZL15flash_attn_tileILi576ELi512ELi1ELi4ELb0EEvPKcS1_S1_S1_S1_PKiPfP15HIP_vector_typeIfLj2EEffffjfiS5_IjLj3EEiiiiiiiiiiiliiliiiiil, .Lfunc_end20-_ZL15flash_attn_tileILi576ELi512ELi1ELi4ELb0EEvPKcS1_S1_S1_S1_PKiPfP15HIP_vector_typeIfLj2EEffffjfiS5_IjLj3EEiiiiiiiiiiiliiliiiiil
                                        ; -- End function
	.section	.AMDGPU.csdata,"",@progbits
; Kernel info:
; codeLenInByte = 25608
; NumSgprs: 43
; NumVgprs: 172
; ScratchSize: 0
; MemoryBound: 0
; FloatMode: 240
; IeeeMode: 1
; LDSByteSize: 14336 bytes/workgroup (compile time only)
; SGPRBlocks: 5
; VGPRBlocks: 21
; NumSGPRsForWavesPerEU: 43
; NumVGPRsForWavesPerEU: 172
; Occupancy: 8
; WaveLimiterHint : 1
; COMPUTE_PGM_RSRC2:SCRATCH_EN: 0
; COMPUTE_PGM_RSRC2:USER_SGPR: 13
; COMPUTE_PGM_RSRC2:TRAP_HANDLER: 0
; COMPUTE_PGM_RSRC2:TGID_X_EN: 1
; COMPUTE_PGM_RSRC2:TGID_Y_EN: 1
; COMPUTE_PGM_RSRC2:TGID_Z_EN: 1
; COMPUTE_PGM_RSRC2:TIDIG_COMP_CNT: 1
	.section	.text._ZL33flash_attn_stream_k_fixup_uniformILi512ELi1ELi4EEvPfPK15HIP_vector_typeIfLj2EEiiiiiiS1_IjLj3EES5_S5_,"axG",@progbits,_ZL33flash_attn_stream_k_fixup_uniformILi512ELi1ELi4EEvPfPK15HIP_vector_typeIfLj2EEiiiiiiS1_IjLj3EES5_S5_,comdat
	.globl	_ZL33flash_attn_stream_k_fixup_uniformILi512ELi1ELi4EEvPfPK15HIP_vector_typeIfLj2EEiiiiiiS1_IjLj3EES5_S5_ ; -- Begin function _ZL33flash_attn_stream_k_fixup_uniformILi512ELi1ELi4EEvPfPK15HIP_vector_typeIfLj2EEiiiiiiS1_IjLj3EES5_S5_
	.p2align	8
	.type	_ZL33flash_attn_stream_k_fixup_uniformILi512ELi1ELi4EEvPfPK15HIP_vector_typeIfLj2EEiiiiiiS1_IjLj3EES5_S5_,@function
_ZL33flash_attn_stream_k_fixup_uniformILi512ELi1ELi4EEvPfPK15HIP_vector_typeIfLj2EEiiiiiiS1_IjLj3EES5_S5_: ; @_ZL33flash_attn_stream_k_fixup_uniformILi512ELi1ELi4EEvPfPK15HIP_vector_typeIfLj2EEiiiiiiS1_IjLj3EES5_S5_
; %bb.0:
	s_clause 0x1
	s_load_b256 s[4:11], s[0:1], 0x1c
	s_load_b128 s[16:19], s[0:1], 0x3c
	s_waitcnt lgkmcnt(0)
	s_mul_hi_u32 s2, s7, s13
	s_delay_alu instid0(SALU_CYCLE_1) | instskip(NEXT) | instid1(SALU_CYCLE_1)
	s_add_i32 s2, s13, s2
	s_lshr_b32 s7, s2, s8
	s_delay_alu instid0(SALU_CYCLE_1) | instskip(SKIP_2) | instid1(SALU_CYCLE_1)
	s_mul_i32 s2, s7, s9
	s_load_b64 s[8:9], s[0:1], 0x10
	s_sub_i32 s2, s13, s2
	s_mul_hi_u32 s3, s2, s10
	s_delay_alu instid0(SALU_CYCLE_1) | instskip(NEXT) | instid1(SALU_CYCLE_1)
	s_add_i32 s3, s2, s3
	s_lshr_b32 s10, s3, s11
	s_delay_alu instid0(SALU_CYCLE_1) | instskip(NEXT) | instid1(SALU_CYCLE_1)
	s_mul_i32 s3, s10, s16
	s_sub_i32 s2, s2, s3
	s_delay_alu instid0(SALU_CYCLE_1) | instskip(NEXT) | instid1(SALU_CYCLE_1)
	s_mul_hi_u32 s3, s2, s17
	s_add_i32 s3, s2, s3
	s_delay_alu instid0(SALU_CYCLE_1) | instskip(NEXT) | instid1(SALU_CYCLE_1)
	s_lshr_b32 s3, s3, s18
	s_mul_i32 s11, s3, s19
	s_lshl_b32 s12, s3, 2
	s_sub_i32 s11, s2, s11
	s_delay_alu instid0(SALU_CYCLE_1) | instskip(SKIP_4) | instid1(SALU_CYCLE_1)
	s_add_i32 s11, s11, s14
	s_waitcnt lgkmcnt(0)
	s_cmp_lt_i32 s11, s8
	s_cselect_b32 s2, -1, 0
	s_add_i32 s12, s12, s15
	s_cmp_lt_i32 s12, s5
	s_cselect_b32 s3, -1, 0
	s_delay_alu instid0(SALU_CYCLE_1) | instskip(NEXT) | instid1(SALU_CYCLE_1)
	s_and_b32 s2, s2, s3
	s_and_not1_b32 vcc_lo, exec_lo, s2
	s_cbranch_vccnz .LBB21_6
; %bb.1:
	s_mul_i32 s7, s7, s8
	s_mul_i32 s10, s10, s5
	s_add_i32 s5, s11, s7
	s_load_b128 s[0:3], s[0:1], 0x0
	s_add_i32 s7, s12, s10
	s_mul_i32 s5, s5, s9
	s_delay_alu instid0(SALU_CYCLE_1) | instskip(SKIP_3) | instid1(VALU_DEP_1)
	s_add_i32 s7, s7, s5
	s_mul_i32 s5, s13, s6
	v_lshl_or_b32 v1, s7, 9, v0
	s_add_i32 s9, s5, s6
	v_ashrrev_i32_e32 v2, 31, v1
	s_delay_alu instid0(VALU_DEP_1) | instskip(SKIP_1) | instid1(VALU_DEP_1)
	v_lshlrev_b64 v[1:2], 2, v[1:2]
	s_waitcnt lgkmcnt(0)
	v_add_co_u32 v1, vcc_lo, s0, v1
	s_delay_alu instid0(VALU_DEP_2) | instskip(SKIP_1) | instid1(SALU_CYCLE_1)
	v_add_co_ci_u32_e32 v2, vcc_lo, s1, v2, vcc_lo
	s_add_i32 s0, s14, s9
	s_lshl_b32 s0, s0, 2
	global_load_b32 v5, v[1:2], off
	s_add_i32 s0, s0, s15
	s_delay_alu instid0(SALU_CYCLE_1) | instskip(NEXT) | instid1(SALU_CYCLE_1)
	s_add_i32 s0, s0, -4
	s_ashr_i32 s1, s0, 31
	s_delay_alu instid0(SALU_CYCLE_1) | instskip(NEXT) | instid1(SALU_CYCLE_1)
	s_lshl_b64 s[0:1], s[0:1], 3
	s_add_u32 s0, s2, s0
	s_addc_u32 s1, s3, s1
	s_add_i32 s7, s9, -2
	s_load_b32 s10, s[0:1], 0x4
	s_cmp_lt_i32 s7, s5
	s_cbranch_scc1 .LBB21_4
; %bb.2:
	s_lshl_b32 s16, s4, 4
	s_load_b32 s11, s[0:1], 0x0
	s_ashr_i32 s17, s16, 31
	s_delay_alu instid0(SALU_CYCLE_1) | instskip(NEXT) | instid1(SALU_CYCLE_1)
	s_lshl_b64 s[0:1], s[16:17], 2
	s_add_u32 s7, s2, s0
	s_addc_u32 s8, s3, s1
	s_add_i32 s13, s13, 1
	s_lshl_b32 s0, s15, 9
	s_lshl_b32 s1, s14, 11
	s_mul_i32 s6, s6, s13
	s_add_i32 s0, s0, s1
	s_lshl_b32 s1, s6, 11
	s_delay_alu instid0(SALU_CYCLE_1)
	s_add_i32 s0, s0, s1
	s_add_i32 s1, s14, s4
	v_or_b32_e32 v0, s0, v0
	s_add_i32 s1, s1, s9
	s_waitcnt lgkmcnt(0)
	v_mov_b32_e32 v6, s10
	s_lshl_b32 s0, s1, 2
	s_add_i32 s4, s9, -1
	v_dual_mov_b32 v0, s11 :: v_dual_add_nc_u32 v3, 0xfffff000, v0
	s_add_i32 s0, s15, s0
	s_delay_alu instid0(SALU_CYCLE_1)
	s_add_i32 s0, s0, -8
.LBB21_3:                               ; =>This Inner Loop Header: Depth=1
	s_delay_alu instid0(VALU_DEP_1) | instskip(SKIP_1) | instid1(SALU_CYCLE_1)
	v_ashrrev_i32_e32 v4, 31, v3
	s_ashr_i32 s1, s0, 31
	s_lshl_b64 s[10:11], s[0:1], 3
	s_delay_alu instid0(SALU_CYCLE_1) | instskip(NEXT) | instid1(VALU_DEP_1)
	s_add_u32 s10, s2, s10
	v_lshlrev_b64 v[7:8], 2, v[3:4]
	s_addc_u32 s11, s3, s11
	s_add_i32 s4, s4, -1
	s_add_i32 s0, s0, -4
	s_cmp_le_i32 s4, s5
	s_load_b64 s[10:11], s[10:11], 0x0
	v_add_co_u32 v7, vcc_lo, s7, v7
	v_add_co_ci_u32_e32 v8, vcc_lo, s8, v8, vcc_lo
	global_load_b32 v4, v[7:8], off
	v_max_f32_e32 v7, v0, v0
	s_waitcnt lgkmcnt(0)
	v_max_f32_e64 v8, s10, s10
	s_delay_alu instid0(VALU_DEP_1) | instskip(NEXT) | instid1(VALU_DEP_1)
	v_max_f32_e32 v7, v7, v8
	v_sub_f32_e32 v8, s10, v7
	s_delay_alu instid0(VALU_DEP_1) | instskip(NEXT) | instid1(VALU_DEP_1)
	v_dual_sub_f32 v0, v0, v7 :: v_dual_mul_f32 v9, 0x3fb8aa3b, v8
	v_fma_f32 v10, 0x3fb8aa3b, v8, -v9
	v_rndne_f32_e32 v11, v9
	s_delay_alu instid0(VALU_DEP_3) | instskip(NEXT) | instid1(VALU_DEP_2)
	v_mul_f32_e32 v12, 0x3fb8aa3b, v0
	v_dual_fmac_f32 v10, 0x32a5705f, v8 :: v_dual_sub_f32 v9, v9, v11
	v_cvt_i32_f32_e32 v11, v11
	s_delay_alu instid0(VALU_DEP_3) | instskip(SKIP_1) | instid1(VALU_DEP_4)
	v_fma_f32 v13, 0x3fb8aa3b, v0, -v12
	v_rndne_f32_e32 v14, v12
	v_add_f32_e32 v9, v9, v10
	v_cmp_ngt_f32_e32 vcc_lo, 0xc2ce8ed0, v8
	s_delay_alu instid0(VALU_DEP_3) | instskip(NEXT) | instid1(VALU_DEP_3)
	v_sub_f32_e32 v10, v12, v14
	v_exp_f32_e32 v9, v9
	s_waitcnt_depctr 0xfff
	v_ldexp_f32 v9, v9, v11
	v_cvt_i32_f32_e32 v11, v14
	s_delay_alu instid0(VALU_DEP_2) | instskip(SKIP_1) | instid1(VALU_DEP_2)
	v_cndmask_b32_e32 v9, 0, v9, vcc_lo
	v_cmp_nlt_f32_e32 vcc_lo, 0x42b17218, v8
	v_cndmask_b32_e32 v9, 0x7f800000, v9, vcc_lo
	v_cmp_ngt_f32_e32 vcc_lo, 0xc2ce8ed0, v0
	v_fmac_f32_e32 v13, 0x32a5705f, v0
	s_delay_alu instid0(VALU_DEP_1) | instskip(NEXT) | instid1(VALU_DEP_1)
	v_add_f32_e32 v10, v10, v13
	v_exp_f32_e32 v10, v10
	s_waitcnt_depctr 0xfff
	v_ldexp_f32 v10, v10, v11
	s_delay_alu instid0(VALU_DEP_1)
	v_dual_mov_b32 v11, v6 :: v_dual_cndmask_b32 v10, 0, v10
	v_cmp_le_f32_e32 vcc_lo, 0xc1a00000, v8
	s_waitcnt vmcnt(1)
	v_dual_cndmask_b32 v8, 0, v9 :: v_dual_mov_b32 v9, v5
	v_cmp_nlt_f32_e32 vcc_lo, 0x42b17218, v0
	v_cndmask_b32_e32 v5, 0x7f800000, v10, vcc_lo
	s_delay_alu instid0(VALU_DEP_3) | instskip(SKIP_2) | instid1(VALU_DEP_3)
	v_mul_f32_e32 v10, s11, v8
	v_cmp_le_f32_e32 vcc_lo, 0xc1a00000, v0
	v_mov_b32_e32 v0, v7
	v_mov_b32_e32 v6, v10
	s_waitcnt vmcnt(0)
	v_dual_cndmask_b32 v12, 0, v5 :: v_dual_mul_f32 v5, v4, v8
	s_delay_alu instid0(VALU_DEP_1) | instskip(NEXT) | instid1(VALU_DEP_2)
	v_dual_fmac_f32 v6, v11, v12 :: v_dual_add_nc_u32 v3, 0xfffff800, v3
	v_fmac_f32_e32 v5, v9, v12
	s_cbranch_scc0 .LBB21_3
	s_branch .LBB21_5
.LBB21_4:
	s_waitcnt lgkmcnt(0)
	v_mov_b32_e32 v6, s10
.LBB21_5:
	s_waitcnt vmcnt(0)
	s_delay_alu instid0(VALU_DEP_1) | instskip(NEXT) | instid1(VALU_DEP_1)
	v_div_scale_f32 v0, null, v6, v6, v5
	v_rcp_f32_e32 v3, v0
	s_waitcnt_depctr 0xfff
	v_fma_f32 v4, -v0, v3, 1.0
	s_delay_alu instid0(VALU_DEP_1) | instskip(SKIP_1) | instid1(VALU_DEP_1)
	v_fmac_f32_e32 v3, v4, v3
	v_div_scale_f32 v4, vcc_lo, v5, v6, v5
	v_mul_f32_e32 v7, v4, v3
	s_delay_alu instid0(VALU_DEP_1) | instskip(NEXT) | instid1(VALU_DEP_1)
	v_fma_f32 v8, -v0, v7, v4
	v_fmac_f32_e32 v7, v8, v3
	s_delay_alu instid0(VALU_DEP_1) | instskip(NEXT) | instid1(VALU_DEP_1)
	v_fma_f32 v0, -v0, v7, v4
	v_div_fmas_f32 v0, v0, v3, v7
	s_delay_alu instid0(VALU_DEP_1)
	v_div_fixup_f32 v0, v0, v6, v5
	global_store_b32 v[1:2], v0, off
.LBB21_6:
	s_nop 0
	s_sendmsg sendmsg(MSG_DEALLOC_VGPRS)
	s_endpgm
	.section	.rodata,"a",@progbits
	.p2align	6, 0x0
	.amdhsa_kernel _ZL33flash_attn_stream_k_fixup_uniformILi512ELi1ELi4EEvPfPK15HIP_vector_typeIfLj2EEiiiiiiS1_IjLj3EES5_S5_
		.amdhsa_group_segment_fixed_size 0
		.amdhsa_private_segment_fixed_size 0
		.amdhsa_kernarg_size 76
		.amdhsa_user_sgpr_count 13
		.amdhsa_user_sgpr_dispatch_ptr 0
		.amdhsa_user_sgpr_queue_ptr 0
		.amdhsa_user_sgpr_kernarg_segment_ptr 1
		.amdhsa_user_sgpr_dispatch_id 0
		.amdhsa_user_sgpr_private_segment_size 0
		.amdhsa_wavefront_size32 1
		.amdhsa_uses_dynamic_stack 0
		.amdhsa_enable_private_segment 0
		.amdhsa_system_sgpr_workgroup_id_x 1
		.amdhsa_system_sgpr_workgroup_id_y 1
		.amdhsa_system_sgpr_workgroup_id_z 1
		.amdhsa_system_sgpr_workgroup_info 0
		.amdhsa_system_vgpr_workitem_id 0
		.amdhsa_next_free_vgpr 15
		.amdhsa_next_free_sgpr 20
		.amdhsa_reserve_vcc 1
		.amdhsa_float_round_mode_32 0
		.amdhsa_float_round_mode_16_64 0
		.amdhsa_float_denorm_mode_32 3
		.amdhsa_float_denorm_mode_16_64 3
		.amdhsa_dx10_clamp 1
		.amdhsa_ieee_mode 1
		.amdhsa_fp16_overflow 0
		.amdhsa_workgroup_processor_mode 1
		.amdhsa_memory_ordered 1
		.amdhsa_forward_progress 0
		.amdhsa_shared_vgpr_count 0
		.amdhsa_exception_fp_ieee_invalid_op 0
		.amdhsa_exception_fp_denorm_src 0
		.amdhsa_exception_fp_ieee_div_zero 0
		.amdhsa_exception_fp_ieee_overflow 0
		.amdhsa_exception_fp_ieee_underflow 0
		.amdhsa_exception_fp_ieee_inexact 0
		.amdhsa_exception_int_div_zero 0
	.end_amdhsa_kernel
	.section	.text._ZL33flash_attn_stream_k_fixup_uniformILi512ELi1ELi4EEvPfPK15HIP_vector_typeIfLj2EEiiiiiiS1_IjLj3EES5_S5_,"axG",@progbits,_ZL33flash_attn_stream_k_fixup_uniformILi512ELi1ELi4EEvPfPK15HIP_vector_typeIfLj2EEiiiiiiS1_IjLj3EES5_S5_,comdat
.Lfunc_end21:
	.size	_ZL33flash_attn_stream_k_fixup_uniformILi512ELi1ELi4EEvPfPK15HIP_vector_typeIfLj2EEiiiiiiS1_IjLj3EES5_S5_, .Lfunc_end21-_ZL33flash_attn_stream_k_fixup_uniformILi512ELi1ELi4EEvPfPK15HIP_vector_typeIfLj2EEiiiiiiS1_IjLj3EES5_S5_
                                        ; -- End function
	.section	.AMDGPU.csdata,"",@progbits
; Kernel info:
; codeLenInByte = 968
; NumSgprs: 22
; NumVgprs: 15
; ScratchSize: 0
; MemoryBound: 0
; FloatMode: 240
; IeeeMode: 1
; LDSByteSize: 0 bytes/workgroup (compile time only)
; SGPRBlocks: 2
; VGPRBlocks: 1
; NumSGPRsForWavesPerEU: 22
; NumVGPRsForWavesPerEU: 15
; Occupancy: 16
; WaveLimiterHint : 0
; COMPUTE_PGM_RSRC2:SCRATCH_EN: 0
; COMPUTE_PGM_RSRC2:USER_SGPR: 13
; COMPUTE_PGM_RSRC2:TRAP_HANDLER: 0
; COMPUTE_PGM_RSRC2:TGID_X_EN: 1
; COMPUTE_PGM_RSRC2:TGID_Y_EN: 1
; COMPUTE_PGM_RSRC2:TGID_Z_EN: 1
; COMPUTE_PGM_RSRC2:TIDIG_COMP_CNT: 0
	.section	.text._ZL33flash_attn_stream_k_fixup_generalILi512ELi1ELi4EEvPfPK15HIP_vector_typeIfLj2EEiiiiS1_IjLj3EES5_S5_S5_,"axG",@progbits,_ZL33flash_attn_stream_k_fixup_generalILi512ELi1ELi4EEvPfPK15HIP_vector_typeIfLj2EEiiiiS1_IjLj3EES5_S5_S5_,comdat
	.globl	_ZL33flash_attn_stream_k_fixup_generalILi512ELi1ELi4EEvPfPK15HIP_vector_typeIfLj2EEiiiiS1_IjLj3EES5_S5_S5_ ; -- Begin function _ZL33flash_attn_stream_k_fixup_generalILi512ELi1ELi4EEvPfPK15HIP_vector_typeIfLj2EEiiiiS1_IjLj3EES5_S5_S5_
	.p2align	8
	.type	_ZL33flash_attn_stream_k_fixup_generalILi512ELi1ELi4EEvPfPK15HIP_vector_typeIfLj2EEiiiiS1_IjLj3EES5_S5_S5_,@function
_ZL33flash_attn_stream_k_fixup_generalILi512ELi1ELi4EEvPfPK15HIP_vector_typeIfLj2EEiiiiS1_IjLj3EES5_S5_S5_: ; @_ZL33flash_attn_stream_k_fixup_generalILi512ELi1ELi4EEvPfPK15HIP_vector_typeIfLj2EEiiiiS1_IjLj3EES5_S5_S5_
; %bb.0:
	s_clause 0x1
	s_load_b128 s[4:7], s[0:1], 0x10
	s_load_b32 s20, s[0:1], 0x50
	s_mov_b32 s2, 0
	s_waitcnt lgkmcnt(0)
	s_mul_hi_i32 s3, s7, s13
	s_mul_i32 s12, s7, s13
	s_cmp_lg_u64 s[2:3], 0
	s_cbranch_scc0 .LBB22_21
; %bb.1:
	v_cvt_f32_ubyte0_e32 v1, 0
	v_cvt_f32_u32_e32 v2, s20
	s_sub_u32 s10, 0, s20
	s_subb_u32 s11, 0, 0
	s_delay_alu instid0(VALU_DEP_1) | instskip(NEXT) | instid1(VALU_DEP_1)
	v_fmamk_f32 v1, v1, 0x4f800000, v2
	v_rcp_f32_e32 v1, v1
	s_waitcnt_depctr 0xfff
	v_mul_f32_e32 v1, 0x5f7ffffc, v1
	s_delay_alu instid0(VALU_DEP_1) | instskip(NEXT) | instid1(VALU_DEP_1)
	v_mul_f32_e32 v2, 0x2f800000, v1
	v_trunc_f32_e32 v2, v2
	s_delay_alu instid0(VALU_DEP_1) | instskip(SKIP_1) | instid1(VALU_DEP_2)
	v_fmamk_f32 v1, v2, 0xcf800000, v1
	v_cvt_u32_f32_e32 v2, v2
	v_cvt_u32_f32_e32 v1, v1
	s_delay_alu instid0(VALU_DEP_2) | instskip(NEXT) | instid1(VALU_DEP_2)
	v_readfirstlane_b32 s8, v2
	v_readfirstlane_b32 s9, v1
	s_delay_alu instid0(VALU_DEP_2) | instskip(NEXT) | instid1(VALU_DEP_1)
	s_mul_i32 s16, s10, s8
	s_mul_hi_u32 s18, s10, s9
	s_mul_i32 s17, s11, s9
	s_add_i32 s16, s18, s16
	s_mul_i32 s19, s10, s9
	s_add_i32 s16, s16, s17
	s_mul_hi_u32 s18, s9, s19
	s_mul_hi_u32 s21, s8, s19
	s_mul_i32 s17, s8, s19
	s_mul_hi_u32 s19, s9, s16
	s_mul_i32 s9, s9, s16
	s_mul_hi_u32 s22, s8, s16
	s_add_u32 s9, s18, s9
	s_addc_u32 s18, 0, s19
	s_add_u32 s9, s9, s17
	s_mul_i32 s16, s8, s16
	s_addc_u32 s9, s18, s21
	s_addc_u32 s17, s22, 0
	s_add_u32 s9, s9, s16
	s_addc_u32 s16, 0, s17
	v_add_co_u32 v1, s9, v1, s9
	s_delay_alu instid0(VALU_DEP_1) | instskip(SKIP_1) | instid1(VALU_DEP_1)
	s_cmp_lg_u32 s9, 0
	s_addc_u32 s8, s8, s16
	v_readfirstlane_b32 s9, v1
	s_mul_i32 s16, s10, s8
	s_delay_alu instid0(VALU_DEP_1)
	s_mul_hi_u32 s17, s10, s9
	s_mul_i32 s11, s11, s9
	s_add_i32 s16, s17, s16
	s_mul_i32 s10, s10, s9
	s_add_i32 s16, s16, s11
	s_mul_hi_u32 s17, s8, s10
	s_mul_i32 s18, s8, s10
	s_mul_hi_u32 s10, s9, s10
	s_mul_hi_u32 s19, s9, s16
	s_mul_i32 s9, s9, s16
	s_mul_hi_u32 s11, s8, s16
	s_add_u32 s9, s10, s9
	s_addc_u32 s10, 0, s19
	s_add_u32 s9, s9, s18
	s_mul_i32 s16, s8, s16
	s_addc_u32 s9, s10, s17
	s_addc_u32 s10, s11, 0
	s_add_u32 s9, s9, s16
	s_addc_u32 s10, 0, s10
	v_add_co_u32 v1, s9, v1, s9
	s_delay_alu instid0(VALU_DEP_1) | instskip(SKIP_2) | instid1(SALU_CYCLE_1)
	s_cmp_lg_u32 s9, 0
	s_addc_u32 s16, s8, s10
	s_ashr_i32 s8, s3, 31
	s_add_u32 s10, s12, s8
	s_addc_u32 s11, s3, s8
	v_readfirstlane_b32 s3, v1
	s_mov_b32 s9, s8
	s_delay_alu instid0(SALU_CYCLE_1) | instskip(NEXT) | instid1(SALU_CYCLE_1)
	s_xor_b64 s[10:11], s[10:11], s[8:9]
	s_mul_i32 s18, s10, s16
	s_delay_alu instid0(VALU_DEP_1)
	s_mul_hi_u32 s19, s10, s3
	s_mul_hi_u32 s17, s10, s16
	s_mul_hi_u32 s22, s11, s3
	s_mul_i32 s3, s11, s3
	s_add_u32 s18, s19, s18
	s_addc_u32 s17, 0, s17
	s_mul_hi_u32 s21, s11, s16
	s_add_u32 s3, s18, s3
	s_mul_i32 s16, s11, s16
	s_addc_u32 s3, s17, s22
	s_addc_u32 s17, s21, 0
	s_add_u32 s3, s3, s16
	s_addc_u32 s16, 0, s17
	s_mul_i32 s18, s20, s3
	s_add_u32 s17, s3, 1
	v_sub_co_u32 v1, s10, s10, s18
	s_mul_hi_u32 s18, s20, s3
	s_addc_u32 s19, s16, 0
	s_mul_i32 s21, s20, s16
	s_delay_alu instid0(VALU_DEP_1)
	v_sub_co_u32 v2, s22, v1, s20
	s_add_u32 s23, s3, 2
	s_addc_u32 s24, s16, 0
	s_add_i32 s18, s18, s21
	s_cmp_lg_u32 s10, 0
	v_readfirstlane_b32 s10, v2
	s_subb_u32 s11, s11, s18
	s_cmp_lg_u32 s22, 0
	s_subb_u32 s18, s11, 0
	s_delay_alu instid0(VALU_DEP_1) | instskip(SKIP_4) | instid1(SALU_CYCLE_1)
	s_cmp_ge_u32 s10, s20
	s_cselect_b32 s10, -1, 0
	s_cmp_eq_u32 s18, 0
	v_readfirstlane_b32 s18, v1
	s_cselect_b32 s10, s10, -1
	s_cmp_lg_u32 s10, 0
	s_cselect_b32 s10, s23, s17
	s_cselect_b32 s17, s24, s19
	s_cmp_ge_u32 s18, s20
	s_cselect_b32 s18, -1, 0
	s_cmp_eq_u32 s11, 0
	s_cselect_b32 s11, s18, -1
	s_delay_alu instid0(SALU_CYCLE_1) | instskip(SKIP_2) | instid1(SALU_CYCLE_1)
	s_cmp_lg_u32 s11, 0
	s_cselect_b32 s11, s17, s16
	s_cselect_b32 s10, s10, s3
	s_xor_b64 s[10:11], s[10:11], s[8:9]
	s_delay_alu instid0(SALU_CYCLE_1)
	s_sub_u32 s16, s10, s8
	s_load_b128 s[8:11], s[0:1], 0x44
	s_and_not1_b32 vcc_lo, exec_lo, s2
	s_cbranch_vccnz .LBB22_3
.LBB22_2:
	v_cvt_f32_u32_e32 v1, s20
	s_sub_i32 s3, 0, s20
	s_delay_alu instid0(VALU_DEP_1) | instskip(SKIP_2) | instid1(VALU_DEP_1)
	v_rcp_iflag_f32_e32 v1, v1
	s_waitcnt_depctr 0xfff
	v_mul_f32_e32 v1, 0x4f7ffffe, v1
	v_cvt_u32_f32_e32 v1, v1
	s_delay_alu instid0(VALU_DEP_1) | instskip(NEXT) | instid1(VALU_DEP_1)
	v_readfirstlane_b32 s2, v1
	s_mul_i32 s3, s3, s2
	s_delay_alu instid0(SALU_CYCLE_1) | instskip(NEXT) | instid1(SALU_CYCLE_1)
	s_mul_hi_u32 s3, s2, s3
	s_add_i32 s2, s2, s3
	s_delay_alu instid0(SALU_CYCLE_1) | instskip(NEXT) | instid1(SALU_CYCLE_1)
	s_mul_hi_u32 s2, s12, s2
	s_mul_i32 s3, s2, s20
	s_waitcnt lgkmcnt(0)
	s_add_i32 s11, s2, 1
	s_sub_i32 s3, s12, s3
	s_delay_alu instid0(SALU_CYCLE_1)
	s_sub_i32 s12, s3, s20
	s_cmp_ge_u32 s3, s20
	s_cselect_b32 s2, s11, s2
	s_cselect_b32 s3, s12, s3
	s_add_i32 s11, s2, 1
	s_cmp_ge_u32 s3, s20
	s_cselect_b32 s16, s11, s2
.LBB22_3:
	s_waitcnt lgkmcnt(0)
	s_add_i32 s11, s13, 1
	s_mov_b32 s2, 0
	s_mul_hi_i32 s3, s7, s11
	s_mul_i32 s11, s7, s11
	s_cmp_lg_u64 s[2:3], 0
	s_cbranch_scc0 .LBB22_22
; %bb.4:
	v_cvt_f32_ubyte0_e32 v1, 0
	v_cvt_f32_u32_e32 v2, s20
	s_sub_u32 s18, 0, s20
	s_subb_u32 s19, 0, 0
	s_delay_alu instid0(VALU_DEP_1) | instskip(NEXT) | instid1(VALU_DEP_1)
	v_fmamk_f32 v1, v1, 0x4f800000, v2
	v_rcp_f32_e32 v1, v1
	s_waitcnt_depctr 0xfff
	v_mul_f32_e32 v1, 0x5f7ffffc, v1
	s_delay_alu instid0(VALU_DEP_1) | instskip(NEXT) | instid1(VALU_DEP_1)
	v_mul_f32_e32 v2, 0x2f800000, v1
	v_trunc_f32_e32 v2, v2
	s_delay_alu instid0(VALU_DEP_1) | instskip(SKIP_1) | instid1(VALU_DEP_2)
	v_fmamk_f32 v1, v2, 0xcf800000, v1
	v_cvt_u32_f32_e32 v2, v2
	v_cvt_u32_f32_e32 v1, v1
	s_delay_alu instid0(VALU_DEP_2) | instskip(NEXT) | instid1(VALU_DEP_2)
	v_readfirstlane_b32 s12, v2
	v_readfirstlane_b32 s17, v1
	s_delay_alu instid0(VALU_DEP_2) | instskip(NEXT) | instid1(VALU_DEP_1)
	s_mul_i32 s21, s18, s12
	s_mul_hi_u32 s23, s18, s17
	s_mul_i32 s22, s19, s17
	s_add_i32 s21, s23, s21
	s_mul_i32 s24, s18, s17
	s_add_i32 s21, s21, s22
	s_mul_hi_u32 s23, s17, s24
	s_mul_hi_u32 s25, s12, s24
	s_mul_i32 s22, s12, s24
	s_mul_hi_u32 s24, s17, s21
	s_mul_i32 s17, s17, s21
	s_mul_hi_u32 s26, s12, s21
	s_add_u32 s17, s23, s17
	s_addc_u32 s23, 0, s24
	s_add_u32 s17, s17, s22
	s_mul_i32 s21, s12, s21
	s_addc_u32 s17, s23, s25
	s_addc_u32 s22, s26, 0
	s_add_u32 s17, s17, s21
	s_addc_u32 s21, 0, s22
	v_add_co_u32 v1, s17, v1, s17
	s_delay_alu instid0(VALU_DEP_1) | instskip(SKIP_1) | instid1(VALU_DEP_1)
	s_cmp_lg_u32 s17, 0
	s_addc_u32 s12, s12, s21
	v_readfirstlane_b32 s17, v1
	s_mul_i32 s21, s18, s12
	s_delay_alu instid0(VALU_DEP_1)
	s_mul_hi_u32 s22, s18, s17
	s_mul_i32 s19, s19, s17
	s_add_i32 s21, s22, s21
	s_mul_i32 s18, s18, s17
	s_add_i32 s21, s21, s19
	s_mul_hi_u32 s22, s12, s18
	s_mul_i32 s23, s12, s18
	s_mul_hi_u32 s18, s17, s18
	s_mul_hi_u32 s24, s17, s21
	s_mul_i32 s17, s17, s21
	s_mul_hi_u32 s19, s12, s21
	s_add_u32 s17, s18, s17
	s_addc_u32 s18, 0, s24
	s_add_u32 s17, s17, s23
	s_mul_i32 s21, s12, s21
	s_addc_u32 s17, s18, s22
	s_addc_u32 s18, s19, 0
	s_add_u32 s17, s17, s21
	s_addc_u32 s18, 0, s18
	v_add_co_u32 v1, s17, v1, s17
	s_delay_alu instid0(VALU_DEP_1) | instskip(SKIP_2) | instid1(SALU_CYCLE_1)
	s_cmp_lg_u32 s17, 0
	s_addc_u32 s12, s12, s18
	s_ashr_i32 s18, s3, 31
	s_add_u32 s22, s11, s18
	s_addc_u32 s23, s3, s18
	v_readfirstlane_b32 s3, v1
	s_mov_b32 s19, s18
	s_delay_alu instid0(SALU_CYCLE_1) | instskip(NEXT) | instid1(SALU_CYCLE_1)
	s_xor_b64 s[22:23], s[22:23], s[18:19]
	s_mul_i32 s21, s22, s12
	s_delay_alu instid0(VALU_DEP_1)
	s_mul_hi_u32 s24, s22, s3
	s_mul_hi_u32 s17, s22, s12
	;; [unrolled: 1-line block ×3, first 2 shown]
	s_mul_i32 s3, s23, s3
	s_add_u32 s21, s24, s21
	s_addc_u32 s17, 0, s17
	s_mul_hi_u32 s25, s23, s12
	s_add_u32 s3, s21, s3
	s_mul_i32 s12, s23, s12
	s_addc_u32 s3, s17, s26
	s_addc_u32 s17, s25, 0
	s_add_u32 s3, s3, s12
	s_addc_u32 s12, 0, s17
	s_mul_i32 s21, s20, s3
	s_add_u32 s17, s3, 1
	v_sub_co_u32 v1, s21, s22, s21
	s_mul_hi_u32 s22, s20, s3
	s_addc_u32 s24, s12, 0
	s_mul_i32 s25, s20, s12
	s_delay_alu instid0(VALU_DEP_1)
	v_sub_co_u32 v2, s26, v1, s20
	s_add_u32 s27, s3, 2
	s_addc_u32 s28, s12, 0
	s_add_i32 s22, s22, s25
	s_cmp_lg_u32 s21, 0
	v_readfirstlane_b32 s21, v2
	s_subb_u32 s22, s23, s22
	s_cmp_lg_u32 s26, 0
	s_subb_u32 s23, s22, 0
	s_delay_alu instid0(VALU_DEP_1) | instskip(SKIP_4) | instid1(SALU_CYCLE_1)
	s_cmp_ge_u32 s21, s20
	s_cselect_b32 s21, -1, 0
	s_cmp_eq_u32 s23, 0
	v_readfirstlane_b32 s23, v1
	s_cselect_b32 s21, s21, -1
	s_cmp_lg_u32 s21, 0
	s_cselect_b32 s17, s27, s17
	s_cselect_b32 s21, s28, s24
	s_cmp_ge_u32 s23, s20
	s_cselect_b32 s23, -1, 0
	s_cmp_eq_u32 s22, 0
	s_cselect_b32 s22, s23, -1
	s_delay_alu instid0(SALU_CYCLE_1) | instskip(SKIP_2) | instid1(SALU_CYCLE_1)
	s_cmp_lg_u32 s22, 0
	s_cselect_b32 s23, s21, s12
	s_cselect_b32 s22, s17, s3
	s_xor_b64 s[22:23], s[22:23], s[18:19]
	s_delay_alu instid0(SALU_CYCLE_1)
	s_sub_u32 s18, s22, s18
	s_and_not1_b32 vcc_lo, exec_lo, s2
	s_cbranch_vccnz .LBB22_6
.LBB22_5:
	v_cvt_f32_u32_e32 v1, s20
	s_sub_i32 s3, 0, s20
	s_delay_alu instid0(VALU_DEP_1) | instskip(SKIP_2) | instid1(VALU_DEP_1)
	v_rcp_iflag_f32_e32 v1, v1
	s_waitcnt_depctr 0xfff
	v_mul_f32_e32 v1, 0x4f7ffffe, v1
	v_cvt_u32_f32_e32 v1, v1
	s_delay_alu instid0(VALU_DEP_1) | instskip(NEXT) | instid1(VALU_DEP_1)
	v_readfirstlane_b32 s2, v1
	s_mul_i32 s3, s3, s2
	s_delay_alu instid0(SALU_CYCLE_1) | instskip(NEXT) | instid1(SALU_CYCLE_1)
	s_mul_hi_u32 s3, s2, s3
	s_add_i32 s2, s2, s3
	s_delay_alu instid0(SALU_CYCLE_1) | instskip(NEXT) | instid1(SALU_CYCLE_1)
	s_mul_hi_u32 s2, s11, s2
	s_mul_i32 s3, s2, s20
	s_delay_alu instid0(SALU_CYCLE_1)
	s_sub_i32 s3, s11, s3
	s_add_i32 s11, s2, 1
	s_sub_i32 s12, s3, s20
	s_cmp_ge_u32 s3, s20
	s_cselect_b32 s2, s11, s2
	s_cselect_b32 s3, s12, s3
	s_add_i32 s11, s2, 1
	s_cmp_ge_u32 s3, s20
	s_cselect_b32 s18, s11, s2
.LBB22_6:
	s_delay_alu instid0(SALU_CYCLE_1) | instskip(SKIP_3) | instid1(SALU_CYCLE_1)
	s_cmp_eq_u32 s16, s18
	s_mul_hi_u32 s2, s16, s8
	s_cselect_b32 s3, -1, 0
	s_add_i32 s2, s2, s16
	s_lshr_b32 s11, s2, s9
	s_delay_alu instid0(SALU_CYCLE_1) | instskip(NEXT) | instid1(SALU_CYCLE_1)
	s_mul_i32 s2, s11, s10
	s_cmp_eq_u32 s2, s16
	s_mul_hi_u32 s2, s18, s8
	s_cselect_b32 s12, -1, 0
	s_add_i32 s2, s2, s18
	s_delay_alu instid0(SALU_CYCLE_1) | instskip(NEXT) | instid1(SALU_CYCLE_1)
	s_lshr_b32 s2, s2, s9
	s_cmp_eq_u32 s11, s2
	s_mul_i32 s2, s2, s10
	s_cselect_b32 s17, -1, 0
	s_cmp_lg_u32 s2, s18
	s_cselect_b32 s2, -1, 0
	s_or_b32 s3, s3, s12
	s_and_b32 s2, s17, s2
	s_delay_alu instid0(SALU_CYCLE_1) | instskip(NEXT) | instid1(SALU_CYCLE_1)
	s_or_b32 s2, s3, s2
	s_and_b32 vcc_lo, exec_lo, s2
	s_cbranch_vccnz .LBB22_24
; %bb.7:
	s_load_b256 s[24:31], s[0:1], 0x20
	s_waitcnt lgkmcnt(0)
	s_mul_hi_u32 s2, s16, s24
	s_delay_alu instid0(SALU_CYCLE_1) | instskip(NEXT) | instid1(SALU_CYCLE_1)
	s_add_i32 s2, s2, s16
	s_lshr_b32 s17, s2, s25
	s_load_b32 s2, s[0:1], 0x40
	s_mul_i32 s3, s17, s26
	s_delay_alu instid0(SALU_CYCLE_1) | instskip(NEXT) | instid1(SALU_CYCLE_1)
	s_sub_i32 s3, s16, s3
	s_mul_hi_u32 s12, s3, s27
	s_delay_alu instid0(SALU_CYCLE_1) | instskip(NEXT) | instid1(SALU_CYCLE_1)
	s_add_i32 s12, s3, s12
	s_lshr_b32 s18, s12, s28
	s_delay_alu instid0(SALU_CYCLE_1) | instskip(NEXT) | instid1(SALU_CYCLE_1)
	s_mul_i32 s12, s18, s29
	s_sub_i32 s3, s3, s12
	s_delay_alu instid0(SALU_CYCLE_1) | instskip(NEXT) | instid1(SALU_CYCLE_1)
	s_mul_hi_u32 s12, s3, s30
	s_add_i32 s12, s3, s12
	s_delay_alu instid0(SALU_CYCLE_1)
	s_lshr_b32 s12, s12, s31
	s_waitcnt lgkmcnt(0)
	s_mul_i32 s2, s12, s2
	s_lshl_b32 s21, s12, 2
	s_sub_i32 s2, s3, s2
	s_mov_b32 s12, 0
	s_mul_hi_u32 s3, s2, s8
	s_delay_alu instid0(SALU_CYCLE_1) | instskip(NEXT) | instid1(SALU_CYCLE_1)
	s_add_i32 s2, s2, s3
	s_lshr_b32 s19, s2, s9
	s_delay_alu instid0(SALU_CYCLE_1) | instskip(NEXT) | instid1(SALU_CYCLE_1)
	s_add_i32 s19, s19, s14
	s_cmp_lt_i32 s19, s4
	s_cselect_b32 s2, -1, 0
	s_add_i32 s21, s21, s15
	s_delay_alu instid0(SALU_CYCLE_1) | instskip(SKIP_1) | instid1(SALU_CYCLE_1)
	s_cmp_lt_i32 s21, s6
	s_cselect_b32 s3, -1, 0
	s_and_b32 s2, s2, s3
	s_delay_alu instid0(SALU_CYCLE_1)
	s_and_not1_b32 vcc_lo, exec_lo, s2
	s_cbranch_vccnz .LBB22_24
; %bb.8:
	s_load_b128 s[0:3], s[0:1], 0x0
	s_lshl_b32 s22, s20, 4
	s_mov_b32 s23, s12
	s_mul_i32 s4, s17, s4
	s_lshl_b64 s[22:23], s[22:23], 2
	s_mul_i32 s18, s18, s6
	v_cvt_f32_ubyte0_e32 v4, 0
	v_cvt_f32_u32_e32 v5, s20
	s_waitcnt lgkmcnt(0)
	s_add_u32 s6, s2, s22
	s_addc_u32 s17, s3, s23
	s_add_i32 s4, s19, s4
	s_add_i32 s18, s21, s18
	s_mul_i32 s4, s4, s5
	s_delay_alu instid0(SALU_CYCLE_1) | instskip(NEXT) | instid1(SALU_CYCLE_1)
	s_add_i32 s18, s18, s4
	v_lshl_or_b32 v1, s18, 9, v0
	v_lshl_or_b32 v0, s15, 9, v0
	s_delay_alu instid0(VALU_DEP_2) | instskip(NEXT) | instid1(VALU_DEP_1)
	v_ashrrev_i32_e32 v2, 31, v1
	v_lshlrev_b64 v[1:2], 2, v[1:2]
	s_delay_alu instid0(VALU_DEP_1) | instskip(NEXT) | instid1(VALU_DEP_2)
	v_add_co_u32 v1, vcc_lo, s0, v1
	v_add_co_ci_u32_e32 v2, vcc_lo, s1, v2, vcc_lo
	s_add_i32 s0, s14, s13
	s_delay_alu instid0(SALU_CYCLE_1) | instskip(SKIP_2) | instid1(SALU_CYCLE_1)
	s_lshl_b32 s0, s0, 2
	global_load_b32 v3, v[1:2], off
	s_add_i32 s0, s0, s15
	s_ashr_i32 s1, s0, 31
	s_delay_alu instid0(SALU_CYCLE_1) | instskip(NEXT) | instid1(SALU_CYCLE_1)
	s_lshl_b64 s[0:1], s[0:1], 3
	s_add_u32 s0, s2, s0
	s_addc_u32 s1, s3, s1
	s_add_i32 s19, s13, -1
	s_load_b64 s[0:1], s[0:1], 0x0
	v_fmac_f32_e32 v5, 0x4f800000, v4
	s_sub_i32 s18, 0, s20
	s_waitcnt lgkmcnt(0)
	v_mov_b32_e32 v8, s0
	s_delay_alu instid0(VALU_DEP_2) | instskip(SKIP_2) | instid1(VALU_DEP_2)
	v_rcp_f32_e32 v4, v5
	v_cvt_f32_u32_e32 v5, s20
	v_mov_b32_e32 v7, s1
	v_rcp_iflag_f32_e32 v5, v5
	s_waitcnt_depctr 0xfff
	v_mul_f32_e32 v4, 0x5f7ffffc, v4
	s_delay_alu instid0(VALU_DEP_1) | instskip(SKIP_1) | instid1(VALU_DEP_2)
	v_mul_f32_e32 v6, 0x2f800000, v4
	v_mul_f32_e32 v9, 0x4f7ffffe, v5
	v_trunc_f32_e32 v6, v6
	s_delay_alu instid0(VALU_DEP_1) | instskip(SKIP_1) | instid1(VALU_DEP_4)
	v_fmac_f32_e32 v4, 0xcf800000, v6
	v_cvt_u32_f32_e32 v5, v6
	v_cvt_u32_f32_e32 v6, v9
	s_delay_alu instid0(VALU_DEP_3)
	v_cvt_u32_f32_e32 v4, v4
.LBB22_9:                               ; =>This Inner Loop Header: Depth=1
	s_mul_hi_i32 s13, s19, s7
	s_mul_i32 s4, s19, s7
	s_cmp_lg_u64 s[12:13], 0
	s_mov_b32 s5, -1
                                        ; implicit-def: $sgpr0_sgpr1
	s_cbranch_scc0 .LBB22_11
; %bb.10:                               ;   in Loop: Header=BB22_9 Depth=1
	v_readfirstlane_b32 s0, v4
	v_readfirstlane_b32 s1, v5
	s_sub_u32 s5, 0, s20
	s_subb_u32 s21, 0, 0
	s_delay_alu instid0(VALU_DEP_2) | instskip(NEXT) | instid1(VALU_DEP_1)
	s_mul_hi_u32 s22, s5, s0
	s_mul_i32 s23, s5, s1
	s_mul_i32 s24, s21, s0
	s_add_i32 s22, s22, s23
	s_mul_i32 s23, s5, s0
	s_add_i32 s22, s22, s24
	s_mul_hi_u32 s24, s0, s23
	s_mul_i32 s25, s0, s22
	s_mul_hi_u32 s0, s0, s22
	s_add_u32 s24, s24, s25
	s_mul_i32 s26, s1, s23
	s_addc_u32 s0, 0, s0
	s_mul_hi_u32 s23, s1, s23
	s_mul_hi_u32 s25, s1, s22
	s_add_u32 s24, s24, s26
	s_addc_u32 s0, s0, s23
	s_mul_i32 s22, s1, s22
	s_addc_u32 s23, s25, 0
	s_add_u32 s0, s0, s22
	s_addc_u32 s22, 0, s23
	v_add_co_u32 v9, s0, v4, s0
	s_delay_alu instid0(VALU_DEP_1) | instskip(SKIP_1) | instid1(VALU_DEP_1)
	s_cmp_lg_u32 s0, 0
	s_addc_u32 s1, s1, s22
	v_readfirstlane_b32 s0, v9
	s_mul_i32 s22, s5, s1
	s_delay_alu instid0(VALU_DEP_1)
	s_mul_hi_u32 s23, s5, s0
	s_mul_i32 s21, s21, s0
	s_add_i32 s22, s23, s22
	s_mul_i32 s5, s5, s0
	s_add_i32 s22, s22, s21
	s_mul_hi_u32 s21, s1, s5
	s_mul_i32 s24, s1, s5
	s_mul_i32 s25, s0, s22
	s_mul_hi_u32 s5, s0, s5
	s_mul_hi_u32 s0, s0, s22
	s_add_u32 s5, s5, s25
	s_addc_u32 s0, 0, s0
	s_mul_hi_u32 s23, s1, s22
	s_add_u32 s5, s5, s24
	s_addc_u32 s0, s0, s21
	s_mul_i32 s5, s1, s22
	s_addc_u32 s21, s23, 0
	s_add_u32 s0, s0, s5
	s_addc_u32 s5, 0, s21
	v_add_co_u32 v9, s0, v9, s0
	s_delay_alu instid0(VALU_DEP_1) | instskip(SKIP_2) | instid1(SALU_CYCLE_1)
	s_cmp_lg_u32 s0, 0
	s_addc_u32 s5, s1, s5
	s_ashr_i32 s0, s13, 31
	s_add_u32 s22, s4, s0
	s_addc_u32 s23, s13, s0
	v_readfirstlane_b32 s13, v9
	s_mov_b32 s1, s0
	s_delay_alu instid0(SALU_CYCLE_1) | instskip(NEXT) | instid1(SALU_CYCLE_1)
	s_xor_b64 s[22:23], s[22:23], s[0:1]
	s_mul_i32 s21, s22, s5
	s_delay_alu instid0(VALU_DEP_1)
	s_mul_hi_u32 s24, s22, s13
	s_mul_hi_u32 s25, s22, s5
	s_add_u32 s21, s24, s21
	s_mul_i32 s26, s23, s13
	s_addc_u32 s24, 0, s25
	s_mul_hi_u32 s13, s23, s13
	s_mul_hi_u32 s25, s23, s5
	s_add_u32 s21, s21, s26
	s_addc_u32 s13, s24, s13
	s_mul_i32 s5, s23, s5
	s_addc_u32 s21, s25, 0
	s_add_u32 s5, s13, s5
	s_addc_u32 s13, 0, s21
	s_mul_i32 s24, s20, s5
	s_add_u32 s21, s5, 1
	v_sub_co_u32 v9, s22, s22, s24
	s_addc_u32 s24, s13, 0
	s_mul_i32 s26, s20, s13
	s_mul_hi_u32 s28, s20, s5
	s_delay_alu instid0(VALU_DEP_1)
	v_sub_co_u32 v10, s27, v9, s20
	s_add_u32 s25, s5, 2
	s_addc_u32 s29, s13, 0
	s_add_i32 s28, s28, s26
	s_cmp_lg_u32 s22, 0
	v_readfirstlane_b32 s22, v10
	s_subb_u32 s23, s23, s28
	s_cmp_lg_u32 s27, 0
	s_subb_u32 s26, s23, 0
	s_delay_alu instid0(VALU_DEP_1) | instskip(SKIP_4) | instid1(SALU_CYCLE_1)
	s_cmp_ge_u32 s22, s20
	s_cselect_b32 s22, -1, 0
	s_cmp_eq_u32 s26, 0
	v_readfirstlane_b32 s26, v9
	s_cselect_b32 s22, s22, -1
	s_cmp_lg_u32 s22, 0
	s_cselect_b32 s21, s25, s21
	s_cselect_b32 s22, s29, s24
	s_cmp_ge_u32 s26, s20
	s_cselect_b32 s24, -1, 0
	s_cmp_eq_u32 s23, 0
	s_cselect_b32 s23, s24, -1
	s_delay_alu instid0(SALU_CYCLE_1) | instskip(SKIP_4) | instid1(SALU_CYCLE_1)
	s_cmp_lg_u32 s23, 0
	s_cselect_b32 s23, s22, s13
	s_cselect_b32 s22, s21, s5
	s_mov_b32 s5, 0
	s_xor_b64 s[22:23], s[22:23], s[0:1]
	s_sub_u32 s0, s22, s0
.LBB22_11:                              ;   in Loop: Header=BB22_9 Depth=1
	s_and_not1_b32 vcc_lo, exec_lo, s5
	s_cbranch_vccnz .LBB22_13
; %bb.12:                               ;   in Loop: Header=BB22_9 Depth=1
	v_readfirstlane_b32 s0, v6
	s_delay_alu instid0(VALU_DEP_1) | instskip(NEXT) | instid1(SALU_CYCLE_1)
	s_mul_i32 s1, s18, s0
	s_mul_hi_u32 s1, s0, s1
	s_delay_alu instid0(SALU_CYCLE_1) | instskip(NEXT) | instid1(SALU_CYCLE_1)
	s_add_i32 s0, s0, s1
	s_mul_hi_u32 s0, s4, s0
	s_delay_alu instid0(SALU_CYCLE_1) | instskip(NEXT) | instid1(SALU_CYCLE_1)
	s_mul_i32 s1, s0, s20
	s_sub_i32 s1, s4, s1
	s_add_i32 s4, s0, 1
	s_sub_i32 s5, s1, s20
	s_cmp_ge_u32 s1, s20
	s_cselect_b32 s0, s4, s0
	s_cselect_b32 s1, s5, s1
	s_add_i32 s4, s0, 1
	s_cmp_ge_u32 s1, s20
	s_cselect_b32 s0, s4, s0
.LBB22_13:                              ;   in Loop: Header=BB22_9 Depth=1
	s_delay_alu instid0(SALU_CYCLE_1)
	s_cmp_lg_u32 s16, s0
	s_cbranch_scc0 .LBB22_17
; %bb.14:                               ;   in Loop: Header=BB22_9 Depth=1
	s_add_i32 s22, s19, s14
	s_mov_b32 s5, s12
	s_add_i32 s1, s22, s20
	s_mov_b32 s21, s16
	s_lshl_b32 s1, s1, 2
	s_delay_alu instid0(SALU_CYCLE_1) | instskip(SKIP_2) | instid1(SALU_CYCLE_1)
	s_add_i32 s4, s1, s15
	s_mul_hi_u32 s1, s0, s8
	s_lshl_b64 s[4:5], s[4:5], 3
	s_add_u32 s4, s2, s4
	s_addc_u32 s5, s3, s5
	s_add_i32 s1, s1, s0
	s_delay_alu instid0(SALU_CYCLE_1) | instskip(NEXT) | instid1(SALU_CYCLE_1)
	s_lshr_b32 s1, s1, s9
	s_mul_i32 s13, s1, s10
	s_delay_alu instid0(SALU_CYCLE_1) | instskip(SKIP_3) | instid1(SALU_CYCLE_1)
	s_cmp_eq_u32 s13, s0
	s_cselect_b32 s13, -1, 0
	s_cmp_lt_u32 s1, s11
	s_cselect_b32 s1, -1, 0
	s_or_b32 s1, s1, s13
	s_mov_b32 s13, -1
	s_and_b32 vcc_lo, exec_lo, s1
	s_mov_b32 s1, s19
	s_cbranch_vccnz .LBB22_16
; %bb.15:                               ;   in Loop: Header=BB22_9 Depth=1
	s_add_i32 s1, s19, -1
	s_mov_b32 s13, 0
	s_mov_b32 s21, s0
.LBB22_16:                              ;   in Loop: Header=BB22_9 Depth=1
	v_lshl_add_u32 v9, s22, 11, v0
	s_load_b64 s[4:5], s[4:5], 0x0
	s_delay_alu instid0(VALU_DEP_1) | instskip(NEXT) | instid1(VALU_DEP_1)
	v_ashrrev_i32_e32 v10, 31, v9
	v_lshlrev_b64 v[9:10], 2, v[9:10]
	s_delay_alu instid0(VALU_DEP_1) | instskip(NEXT) | instid1(VALU_DEP_2)
	v_add_co_u32 v9, vcc_lo, s6, v9
	v_add_co_ci_u32_e32 v10, vcc_lo, s17, v10, vcc_lo
	s_waitcnt lgkmcnt(0)
	v_max_f32_e64 v11, s4, s4
	global_load_b32 v10, v[9:10], off
	v_max_f32_e32 v9, v8, v8
	s_delay_alu instid0(VALU_DEP_1) | instskip(NEXT) | instid1(VALU_DEP_1)
	v_max_f32_e32 v9, v9, v11
	v_sub_f32_e32 v12, v8, v9
	s_delay_alu instid0(VALU_DEP_1) | instskip(NEXT) | instid1(VALU_DEP_1)
	v_dual_mul_f32 v14, 0x3fb8aa3b, v12 :: v_dual_sub_f32 v11, s4, v9
	v_rndne_f32_e32 v18, v14
	s_delay_alu instid0(VALU_DEP_2) | instskip(SKIP_2) | instid1(VALU_DEP_4)
	v_mul_f32_e32 v13, 0x3fb8aa3b, v11
	v_fma_f32 v17, 0x3fb8aa3b, v12, -v14
	v_cmp_ngt_f32_e32 vcc_lo, 0xc2ce8ed0, v11
	v_sub_f32_e32 v14, v14, v18
	s_delay_alu instid0(VALU_DEP_4) | instskip(SKIP_2) | instid1(VALU_DEP_3)
	v_fma_f32 v15, 0x3fb8aa3b, v11, -v13
	v_rndne_f32_e32 v16, v13
	v_fmac_f32_e32 v17, 0x32a5705f, v12
	v_fmac_f32_e32 v15, 0x32a5705f, v11
	s_delay_alu instid0(VALU_DEP_2) | instskip(NEXT) | instid1(VALU_DEP_1)
	v_dual_sub_f32 v13, v13, v16 :: v_dual_add_f32 v14, v14, v17
	v_add_f32_e32 v13, v13, v15
	s_delay_alu instid0(VALU_DEP_2) | instskip(SKIP_2) | instid1(VALU_DEP_3)
	v_exp_f32_e32 v14, v14
	v_cvt_i32_f32_e32 v15, v16
	v_cvt_i32_f32_e32 v16, v18
	v_exp_f32_e32 v13, v13
	s_waitcnt_depctr 0xfff
	v_ldexp_f32 v14, v14, v16
	v_ldexp_f32 v13, v13, v15
	s_delay_alu instid0(VALU_DEP_1) | instskip(SKIP_1) | instid1(VALU_DEP_4)
	v_cndmask_b32_e32 v13, 0, v13, vcc_lo
	v_cmp_ngt_f32_e32 vcc_lo, 0xc2ce8ed0, v12
	v_cndmask_b32_e32 v14, 0, v14, vcc_lo
	v_cmp_nlt_f32_e32 vcc_lo, 0x42b17218, v11
	s_delay_alu instid0(VALU_DEP_4) | instskip(SKIP_1) | instid1(VALU_DEP_4)
	v_cndmask_b32_e32 v13, 0x7f800000, v13, vcc_lo
	v_cmp_nlt_f32_e32 vcc_lo, 0x42b17218, v12
	v_cndmask_b32_e32 v14, 0x7f800000, v14, vcc_lo
	v_cmp_le_f32_e32 vcc_lo, 0xc1a00000, v11
	s_delay_alu instid0(VALU_DEP_4) | instskip(SKIP_1) | instid1(VALU_DEP_4)
	v_cndmask_b32_e32 v11, 0, v13, vcc_lo
	v_cmp_le_f32_e32 vcc_lo, 0xc1a00000, v12
	v_cndmask_b32_e32 v12, 0, v14, vcc_lo
	s_waitcnt vmcnt(0)
	s_delay_alu instid0(VALU_DEP_3) | instskip(NEXT) | instid1(VALU_DEP_1)
	v_mul_f32_e32 v10, v10, v11
	v_dual_mul_f32 v11, s5, v11 :: v_dual_fmac_f32 v10, v3, v12
	s_delay_alu instid0(VALU_DEP_1)
	v_fmac_f32_e32 v11, v7, v12
	s_cbranch_execz .LBB22_18
	s_branch .LBB22_19
.LBB22_17:                              ;   in Loop: Header=BB22_9 Depth=1
                                        ; implicit-def: $sgpr13
                                        ; implicit-def: $vgpr10
                                        ; implicit-def: $vgpr9
                                        ; implicit-def: $vgpr11
                                        ; implicit-def: $sgpr1
                                        ; implicit-def: $sgpr21
.LBB22_18:                              ;   in Loop: Header=BB22_9 Depth=1
	v_mov_b32_e32 v11, v7
	s_waitcnt vmcnt(0)
	v_dual_mov_b32 v9, v8 :: v_dual_mov_b32 v10, v3
	s_add_i32 s1, s19, -1
	s_mov_b32 s13, 0
	s_mov_b32 s21, s16
.LBB22_19:                              ;   in Loop: Header=BB22_9 Depth=1
	s_and_not1_b32 vcc_lo, exec_lo, s13
	s_cbranch_vccz .LBB22_23
; %bb.20:                               ;   in Loop: Header=BB22_9 Depth=1
	v_dual_mov_b32 v7, v11 :: v_dual_mov_b32 v8, v9
	s_waitcnt vmcnt(0)
	v_mov_b32_e32 v3, v10
	s_mov_b32 s16, s21
	s_mov_b32 s19, s1
	s_branch .LBB22_9
.LBB22_21:
                                        ; implicit-def: $sgpr16_sgpr17
	s_load_b128 s[8:11], s[0:1], 0x44
	s_branch .LBB22_2
.LBB22_22:
                                        ; implicit-def: $sgpr18_sgpr19
	s_branch .LBB22_5
.LBB22_23:
	v_div_scale_f32 v0, null, v11, v11, v10
	s_waitcnt vmcnt(0)
	s_delay_alu instid0(VALU_DEP_1) | instskip(SKIP_2) | instid1(VALU_DEP_1)
	v_rcp_f32_e32 v3, v0
	s_waitcnt_depctr 0xfff
	v_fma_f32 v4, -v0, v3, 1.0
	v_fmac_f32_e32 v3, v4, v3
	v_div_scale_f32 v4, vcc_lo, v10, v11, v10
	s_delay_alu instid0(VALU_DEP_1) | instskip(NEXT) | instid1(VALU_DEP_1)
	v_mul_f32_e32 v5, v4, v3
	v_fma_f32 v6, -v0, v5, v4
	s_delay_alu instid0(VALU_DEP_1) | instskip(NEXT) | instid1(VALU_DEP_1)
	v_fmac_f32_e32 v5, v6, v3
	v_fma_f32 v0, -v0, v5, v4
	s_delay_alu instid0(VALU_DEP_1) | instskip(NEXT) | instid1(VALU_DEP_1)
	v_div_fmas_f32 v0, v0, v3, v5
	v_div_fixup_f32 v0, v0, v11, v10
	global_store_b32 v[1:2], v0, off
.LBB22_24:
	s_nop 0
	s_sendmsg sendmsg(MSG_DEALLOC_VGPRS)
	s_endpgm
	.section	.rodata,"a",@progbits
	.p2align	6, 0x0
	.amdhsa_kernel _ZL33flash_attn_stream_k_fixup_generalILi512ELi1ELi4EEvPfPK15HIP_vector_typeIfLj2EEiiiiS1_IjLj3EES5_S5_S5_
		.amdhsa_group_segment_fixed_size 0
		.amdhsa_private_segment_fixed_size 0
		.amdhsa_kernarg_size 336
		.amdhsa_user_sgpr_count 13
		.amdhsa_user_sgpr_dispatch_ptr 0
		.amdhsa_user_sgpr_queue_ptr 0
		.amdhsa_user_sgpr_kernarg_segment_ptr 1
		.amdhsa_user_sgpr_dispatch_id 0
		.amdhsa_user_sgpr_private_segment_size 0
		.amdhsa_wavefront_size32 1
		.amdhsa_uses_dynamic_stack 0
		.amdhsa_enable_private_segment 0
		.amdhsa_system_sgpr_workgroup_id_x 1
		.amdhsa_system_sgpr_workgroup_id_y 1
		.amdhsa_system_sgpr_workgroup_id_z 1
		.amdhsa_system_sgpr_workgroup_info 0
		.amdhsa_system_vgpr_workitem_id 0
		.amdhsa_next_free_vgpr 19
		.amdhsa_next_free_sgpr 32
		.amdhsa_reserve_vcc 1
		.amdhsa_float_round_mode_32 0
		.amdhsa_float_round_mode_16_64 0
		.amdhsa_float_denorm_mode_32 3
		.amdhsa_float_denorm_mode_16_64 3
		.amdhsa_dx10_clamp 1
		.amdhsa_ieee_mode 1
		.amdhsa_fp16_overflow 0
		.amdhsa_workgroup_processor_mode 1
		.amdhsa_memory_ordered 1
		.amdhsa_forward_progress 0
		.amdhsa_shared_vgpr_count 0
		.amdhsa_exception_fp_ieee_invalid_op 0
		.amdhsa_exception_fp_denorm_src 0
		.amdhsa_exception_fp_ieee_div_zero 0
		.amdhsa_exception_fp_ieee_overflow 0
		.amdhsa_exception_fp_ieee_underflow 0
		.amdhsa_exception_fp_ieee_inexact 0
		.amdhsa_exception_int_div_zero 0
	.end_amdhsa_kernel
	.section	.text._ZL33flash_attn_stream_k_fixup_generalILi512ELi1ELi4EEvPfPK15HIP_vector_typeIfLj2EEiiiiS1_IjLj3EES5_S5_S5_,"axG",@progbits,_ZL33flash_attn_stream_k_fixup_generalILi512ELi1ELi4EEvPfPK15HIP_vector_typeIfLj2EEiiiiS1_IjLj3EES5_S5_S5_,comdat
.Lfunc_end22:
	.size	_ZL33flash_attn_stream_k_fixup_generalILi512ELi1ELi4EEvPfPK15HIP_vector_typeIfLj2EEiiiiS1_IjLj3EES5_S5_S5_, .Lfunc_end22-_ZL33flash_attn_stream_k_fixup_generalILi512ELi1ELi4EEvPfPK15HIP_vector_typeIfLj2EEiiiiS1_IjLj3EES5_S5_S5_
                                        ; -- End function
	.section	.AMDGPU.csdata,"",@progbits
; Kernel info:
; codeLenInByte = 3200
; NumSgprs: 34
; NumVgprs: 19
; ScratchSize: 0
; MemoryBound: 0
; FloatMode: 240
; IeeeMode: 1
; LDSByteSize: 0 bytes/workgroup (compile time only)
; SGPRBlocks: 4
; VGPRBlocks: 2
; NumSGPRsForWavesPerEU: 34
; NumVGPRsForWavesPerEU: 19
; Occupancy: 16
; WaveLimiterHint : 0
; COMPUTE_PGM_RSRC2:SCRATCH_EN: 0
; COMPUTE_PGM_RSRC2:USER_SGPR: 13
; COMPUTE_PGM_RSRC2:TRAP_HANDLER: 0
; COMPUTE_PGM_RSRC2:TGID_X_EN: 1
; COMPUTE_PGM_RSRC2:TGID_Y_EN: 1
; COMPUTE_PGM_RSRC2:TGID_Z_EN: 1
; COMPUTE_PGM_RSRC2:TIDIG_COMP_CNT: 0
	.section	.text._ZL15flash_attn_tileILi576ELi512ELi2ELi16ELb1EEvPKcS1_S1_S1_S1_PKiPfP15HIP_vector_typeIfLj2EEffffjfiS5_IjLj3EEiiiiiiiiiiiliiliiiiil,"axG",@progbits,_ZL15flash_attn_tileILi576ELi512ELi2ELi16ELb1EEvPKcS1_S1_S1_S1_PKiPfP15HIP_vector_typeIfLj2EEffffjfiS5_IjLj3EEiiiiiiiiiiiliiliiiiil,comdat
	.globl	_ZL15flash_attn_tileILi576ELi512ELi2ELi16ELb1EEvPKcS1_S1_S1_S1_PKiPfP15HIP_vector_typeIfLj2EEffffjfiS5_IjLj3EEiiiiiiiiiiiliiliiiiil ; -- Begin function _ZL15flash_attn_tileILi576ELi512ELi2ELi16ELb1EEvPKcS1_S1_S1_S1_PKiPfP15HIP_vector_typeIfLj2EEffffjfiS5_IjLj3EEiiiiiiiiiiiliiliiiiil
	.p2align	8
	.type	_ZL15flash_attn_tileILi576ELi512ELi2ELi16ELb1EEvPKcS1_S1_S1_S1_PKiPfP15HIP_vector_typeIfLj2EEffffjfiS5_IjLj3EEiiiiiiiiiiiliiliiiiil,@function
_ZL15flash_attn_tileILi576ELi512ELi2ELi16ELb1EEvPKcS1_S1_S1_S1_PKiPfP15HIP_vector_typeIfLj2EEffffjfiS5_IjLj3EEiiiiiiiiiiiliiliiiiil: ; @_ZL15flash_attn_tileILi576ELi512ELi2ELi16ELb1EEvPKcS1_S1_S1_S1_PKiPfP15HIP_vector_typeIfLj2EEffffjfiS5_IjLj3EEiiiiiiiiiiiliiliiiiil
; %bb.0:
	s_clause 0x1
	s_load_b128 s[4:7], s[0:1], 0x5c
	s_load_b64 s[34:35], s[0:1], 0x80
	s_mov_b64 s[36:37], 0
	s_waitcnt lgkmcnt(0)
	s_ashr_i32 s2, s7, 31
	s_delay_alu instid0(SALU_CYCLE_1) | instskip(NEXT) | instid1(SALU_CYCLE_1)
	s_lshr_b32 s2, s2, 28
	s_add_i32 s2, s7, s2
	s_delay_alu instid0(SALU_CYCLE_1) | instskip(NEXT) | instid1(SALU_CYCLE_1)
	s_ashr_i32 s2, s2, 4
	v_cvt_f32_u32_e32 v1, s2
	s_sub_i32 s8, 0, s2
	s_delay_alu instid0(VALU_DEP_1) | instskip(SKIP_2) | instid1(VALU_DEP_1)
	v_rcp_iflag_f32_e32 v1, v1
	s_waitcnt_depctr 0xfff
	v_mul_f32_e32 v1, 0x4f7ffffe, v1
	v_cvt_u32_f32_e32 v1, v1
	s_delay_alu instid0(VALU_DEP_1) | instskip(NEXT) | instid1(VALU_DEP_1)
	v_readfirstlane_b32 s3, v1
	s_mul_i32 s8, s8, s3
	s_delay_alu instid0(SALU_CYCLE_1) | instskip(NEXT) | instid1(SALU_CYCLE_1)
	s_mul_hi_u32 s8, s3, s8
	s_add_i32 s3, s3, s8
	s_delay_alu instid0(SALU_CYCLE_1) | instskip(NEXT) | instid1(SALU_CYCLE_1)
	s_mul_hi_u32 s3, s15, s3
	s_mul_i32 s8, s3, s2
	s_add_i32 s9, s3, 1
	s_sub_i32 s8, s15, s8
	s_delay_alu instid0(SALU_CYCLE_1)
	s_sub_i32 s10, s8, s2
	s_cmp_ge_u32 s8, s2
	s_cselect_b32 s3, s9, s3
	s_cselect_b32 s8, s10, s8
	s_add_i32 s9, s3, 1
	s_cmp_ge_u32 s8, s2
	s_cselect_b32 s33, s9, s3
	s_abs_i32 s2, s35
	s_abs_i32 s11, s7
	v_cvt_f32_u32_e32 v1, s2
	s_sub_i32 s8, 0, s2
	s_lshl_b32 s9, s15, 4
	s_mul_i32 s10, s33, s7
	s_delay_alu instid0(VALU_DEP_1) | instskip(SKIP_3) | instid1(VALU_DEP_1)
	v_rcp_iflag_f32_e32 v1, v1
	s_sub_i32 s12, s9, s10
	s_waitcnt_depctr 0xfff
	v_mul_f32_e32 v1, 0x4f7ffffe, v1
	v_cvt_u32_f32_e32 v1, v1
	s_delay_alu instid0(VALU_DEP_1) | instskip(NEXT) | instid1(VALU_DEP_1)
	v_readfirstlane_b32 s3, v1
	s_mul_i32 s8, s8, s3
	s_delay_alu instid0(SALU_CYCLE_1) | instskip(NEXT) | instid1(SALU_CYCLE_1)
	s_mul_hi_u32 s8, s3, s8
	s_add_i32 s3, s3, s8
	s_xor_b32 s8, s7, s35
	s_mul_hi_u32 s3, s11, s3
	s_ashr_i32 s8, s8, 31
	s_mul_i32 s9, s3, s2
	s_add_i32 s10, s3, 1
	s_sub_i32 s9, s11, s9
	s_delay_alu instid0(SALU_CYCLE_1)
	s_sub_i32 s11, s9, s2
	s_cmp_ge_u32 s9, s2
	s_cselect_b32 s3, s10, s3
	s_cselect_b32 s9, s11, s9
	s_add_i32 s10, s3, 1
	s_cmp_ge_u32 s9, s2
	s_cselect_b32 s2, s10, s3
	s_delay_alu instid0(SALU_CYCLE_1) | instskip(NEXT) | instid1(SALU_CYCLE_1)
	s_xor_b32 s2, s2, s8
	s_sub_i32 s15, s2, s8
	s_clause 0x1
	s_load_b512 s[16:31], s[0:1], 0x0
	s_load_b64 s[2:3], s[0:1], 0xb8
	s_abs_i32 s35, s15
	s_delay_alu instid0(SALU_CYCLE_1) | instskip(NEXT) | instid1(VALU_DEP_1)
	v_cvt_f32_u32_e32 v1, s35
	v_rcp_iflag_f32_e32 v1, v1
	s_waitcnt_depctr 0xfff
	v_mul_f32_e32 v1, 0x4f7ffffe, v1
	s_waitcnt lgkmcnt(0)
	s_cmp_eq_u64 s[22:23], 0
	s_delay_alu instid0(VALU_DEP_1) | instskip(NEXT) | instid1(VALU_DEP_1)
	v_cvt_u32_f32_e32 v1, v1
	v_readfirstlane_b32 s38, v1
	s_cbranch_scc1 .LBB23_2
; %bb.1:
	s_abs_i32 s2, s2
	s_abs_i32 s10, s33
	v_cvt_f32_u32_e32 v1, s2
	s_sub_i32 s9, 0, s2
	s_delay_alu instid0(VALU_DEP_1) | instskip(SKIP_2) | instid1(VALU_DEP_1)
	v_rcp_iflag_f32_e32 v1, v1
	s_waitcnt_depctr 0xfff
	v_mul_f32_e32 v1, 0x4f7ffffe, v1
	v_cvt_u32_f32_e32 v1, v1
	s_delay_alu instid0(VALU_DEP_1) | instskip(NEXT) | instid1(VALU_DEP_1)
	v_readfirstlane_b32 s8, v1
	s_mul_i32 s9, s9, s8
	s_delay_alu instid0(SALU_CYCLE_1) | instskip(NEXT) | instid1(SALU_CYCLE_1)
	s_mul_hi_u32 s9, s8, s9
	s_add_i32 s11, s8, s9
	s_load_b64 s[8:9], s[0:1], 0xc8
	s_mul_hi_u32 s11, s10, s11
	s_delay_alu instid0(SALU_CYCLE_1) | instskip(NEXT) | instid1(SALU_CYCLE_1)
	s_mul_i32 s11, s11, s2
	s_sub_i32 s10, s10, s11
	s_ashr_i32 s11, s33, 31
	s_sub_i32 s36, s10, s2
	s_cmp_ge_u32 s10, s2
	s_cselect_b32 s10, s36, s10
	s_delay_alu instid0(SALU_CYCLE_1) | instskip(SKIP_2) | instid1(SALU_CYCLE_1)
	s_sub_i32 s36, s10, s2
	s_cmp_ge_u32 s10, s2
	s_cselect_b32 s2, s36, s10
	s_xor_b32 s2, s2, s11
	s_delay_alu instid0(SALU_CYCLE_1)
	s_sub_i32 s2, s2, s11
	s_waitcnt lgkmcnt(0)
	s_mul_i32 s9, s2, s9
	s_mul_hi_u32 s10, s2, s8
	s_ashr_i32 s11, s2, 31
	s_add_i32 s9, s10, s9
	s_mul_i32 s11, s11, s8
	s_mul_i32 s2, s2, s8
	s_add_i32 s9, s9, s11
	s_add_u32 s36, s22, s2
	s_addc_u32 s37, s23, s9
.LBB23_2:
	v_bfe_u32 v4, v0, 10, 10
	s_load_b128 s[8:11], s[0:1], 0x70
	v_and_b32_e32 v17, 0x3ff, v0
	s_delay_alu instid0(VALU_DEP_2) | instskip(SKIP_1) | instid1(VALU_DEP_2)
	v_lshrrev_b32_e32 v1, 2, v4
	v_lshlrev_b32_e32 v6, 2, v4
	v_lshl_add_u32 v16, s13, 1, v1
	s_delay_alu instid0(VALU_DEP_2) | instskip(NEXT) | instid1(VALU_DEP_2)
	v_and_b32_e32 v32, 12, v6
	v_mul_hi_u32 v1, s4, v16
	s_waitcnt lgkmcnt(0)
	s_mul_i32 s2, s33, s10
	s_mul_i32 s4, s12, s9
	s_delay_alu instid0(VALU_DEP_1) | instskip(NEXT) | instid1(VALU_DEP_1)
	v_add_nc_u32_e32 v1, v16, v1
	v_lshrrev_b32_e32 v1, s5, v1
	s_ashr_i32 s5, s2, 31
	s_add_u32 s2, s16, s2
	s_addc_u32 s5, s17, s5
	s_ashr_i32 s10, s4, 31
	v_mul_lo_u32 v1, v1, s6
	s_add_u32 s2, s2, s4
	s_addc_u32 s4, s5, s10
	s_ashr_i32 s10, s8, 31
	s_ashr_i32 s5, s9, 31
	v_alignbit_b32 v3, s10, s8, 2
	s_lshr_b32 s8, s10, 2
	s_delay_alu instid0(VALU_DEP_2) | instskip(NEXT) | instid1(VALU_DEP_1)
	v_sub_nc_u32_e32 v5, v16, v1
	v_mad_u64_u32 v[1:2], null, v3, v5, 0
	v_alignbit_b32 v3, s5, s9, 2
	s_delay_alu instid0(VALU_DEP_1) | instskip(NEXT) | instid1(VALU_DEP_3)
	v_mad_u64_u32 v[7:8], null, v3, v32, 0
	v_mad_u64_u32 v[9:10], null, s8, v5, v[2:3]
	s_lshr_b32 s8, s5, 2
	s_delay_alu instid0(VALU_DEP_1) | instskip(NEXT) | instid1(VALU_DEP_1)
	v_dual_mov_b32 v3, v8 :: v_dual_mov_b32 v2, v9
	v_mad_u64_u32 v[8:9], null, s8, v32, v[3:4]
	s_delay_alu instid0(VALU_DEP_2) | instskip(SKIP_2) | instid1(VALU_DEP_2)
	v_lshlrev_b64 v[0:1], 2, v[1:2]
	v_lshlrev_b32_e32 v2, 4, v17
	s_load_b32 s8, s[0:1], 0x40
	v_add_co_u32 v3, vcc_lo, s2, v0
	s_delay_alu instid0(VALU_DEP_3) | instskip(SKIP_1) | instid1(VALU_DEP_3)
	v_add_co_ci_u32_e32 v9, vcc_lo, s4, v1, vcc_lo
	v_lshlrev_b64 v[0:1], 2, v[7:8]
	v_add_co_u32 v2, vcc_lo, v3, v2
	s_delay_alu instid0(VALU_DEP_3) | instskip(SKIP_1) | instid1(VALU_DEP_3)
	v_add_co_ci_u32_e32 v3, vcc_lo, 0, v9, vcc_lo
	v_lshlrev_b32_e32 v7, 1, v17
	v_add_co_u32 v0, vcc_lo, v2, v0
	s_delay_alu instid0(VALU_DEP_3)
	v_add_co_ci_u32_e32 v1, vcc_lo, v3, v1, vcc_lo
	v_mul_u32_u24_e32 v8, 0x480, v4
	v_cmp_gt_u32_e32 vcc_lo, 16, v17
	s_clause 0x3
	global_load_b128 v[9:12], v[0:1], off
	global_load_b128 v[18:21], v[0:1], off offset:512
	global_load_b128 v[22:25], v[0:1], off offset:1024
	;; [unrolled: 1-line block ×3, first 2 shown]
	s_mov_b32 s4, s9
	v_add_lshl_u32 v8, v8, v7, 2
	s_lshr_b64 s[4:5], s[4:5], 2
	s_waitcnt vmcnt(3) lgkmcnt(0)
	v_fma_mixlo_f16 v13, v9, s8, 0
	v_fma_mixlo_f16 v14, v11, s8, 0
	s_waitcnt vmcnt(2)
	v_fma_mixlo_f16 v30, v18, s8, 0
	v_fma_mixlo_f16 v31, v20, s8, 0
	s_waitcnt vmcnt(1)
	;; [unrolled: 3-line block ×3, first 2 shown]
	v_fma_mixlo_f16 v35, v26, s8, 0
	v_fma_mixlo_f16 v36, v28, s8, 0
	v_fma_mixhi_f16 v14, v12, s8, 0
	v_fma_mixhi_f16 v13, v10, s8, 0
	;; [unrolled: 1-line block ×8, first 2 shown]
	ds_store_2addr_b64 v8, v[13:14], v[30:31] offset1:32
	ds_store_2addr_b64 v8, v[33:34], v[35:36] offset0:64 offset1:96
	s_and_saveexec_b32 s2, vcc_lo
	s_cbranch_execz .LBB23_4
; %bb.3:
	global_load_b128 v[9:12], v[0:1], off offset:2048
	s_waitcnt vmcnt(0)
	v_fma_mixlo_f16 v1, v11, s8, 0
	v_fma_mixlo_f16 v0, v9, s8, 0
	s_delay_alu instid0(VALU_DEP_2) | instskip(NEXT) | instid1(VALU_DEP_2)
	v_fma_mixhi_f16 v1, v12, s8, 0
	v_fma_mixhi_f16 v0, v10, s8, 0
	ds_store_b64 v8, v[0:1] offset:1024
.LBB23_4:
	s_or_b32 exec_lo, exec_lo, s2
	v_or_b32_e32 v26, 1, v6
	s_delay_alu instid0(VALU_DEP_1) | instskip(SKIP_1) | instid1(VALU_DEP_2)
	v_and_b32_e32 v10, 13, v26
	v_mul_u32_u24_e32 v26, 0x120, v26
	v_mad_u64_u32 v[0:1], null, s4, v10, 0
	s_delay_alu instid0(VALU_DEP_2) | instskip(NEXT) | instid1(VALU_DEP_2)
	v_add_lshl_u32 v7, v26, v7, 2
	v_mad_u64_u32 v[8:9], null, s5, v10, v[1:2]
	s_delay_alu instid0(VALU_DEP_1) | instskip(NEXT) | instid1(VALU_DEP_1)
	v_mov_b32_e32 v1, v8
	v_lshlrev_b64 v[0:1], 2, v[0:1]
	s_delay_alu instid0(VALU_DEP_1) | instskip(NEXT) | instid1(VALU_DEP_1)
	v_add_co_u32 v0, s2, v2, v0
	v_add_co_ci_u32_e64 v1, s2, v3, v1, s2
	s_clause 0x3
	global_load_b128 v[8:11], v[0:1], off
	global_load_b128 v[12:15], v[0:1], off offset:512
	global_load_b128 v[18:21], v[0:1], off offset:1024
	;; [unrolled: 1-line block ×3, first 2 shown]
	s_waitcnt vmcnt(3)
	v_fma_mixlo_f16 v26, v8, s8, 0
	v_fma_mixlo_f16 v27, v10, s8, 0
	s_waitcnt vmcnt(2)
	v_fma_mixlo_f16 v28, v12, s8, 0
	v_fma_mixlo_f16 v29, v14, s8, 0
	;; [unrolled: 3-line block ×4, first 2 shown]
	v_fma_mixhi_f16 v27, v11, s8, 0
	v_fma_mixhi_f16 v26, v9, s8, 0
	;; [unrolled: 1-line block ×8, first 2 shown]
	ds_store_2addr_b64 v7, v[26:27], v[28:29] offset1:32
	ds_store_2addr_b64 v7, v[30:31], v[33:34] offset0:64 offset1:96
	s_and_saveexec_b32 s2, vcc_lo
	s_cbranch_execz .LBB23_6
; %bb.5:
	global_load_b128 v[8:11], v[0:1], off offset:2048
	s_waitcnt vmcnt(0)
	v_fma_mixlo_f16 v1, v10, s8, 0
	v_fma_mixlo_f16 v0, v8, s8, 0
	s_delay_alu instid0(VALU_DEP_2) | instskip(NEXT) | instid1(VALU_DEP_2)
	v_fma_mixhi_f16 v1, v11, s8, 0
	v_fma_mixhi_f16 v0, v9, s8, 0
	ds_store_b64 v7, v[0:1] offset:1024
.LBB23_6:
	s_or_b32 exec_lo, exec_lo, s2
	v_or_b32_e32 v0, 2, v6
	s_delay_alu instid0(VALU_DEP_1) | instskip(NEXT) | instid1(VALU_DEP_1)
	v_and_b32_e32 v10, 14, v0
	v_mad_u64_u32 v[0:1], null, s4, v10, 0
	s_delay_alu instid0(VALU_DEP_1) | instskip(NEXT) | instid1(VALU_DEP_1)
	v_mad_u64_u32 v[8:9], null, s5, v10, v[1:2]
	v_mov_b32_e32 v1, v8
	s_delay_alu instid0(VALU_DEP_1) | instskip(NEXT) | instid1(VALU_DEP_1)
	v_lshlrev_b64 v[0:1], 2, v[0:1]
	v_add_co_u32 v0, s2, v2, v0
	s_delay_alu instid0(VALU_DEP_1)
	v_add_co_ci_u32_e64 v1, s2, v3, v1, s2
	s_clause 0x3
	global_load_b128 v[8:11], v[0:1], off
	global_load_b128 v[12:15], v[0:1], off offset:512
	global_load_b128 v[18:21], v[0:1], off offset:1024
	;; [unrolled: 1-line block ×3, first 2 shown]
	s_waitcnt vmcnt(3)
	v_fma_mixlo_f16 v26, v8, s8, 0
	v_fma_mixlo_f16 v27, v10, s8, 0
	s_waitcnt vmcnt(2)
	v_fma_mixlo_f16 v28, v12, s8, 0
	v_fma_mixlo_f16 v29, v14, s8, 0
	;; [unrolled: 3-line block ×4, first 2 shown]
	v_fma_mixhi_f16 v27, v11, s8, 0
	v_fma_mixhi_f16 v26, v9, s8, 0
	;; [unrolled: 1-line block ×8, first 2 shown]
	ds_store_2addr_b64 v7, v[26:27], v[28:29] offset0:144 offset1:176
	ds_store_2addr_b64 v7, v[30:31], v[33:34] offset0:208 offset1:240
	s_and_saveexec_b32 s2, vcc_lo
	s_cbranch_execz .LBB23_8
; %bb.7:
	global_load_b128 v[8:11], v[0:1], off offset:2048
	s_waitcnt vmcnt(0)
	v_fma_mixlo_f16 v1, v10, s8, 0
	v_fma_mixlo_f16 v0, v8, s8, 0
	s_delay_alu instid0(VALU_DEP_2) | instskip(NEXT) | instid1(VALU_DEP_2)
	v_fma_mixhi_f16 v1, v11, s8, 0
	v_fma_mixhi_f16 v0, v9, s8, 0
	ds_store_b64 v7, v[0:1] offset:2176
.LBB23_8:
	s_or_b32 exec_lo, exec_lo, s2
	v_or_b32_e32 v0, 3, v6
	v_add_nc_u32_e32 v33, 0x800, v7
	s_delay_alu instid0(VALU_DEP_2) | instskip(NEXT) | instid1(VALU_DEP_1)
	v_and_b32_e32 v10, 15, v0
	v_mad_u64_u32 v[0:1], null, s4, v10, 0
	s_delay_alu instid0(VALU_DEP_1) | instskip(NEXT) | instid1(VALU_DEP_1)
	v_mad_u64_u32 v[8:9], null, s5, v10, v[1:2]
	v_mov_b32_e32 v1, v8
	s_delay_alu instid0(VALU_DEP_1) | instskip(NEXT) | instid1(VALU_DEP_1)
	v_lshlrev_b64 v[0:1], 2, v[0:1]
	v_add_co_u32 v0, s2, v2, v0
	s_delay_alu instid0(VALU_DEP_1)
	v_add_co_ci_u32_e64 v1, s2, v3, v1, s2
	s_clause 0x3
	global_load_b128 v[8:11], v[0:1], off
	global_load_b128 v[12:15], v[0:1], off offset:512
	global_load_b128 v[18:21], v[0:1], off offset:1024
	;; [unrolled: 1-line block ×3, first 2 shown]
	s_waitcnt vmcnt(3)
	v_fma_mixlo_f16 v2, v8, s8, 0
	v_fma_mixlo_f16 v3, v10, s8, 0
	s_waitcnt vmcnt(2)
	v_fma_mixlo_f16 v26, v12, s8, 0
	v_fma_mixlo_f16 v27, v14, s8, 0
	;; [unrolled: 3-line block ×4, first 2 shown]
	v_fma_mixhi_f16 v3, v11, s8, 0
	v_fma_mixhi_f16 v2, v9, s8, 0
	;; [unrolled: 1-line block ×8, first 2 shown]
	ds_store_2addr_b64 v33, v[2:3], v[26:27] offset0:32 offset1:64
	ds_store_2addr_b64 v33, v[28:29], v[30:31] offset0:96 offset1:128
	s_and_saveexec_b32 s2, vcc_lo
	s_cbranch_execz .LBB23_10
; %bb.9:
	global_load_b128 v[0:3], v[0:1], off offset:2048
	s_waitcnt vmcnt(0)
	v_fma_mixlo_f16 v9, v2, s8, 0
	v_fma_mixlo_f16 v8, v0, s8, 0
	s_delay_alu instid0(VALU_DEP_2) | instskip(NEXT) | instid1(VALU_DEP_2)
	v_fma_mixhi_f16 v9, v3, s8, 0
	v_fma_mixhi_f16 v8, v1, s8, 0
	ds_store_b64 v7, v[8:9] offset:3328
.LBB23_10:
	s_or_b32 exec_lo, exec_lo, s2
	s_cmp_eq_u64 s[26:27], 0
	s_waitcnt lgkmcnt(0)
	s_barrier
	buffer_gl0_inv
	s_cbranch_scc1 .LBB23_12
; %bb.11:
	s_load_b32 s2, s[0:1], 0xd0
	s_mov_b32 s5, 0
	s_waitcnt lgkmcnt(0)
	s_mul_i32 s2, s2, s33
	s_delay_alu instid0(SALU_CYCLE_1) | instskip(NEXT) | instid1(SALU_CYCLE_1)
	s_add_i32 s4, s2, s13
	s_lshl_b64 s[4:5], s[4:5], 2
	s_delay_alu instid0(SALU_CYCLE_1)
	s_add_u32 s4, s26, s4
	s_addc_u32 s5, s27, s5
	s_load_b32 s34, s[4:5], 0x0
.LBB23_12:
	v_lshlrev_b32_e32 v31, 2, v17
	v_mbcnt_lo_u32_b32 v33, -1, 0
	s_lshl_b32 s13, s14, 7
	s_waitcnt lgkmcnt(0)
	s_cmp_lt_i32 s13, s34
	s_cbranch_scc1 .LBB23_14
; %bb.13:
	v_mbcnt_lo_u32_b32 v7, -1, 0
	v_mov_b32_e32 v34, 32
	s_mov_b32 s2, 0
	s_mov_b32 s4, 0xfeffffff
	s_delay_alu instid0(VALU_DEP_2)
	v_xor_b32_e32 v48, 16, v7
	v_xor_b32_e32 v15, 8, v7
	;; [unrolled: 1-line block ×5, first 2 shown]
	s_branch .LBB23_15
.LBB23_14:
	s_mov_b32 s2, -1
                                        ; implicit-def: $sgpr4
                                        ; implicit-def: $vgpr7
                                        ; implicit-def: $vgpr34
                                        ; implicit-def: $vgpr48
                                        ; implicit-def: $vgpr15
                                        ; implicit-def: $vgpr14
                                        ; implicit-def: $vgpr13
                                        ; implicit-def: $vgpr12
.LBB23_15:
	s_delay_alu instid0(SALU_CYCLE_1) | instskip(SKIP_2) | instid1(VALU_DEP_3)
	v_cndmask_b32_e64 v0, 0, 1, s2
	v_dual_mov_b32 v3, s4 :: v_dual_mov_b32 v84, s2
	v_dual_mov_b32 v68, s2 :: v_dual_mov_b32 v1, s4
	v_cmp_ne_u32_e32 vcc_lo, 1, v0
	v_dual_mov_b32 v2, s4 :: v_dual_mov_b32 v83, s2
	v_dual_mov_b32 v0, s4 :: v_dual_mov_b32 v81, s2
	;; [unrolled: 1-line block ×18, first 2 shown]
	s_cbranch_vccnz .LBB23_88
; %bb.16:
	s_clause 0x1
	s_load_b128 s[8:11], s[0:1], 0x98
	s_load_b64 s[4:5], s[0:1], 0x8c
	s_sub_i32 s2, 0, s35
	s_abs_i32 s16, s12
	s_mul_i32 s2, s2, s38
	s_ashr_i32 s22, s15, 31
	s_mul_hi_u32 s2, s38, s2
	s_ashr_i32 s27, s33, 31
	s_add_i32 s38, s38, s2
	s_ashr_i32 s17, s12, 31
	s_mul_hi_u32 s26, s16, s38
	s_ashr_i32 s23, s3, 1
	s_load_b64 s[2:3], s[0:1], 0xa8
	s_mul_i32 s38, s26, s35
	v_lshrrev_b32_e32 v0, 3, v17
	v_mov_b32_e32 v92, 0xfeffffff
	v_dual_mov_b32 v49, 0 :: v_dual_and_b32 v12, 28, v31
	v_dual_mov_b32 v52, 0 :: v_dual_lshlrev_b32 v11, 10, v4
	s_waitcnt lgkmcnt(0)
	s_mul_i32 s39, s27, s8
	s_ashr_i32 s15, s4, 2
	s_mul_i32 s4, s33, s9
	s_mul_hi_u32 s9, s33, s8
	s_mul_i32 s8, s33, s8
	s_add_i32 s4, s9, s4
	s_ashr_i32 s10, s10, 2
	s_add_i32 s4, s4, s39
	s_add_u32 s8, s18, s8
	s_addc_u32 s4, s19, s4
	s_sub_i32 s16, s16, s38
	s_xor_b32 s9, s17, s22
	s_add_i32 s17, s26, 1
	s_sub_i32 s18, s16, s35
	s_cmp_ge_u32 s16, s35
	v_add_nc_u32_e32 v1, v0, v6
	s_cselect_b32 s17, s17, s26
	s_cselect_b32 s16, s18, s16
	s_add_i32 s18, s17, 1
	s_cmp_ge_u32 s16, s35
	s_mul_i32 s3, s33, s3
	s_cselect_b32 s16, s18, s17
	s_mul_hi_u32 s17, s33, s2
	s_xor_b32 s16, s16, s9
	s_mul_i32 s27, s27, s2
	s_sub_i32 s16, s16, s9
	v_mul_lo_u32 v0, s15, v1
	s_mul_i32 s5, s16, s5
	s_mul_i32 s2, s33, s2
	s_ashr_i32 s9, s5, 31
	s_add_u32 s8, s8, s5
	s_addc_u32 s9, s4, s9
	s_add_i32 s3, s17, s3
	s_mul_i32 s16, s16, s11
	s_add_i32 s3, s3, s27
	s_add_u32 s2, s20, s2
	s_addc_u32 s3, s21, s3
	s_ashr_i32 s4, s16, 31
	s_add_u32 s11, s2, s16
	s_addc_u32 s16, s3, s4
	s_lshl_b32 s2, s15, 5
	v_mul_lo_u32 v10, s10, v4
	v_dual_mov_b32 v53, 0 :: v_dual_add_nc_u32 v2, s2, v0
	v_dual_mov_b32 v34, 32 :: v_dual_lshlrev_b32 v3, 2, v12
	s_load_b32 s17, s[0:1], 0x54
	s_delay_alu instid0(VALU_DEP_2) | instskip(NEXT) | instid1(VALU_DEP_2)
	v_dual_mov_b32 v51, 0 :: v_dual_add_nc_u32 v6, s2, v2
	v_mad_u32_u24 v9, 0x90, v1, v3
	v_mul_u32_u24_e32 v40, 0x1200, v4
	v_lshl_add_u32 v4, s10, 3, v10
	s_delay_alu instid0(VALU_DEP_4) | instskip(NEXT) | instid1(VALU_DEP_4)
	v_dual_mov_b32 v57, 0 :: v_dual_add_nc_u32 v8, s2, v6
	v_dual_mov_b32 v50, 0 :: v_dual_add_nc_u32 v35, 0x9000, v9
	v_ashrrev_i32_e32 v1, 31, v0
	v_dual_mov_b32 v55, 0 :: v_dual_add_nc_u32 v36, 0xa200, v9
	v_ashrrev_i32_e32 v3, 31, v2
	;; [unrolled: 2-line block ×4, first 2 shown]
	v_lshl_add_u32 v13, v31, 2, v11
	v_mad_u64_u32 v[18:19], null, v5, s23, v[17:18]
	v_dual_mov_b32 v56, 0 :: v_dual_add_nc_u32 v41, 0xd800, v11
	v_ashrrev_i32_e32 v11, 31, v10
	v_ashrrev_i32_e32 v5, 31, v4
	v_lshlrev_b64 v[19:20], 2, v[0:1]
	v_lshlrev_b64 v[21:22], 2, v[2:3]
	;; [unrolled: 1-line block ×6, first 2 shown]
	v_mul_u32_u24_e32 v39, 0x90, v17
	v_dual_mov_b32 v63, 0 :: v_dual_lshlrev_b32 v42, 3, v17
	v_dual_mov_b32 v58, 0 :: v_dual_add_nc_u32 v43, 0x9000, v13
	v_dual_mov_b32 v61, 0 :: v_dual_add_nc_u32 v44, 0x9200, v13
	;; [unrolled: 1-line block ×4, first 2 shown]
	v_dual_mov_b32 v64, 0 :: v_dual_lshlrev_b32 v47, 2, v12
	v_dual_mov_b32 v60, 0 :: v_dual_mov_b32 v71, 0
	v_dual_mov_b32 v66, 0 :: v_dual_mov_b32 v69, 0
	;; [unrolled: 1-line block ×11, first 2 shown]
	v_mov_b32_e32 v86, 0xfeffffff
	s_add_u32 s2, s0, 0xd0
	s_addc_u32 s3, s1, 0
	s_mov_b32 s5, 0
	s_mov_b32 s18, 0xbbbac73d
.LBB23_17:                              ; =>This Loop Header: Depth=1
                                        ;     Child Loop BB23_19 Depth 2
	s_mul_hi_i32 s21, s13, s15
	s_mul_i32 s20, s13, s15
	v_dual_mov_b32 v48, 0 :: v_dual_mov_b32 v99, 0
	s_lshl_b64 s[20:21], s[20:21], 2
	v_dual_mov_b32 v93, 0 :: v_dual_mov_b32 v100, 0
	v_dual_mov_b32 v83, 0 :: v_dual_mov_b32 v84, 0
	;; [unrolled: 1-line block ×7, first 2 shown]
	s_add_u32 s19, s8, s20
	s_addc_u32 s20, s9, s21
	s_mov_b32 s21, s5
	s_branch .LBB23_19
.LBB23_18:                              ;   in Loop: Header=BB23_19 Depth=2
	s_and_b32 vcc_lo, exec_lo, s4
	s_addk_i32 s21, 0xc0
	s_cbranch_vccnz .LBB23_21
.LBB23_19:                              ;   Parent Loop BB23_17 Depth=1
                                        ; =>  This Inner Loop Header: Depth=2
	s_lshr_b32 s4, s21, 1
	s_delay_alu instid0(SALU_CYCLE_1) | instskip(NEXT) | instid1(SALU_CYCLE_1)
	s_lshl_b64 s[22:23], s[4:5], 2
	s_add_u32 s4, s19, s22
	s_addc_u32 s22, s20, s23
	v_add_co_u32 v0, vcc_lo, s4, v19
	v_add_co_ci_u32_e32 v1, vcc_lo, s22, v20, vcc_lo
	v_add_co_u32 v2, vcc_lo, s4, v21
	v_add_co_ci_u32_e32 v3, vcc_lo, s22, v22, vcc_lo
	s_delay_alu instid0(VALU_DEP_4) | instskip(NEXT) | instid1(VALU_DEP_4)
	v_add_co_u32 v0, vcc_lo, v0, v47
	v_add_co_ci_u32_e32 v1, vcc_lo, 0, v1, vcc_lo
	s_delay_alu instid0(VALU_DEP_4) | instskip(NEXT) | instid1(VALU_DEP_4)
	v_add_co_u32 v4, vcc_lo, v2, v47
	v_add_co_ci_u32_e32 v5, vcc_lo, 0, v3, vcc_lo
	v_add_co_u32 v2, vcc_lo, s4, v23
	v_add_co_ci_u32_e32 v3, vcc_lo, s22, v24, vcc_lo
	;; [unrolled: 2-line block ×3, first 2 shown]
	s_delay_alu instid0(VALU_DEP_4) | instskip(NEXT) | instid1(VALU_DEP_4)
	v_add_co_u32 v8, vcc_lo, v2, v47
	v_add_co_ci_u32_e32 v9, vcc_lo, 0, v3, vcc_lo
	s_delay_alu instid0(VALU_DEP_4) | instskip(NEXT) | instid1(VALU_DEP_4)
	v_add_co_u32 v12, vcc_lo, v6, v47
	v_add_co_ci_u32_e32 v13, vcc_lo, 0, v7, vcc_lo
	s_clause 0x3
	global_load_b128 v[0:3], v[0:1], off
	global_load_b128 v[4:7], v[4:5], off
	global_load_b128 v[8:11], v[8:9], off
	global_load_b128 v[12:15], v[12:13], off
	s_lshl_b32 s22, s21, 1
	s_add_i32 s23, s21, 64
	v_add_nc_u32_e32 v104, s22, v40
	v_add3_u32 v121, s22, 16, v40
	v_add3_u32 v126, 0x70, s22, v40
	s_lshr_b32 s4, s23, 1
	s_waitcnt vmcnt(3)
	ds_store_b128 v35, v[0:3]
	s_waitcnt vmcnt(2)
	ds_store_b128 v36, v[4:7]
	;; [unrolled: 2-line block ×4, first 2 shown]
	s_waitcnt lgkmcnt(0)
	s_barrier
	buffer_gl0_inv
	ds_load_b128 v[0:3], v39 offset:36864
	ds_load_b128 v[4:7], v104
	ds_load_b128 v[8:11], v104 offset:1152
	ds_load_b128 v[12:15], v104 offset:2304
	ds_load_b128 v[105:108], v104 offset:3456
	ds_load_b128 v[109:112], v39 offset:41472
	ds_load_b128 v[113:116], v39 offset:46080
	ds_load_b128 v[117:120], v39 offset:50688
	s_lshl_b64 s[26:27], s[4:5], 2
	s_waitcnt lgkmcnt(6)
	;;#ASMSTART
	v_dot2_f32_f16 v48, v0, v4, v48
	;;#ASMEND
	;;#ASMSTART
	v_dot2_f32_f16 v48, v1, v5, v48
	;;#ASMEND
	;;#ASMSTART
	v_dot2_f32_f16 v48, v2, v6, v48
	;;#ASMEND
	;;#ASMSTART
	v_dot2_f32_f16 v48, v3, v7, v48
	;;#ASMEND
	s_waitcnt lgkmcnt(5)
	;;#ASMSTART
	v_dot2_f32_f16 v99, v0, v8, v99
	;;#ASMEND
	;;#ASMSTART
	v_dot2_f32_f16 v99, v1, v9, v99
	;;#ASMEND
	;;#ASMSTART
	v_dot2_f32_f16 v99, v2, v10, v99
	;;#ASMEND
	;;#ASMSTART
	v_dot2_f32_f16 v99, v3, v11, v99
	;;#ASMEND
	;; [unrolled: 13-line block ×5, first 2 shown]
	;;#ASMSTART
	v_dot2_f32_f16 v100, v109, v8, v100
	;;#ASMEND
	;;#ASMSTART
	v_dot2_f32_f16 v100, v110, v9, v100
	;;#ASMEND
	;;#ASMSTART
	v_dot2_f32_f16 v100, v111, v10, v100
	;;#ASMEND
	;;#ASMSTART
	v_dot2_f32_f16 v100, v112, v11, v100
	;;#ASMEND
	;;#ASMSTART
	v_dot2_f32_f16 v95, v109, v12, v95
	;;#ASMEND
	;;#ASMSTART
	v_dot2_f32_f16 v95, v110, v13, v95
	;;#ASMEND
	;;#ASMSTART
	v_dot2_f32_f16 v95, v111, v14, v95
	;;#ASMEND
	;;#ASMSTART
	v_dot2_f32_f16 v95, v112, v15, v95
	;;#ASMEND
	;;#ASMSTART
	v_dot2_f32_f16 v84, v109, v105, v84
	;;#ASMEND
	;;#ASMSTART
	v_dot2_f32_f16 v84, v110, v106, v84
	;;#ASMEND
	;;#ASMSTART
	v_dot2_f32_f16 v84, v111, v107, v84
	;;#ASMEND
	;;#ASMSTART
	v_dot2_f32_f16 v84, v112, v108, v84
	;;#ASMEND
	s_waitcnt lgkmcnt(1)
	;;#ASMSTART
	v_dot2_f32_f16 v102, v113, v4, v102
	;;#ASMEND
	;;#ASMSTART
	v_dot2_f32_f16 v102, v114, v5, v102
	;;#ASMEND
	;;#ASMSTART
	v_dot2_f32_f16 v102, v115, v6, v102
	;;#ASMEND
	;;#ASMSTART
	v_dot2_f32_f16 v102, v116, v7, v102
	;;#ASMEND
	;;#ASMSTART
	v_dot2_f32_f16 v97, v113, v8, v97
	;;#ASMEND
	;;#ASMSTART
	v_dot2_f32_f16 v97, v114, v9, v97
	;;#ASMEND
	;;#ASMSTART
	v_dot2_f32_f16 v97, v115, v10, v97
	;;#ASMEND
	;;#ASMSTART
	v_dot2_f32_f16 v97, v116, v11, v97
	;;#ASMEND
	;;#ASMSTART
	v_dot2_f32_f16 v96, v113, v12, v96
	;;#ASMEND
	;;#ASMSTART
	v_dot2_f32_f16 v96, v114, v13, v96
	;;#ASMEND
	;;#ASMSTART
	v_dot2_f32_f16 v96, v115, v14, v96
	;;#ASMEND
	;;#ASMSTART
	v_dot2_f32_f16 v96, v116, v15, v96
	;;#ASMEND
	;;#ASMSTART
	v_dot2_f32_f16 v82, v113, v105, v82
	;;#ASMEND
	;;#ASMSTART
	v_dot2_f32_f16 v82, v114, v106, v82
	;;#ASMEND
	;;#ASMSTART
	v_dot2_f32_f16 v82, v115, v107, v82
	;;#ASMEND
	;;#ASMSTART
	v_dot2_f32_f16 v82, v116, v108, v82
	;;#ASMEND
	s_waitcnt lgkmcnt(0)
	;;#ASMSTART
	v_dot2_f32_f16 v103, v117, v4, v103
	;;#ASMEND
	;;#ASMSTART
	v_dot2_f32_f16 v103, v118, v5, v103
	;;#ASMEND
	;; [unrolled: 3-line block ×16, first 2 shown]
	ds_load_b128 v[0:3], v39 offset:36880
	ds_load_b128 v[4:7], v104 offset:16
	;; [unrolled: 1-line block ×8, first 2 shown]
	s_waitcnt lgkmcnt(6)
	;;#ASMSTART
	v_dot2_f32_f16 v48, v0, v4, v48
	;;#ASMEND
	;;#ASMSTART
	v_dot2_f32_f16 v48, v1, v5, v48
	;;#ASMEND
	;;#ASMSTART
	v_dot2_f32_f16 v48, v2, v6, v48
	;;#ASMEND
	;;#ASMSTART
	v_dot2_f32_f16 v48, v3, v7, v48
	;;#ASMEND
	s_waitcnt lgkmcnt(5)
	;;#ASMSTART
	v_dot2_f32_f16 v99, v0, v8, v99
	;;#ASMEND
	;;#ASMSTART
	v_dot2_f32_f16 v99, v1, v9, v99
	;;#ASMEND
	;;#ASMSTART
	v_dot2_f32_f16 v99, v2, v10, v99
	;;#ASMEND
	;;#ASMSTART
	v_dot2_f32_f16 v99, v3, v11, v99
	;;#ASMEND
	;; [unrolled: 13-line block ×5, first 2 shown]
	;;#ASMSTART
	v_dot2_f32_f16 v100, v109, v8, v100
	;;#ASMEND
	;;#ASMSTART
	v_dot2_f32_f16 v100, v110, v9, v100
	;;#ASMEND
	;; [unrolled: 3-line block ×12, first 2 shown]
	s_waitcnt lgkmcnt(1)
	;;#ASMSTART
	v_dot2_f32_f16 v102, v113, v4, v102
	;;#ASMEND
	;;#ASMSTART
	v_dot2_f32_f16 v102, v114, v5, v102
	;;#ASMEND
	;; [unrolled: 3-line block ×16, first 2 shown]
	s_waitcnt lgkmcnt(0)
	;;#ASMSTART
	v_dot2_f32_f16 v103, v117, v4, v103
	;;#ASMEND
	;;#ASMSTART
	v_dot2_f32_f16 v103, v118, v5, v103
	;;#ASMEND
	;; [unrolled: 3-line block ×11, first 2 shown]
	v_add3_u32 v121, s22, 32, v40
	;;#ASMSTART
	v_dot2_f32_f16 v94, v120, v15, v94
	;;#ASMEND
	;;#ASMSTART
	v_dot2_f32_f16 v81, v117, v105, v81
	;;#ASMEND
	;; [unrolled: 3-line block ×5, first 2 shown]
	ds_load_b128 v[0:3], v39 offset:36896
	ds_load_b128 v[4:7], v104 offset:32
	;; [unrolled: 1-line block ×8, first 2 shown]
	s_waitcnt lgkmcnt(6)
	;;#ASMSTART
	v_dot2_f32_f16 v48, v0, v4, v48
	;;#ASMEND
	;;#ASMSTART
	v_dot2_f32_f16 v48, v1, v5, v48
	;;#ASMEND
	;;#ASMSTART
	v_dot2_f32_f16 v48, v2, v6, v48
	;;#ASMEND
	;;#ASMSTART
	v_dot2_f32_f16 v48, v3, v7, v48
	;;#ASMEND
	s_waitcnt lgkmcnt(5)
	;;#ASMSTART
	v_dot2_f32_f16 v99, v0, v8, v99
	;;#ASMEND
	;;#ASMSTART
	v_dot2_f32_f16 v99, v1, v9, v99
	;;#ASMEND
	;;#ASMSTART
	v_dot2_f32_f16 v99, v2, v10, v99
	;;#ASMEND
	;;#ASMSTART
	v_dot2_f32_f16 v99, v3, v11, v99
	;;#ASMEND
	;; [unrolled: 13-line block ×5, first 2 shown]
	;;#ASMSTART
	v_dot2_f32_f16 v100, v109, v8, v100
	;;#ASMEND
	;;#ASMSTART
	v_dot2_f32_f16 v100, v110, v9, v100
	;;#ASMEND
	;; [unrolled: 3-line block ×12, first 2 shown]
	s_waitcnt lgkmcnt(1)
	;;#ASMSTART
	v_dot2_f32_f16 v102, v113, v4, v102
	;;#ASMEND
	;;#ASMSTART
	v_dot2_f32_f16 v102, v114, v5, v102
	;;#ASMEND
	;;#ASMSTART
	v_dot2_f32_f16 v102, v115, v6, v102
	;;#ASMEND
	;;#ASMSTART
	v_dot2_f32_f16 v102, v116, v7, v102
	;;#ASMEND
	;;#ASMSTART
	v_dot2_f32_f16 v97, v113, v8, v97
	;;#ASMEND
	;;#ASMSTART
	v_dot2_f32_f16 v97, v114, v9, v97
	;;#ASMEND
	;;#ASMSTART
	v_dot2_f32_f16 v97, v115, v10, v97
	;;#ASMEND
	;;#ASMSTART
	v_dot2_f32_f16 v97, v116, v11, v97
	;;#ASMEND
	;;#ASMSTART
	v_dot2_f32_f16 v96, v113, v12, v96
	;;#ASMEND
	;;#ASMSTART
	v_dot2_f32_f16 v96, v114, v13, v96
	;;#ASMEND
	;;#ASMSTART
	v_dot2_f32_f16 v96, v115, v14, v96
	;;#ASMEND
	;;#ASMSTART
	v_dot2_f32_f16 v96, v116, v15, v96
	;;#ASMEND
	;;#ASMSTART
	v_dot2_f32_f16 v82, v113, v105, v82
	;;#ASMEND
	;;#ASMSTART
	v_dot2_f32_f16 v82, v114, v106, v82
	;;#ASMEND
	;;#ASMSTART
	v_dot2_f32_f16 v82, v115, v107, v82
	;;#ASMEND
	;;#ASMSTART
	v_dot2_f32_f16 v82, v116, v108, v82
	;;#ASMEND
	s_waitcnt lgkmcnt(0)
	;;#ASMSTART
	v_dot2_f32_f16 v103, v117, v4, v103
	;;#ASMEND
	;;#ASMSTART
	v_dot2_f32_f16 v103, v118, v5, v103
	;;#ASMEND
	;; [unrolled: 3-line block ×11, first 2 shown]
	v_add3_u32 v121, s22, 48, v40
	;;#ASMSTART
	v_dot2_f32_f16 v94, v120, v15, v94
	;;#ASMEND
	;;#ASMSTART
	v_dot2_f32_f16 v81, v117, v105, v81
	;;#ASMEND
	;; [unrolled: 3-line block ×5, first 2 shown]
	ds_load_b128 v[0:3], v39 offset:36912
	ds_load_b128 v[4:7], v104 offset:48
	;; [unrolled: 1-line block ×8, first 2 shown]
	s_waitcnt lgkmcnt(6)
	;;#ASMSTART
	v_dot2_f32_f16 v48, v0, v4, v48
	;;#ASMEND
	;;#ASMSTART
	v_dot2_f32_f16 v48, v1, v5, v48
	;;#ASMEND
	;;#ASMSTART
	v_dot2_f32_f16 v48, v2, v6, v48
	;;#ASMEND
	;;#ASMSTART
	v_dot2_f32_f16 v48, v3, v7, v48
	;;#ASMEND
	s_waitcnt lgkmcnt(5)
	;;#ASMSTART
	v_dot2_f32_f16 v99, v0, v8, v99
	;;#ASMEND
	;;#ASMSTART
	v_dot2_f32_f16 v99, v1, v9, v99
	;;#ASMEND
	;;#ASMSTART
	v_dot2_f32_f16 v99, v2, v10, v99
	;;#ASMEND
	;;#ASMSTART
	v_dot2_f32_f16 v99, v3, v11, v99
	;;#ASMEND
	;; [unrolled: 13-line block ×5, first 2 shown]
	;;#ASMSTART
	v_dot2_f32_f16 v100, v109, v8, v100
	;;#ASMEND
	;;#ASMSTART
	v_dot2_f32_f16 v100, v110, v9, v100
	;;#ASMEND
	;; [unrolled: 3-line block ×12, first 2 shown]
	s_waitcnt lgkmcnt(1)
	;;#ASMSTART
	v_dot2_f32_f16 v102, v113, v4, v102
	;;#ASMEND
	;;#ASMSTART
	v_dot2_f32_f16 v102, v114, v5, v102
	;;#ASMEND
	;;#ASMSTART
	v_dot2_f32_f16 v102, v115, v6, v102
	;;#ASMEND
	;;#ASMSTART
	v_dot2_f32_f16 v102, v116, v7, v102
	;;#ASMEND
	;;#ASMSTART
	v_dot2_f32_f16 v97, v113, v8, v97
	;;#ASMEND
	;;#ASMSTART
	v_dot2_f32_f16 v97, v114, v9, v97
	;;#ASMEND
	;;#ASMSTART
	v_dot2_f32_f16 v97, v115, v10, v97
	;;#ASMEND
	;;#ASMSTART
	v_dot2_f32_f16 v97, v116, v11, v97
	;;#ASMEND
	;;#ASMSTART
	v_dot2_f32_f16 v96, v113, v12, v96
	;;#ASMEND
	;;#ASMSTART
	v_dot2_f32_f16 v96, v114, v13, v96
	;;#ASMEND
	;;#ASMSTART
	v_dot2_f32_f16 v96, v115, v14, v96
	;;#ASMEND
	;;#ASMSTART
	v_dot2_f32_f16 v96, v116, v15, v96
	;;#ASMEND
	;;#ASMSTART
	v_dot2_f32_f16 v82, v113, v105, v82
	;;#ASMEND
	;;#ASMSTART
	v_dot2_f32_f16 v82, v114, v106, v82
	;;#ASMEND
	;;#ASMSTART
	v_dot2_f32_f16 v82, v115, v107, v82
	;;#ASMEND
	;;#ASMSTART
	v_dot2_f32_f16 v82, v116, v108, v82
	;;#ASMEND
	s_waitcnt lgkmcnt(0)
	;;#ASMSTART
	v_dot2_f32_f16 v103, v117, v4, v103
	;;#ASMEND
	;;#ASMSTART
	v_dot2_f32_f16 v103, v118, v5, v103
	;;#ASMEND
	;; [unrolled: 3-line block ×11, first 2 shown]
	v_add3_u32 v121, s22, 64, v40
	;;#ASMSTART
	v_dot2_f32_f16 v94, v120, v15, v94
	;;#ASMEND
	;;#ASMSTART
	v_dot2_f32_f16 v81, v117, v105, v81
	;;#ASMEND
	;; [unrolled: 3-line block ×5, first 2 shown]
	ds_load_b128 v[0:3], v39 offset:36928
	ds_load_b128 v[4:7], v104 offset:64
	;; [unrolled: 1-line block ×8, first 2 shown]
	s_waitcnt lgkmcnt(6)
	;;#ASMSTART
	v_dot2_f32_f16 v48, v0, v4, v48
	;;#ASMEND
	;;#ASMSTART
	v_dot2_f32_f16 v48, v1, v5, v48
	;;#ASMEND
	;;#ASMSTART
	v_dot2_f32_f16 v48, v2, v6, v48
	;;#ASMEND
	;;#ASMSTART
	v_dot2_f32_f16 v48, v3, v7, v48
	;;#ASMEND
	s_waitcnt lgkmcnt(5)
	;;#ASMSTART
	v_dot2_f32_f16 v99, v0, v8, v99
	;;#ASMEND
	;;#ASMSTART
	v_dot2_f32_f16 v99, v1, v9, v99
	;;#ASMEND
	;;#ASMSTART
	v_dot2_f32_f16 v99, v2, v10, v99
	;;#ASMEND
	;;#ASMSTART
	v_dot2_f32_f16 v99, v3, v11, v99
	;;#ASMEND
	;; [unrolled: 13-line block ×5, first 2 shown]
	;;#ASMSTART
	v_dot2_f32_f16 v100, v110, v8, v100
	;;#ASMEND
	;;#ASMSTART
	v_dot2_f32_f16 v100, v111, v9, v100
	;;#ASMEND
	;; [unrolled: 3-line block ×12, first 2 shown]
	s_waitcnt lgkmcnt(1)
	;;#ASMSTART
	v_dot2_f32_f16 v102, v114, v4, v102
	;;#ASMEND
	;;#ASMSTART
	v_dot2_f32_f16 v102, v115, v5, v102
	;;#ASMEND
	;; [unrolled: 3-line block ×16, first 2 shown]
	s_waitcnt lgkmcnt(0)
	;;#ASMSTART
	v_dot2_f32_f16 v103, v118, v4, v103
	;;#ASMEND
	;;#ASMSTART
	v_dot2_f32_f16 v103, v119, v5, v103
	;;#ASMEND
	;; [unrolled: 3-line block ×11, first 2 shown]
	v_add3_u32 v105, 0x50, s22, v40
	;;#ASMSTART
	v_dot2_f32_f16 v94, v121, v15, v94
	;;#ASMEND
	;;#ASMSTART
	v_dot2_f32_f16 v81, v118, v106, v81
	;;#ASMEND
	;; [unrolled: 3-line block ×5, first 2 shown]
	ds_load_b128 v[12:15], v39 offset:36944
	ds_load_b128 v[8:11], v104 offset:80
	;; [unrolled: 1-line block ×8, first 2 shown]
	s_waitcnt lgkmcnt(6)
	;;#ASMSTART
	v_dot2_f32_f16 v48, v12, v8, v48
	;;#ASMEND
	;;#ASMSTART
	v_dot2_f32_f16 v48, v13, v9, v48
	;;#ASMEND
	;;#ASMSTART
	v_dot2_f32_f16 v48, v14, v10, v48
	;;#ASMEND
	;;#ASMSTART
	v_dot2_f32_f16 v48, v15, v11, v48
	;;#ASMEND
	s_waitcnt lgkmcnt(5)
	;;#ASMSTART
	v_dot2_f32_f16 v99, v12, v0, v99
	;;#ASMEND
	;;#ASMSTART
	v_dot2_f32_f16 v99, v13, v1, v99
	;;#ASMEND
	;;#ASMSTART
	v_dot2_f32_f16 v99, v14, v2, v99
	;;#ASMEND
	;;#ASMSTART
	v_dot2_f32_f16 v99, v15, v3, v99
	;;#ASMEND
	;; [unrolled: 13-line block ×5, first 2 shown]
	;;#ASMSTART
	v_dot2_f32_f16 v100, v109, v0, v100
	;;#ASMEND
	;;#ASMSTART
	v_dot2_f32_f16 v100, v110, v1, v100
	;;#ASMEND
	;; [unrolled: 3-line block ×12, first 2 shown]
	s_waitcnt lgkmcnt(1)
	;;#ASMSTART
	v_dot2_f32_f16 v102, v113, v8, v102
	;;#ASMEND
	;;#ASMSTART
	v_dot2_f32_f16 v102, v114, v9, v102
	;;#ASMEND
	;;#ASMSTART
	v_dot2_f32_f16 v102, v115, v10, v102
	;;#ASMEND
	;;#ASMSTART
	v_dot2_f32_f16 v102, v116, v11, v102
	;;#ASMEND
	;;#ASMSTART
	v_dot2_f32_f16 v97, v113, v0, v97
	;;#ASMEND
	;;#ASMSTART
	v_dot2_f32_f16 v97, v114, v1, v97
	;;#ASMEND
	;;#ASMSTART
	v_dot2_f32_f16 v97, v115, v2, v97
	;;#ASMEND
	;;#ASMSTART
	v_dot2_f32_f16 v97, v116, v3, v97
	;;#ASMEND
	;;#ASMSTART
	v_dot2_f32_f16 v96, v113, v4, v96
	;;#ASMEND
	;;#ASMSTART
	v_dot2_f32_f16 v96, v114, v5, v96
	;;#ASMEND
	;;#ASMSTART
	v_dot2_f32_f16 v96, v115, v6, v96
	;;#ASMEND
	;;#ASMSTART
	v_dot2_f32_f16 v96, v116, v7, v96
	;;#ASMEND
	;;#ASMSTART
	v_dot2_f32_f16 v82, v113, v105, v82
	;;#ASMEND
	;;#ASMSTART
	v_dot2_f32_f16 v82, v114, v106, v82
	;;#ASMEND
	;;#ASMSTART
	v_dot2_f32_f16 v82, v115, v107, v82
	;;#ASMEND
	;;#ASMSTART
	v_dot2_f32_f16 v82, v116, v108, v82
	;;#ASMEND
	s_waitcnt lgkmcnt(0)
	;;#ASMSTART
	v_dot2_f32_f16 v103, v117, v8, v103
	;;#ASMEND
	;;#ASMSTART
	v_dot2_f32_f16 v103, v118, v9, v103
	;;#ASMEND
	;; [unrolled: 3-line block ×16, first 2 shown]
	ds_load_b128 v[0:3], v39 offset:36960
	ds_load_b128 v[4:7], v104 offset:96
	v_add3_u32 v121, 0x60, s22, v40
	s_add_u32 s4, s19, s26
	s_addc_u32 s22, s20, s27
	v_add_co_u32 v122, vcc_lo, s4, v19
	ds_load_b128 v[8:11], v121 offset:1152
	ds_load_b128 v[12:15], v121 offset:2304
	;; [unrolled: 1-line block ×6, first 2 shown]
	s_waitcnt lgkmcnt(6)
	;;#ASMSTART
	v_dot2_f32_f16 v48, v0, v4, v48
	;;#ASMEND
	;;#ASMSTART
	v_dot2_f32_f16 v48, v1, v5, v48
	;;#ASMEND
	;;#ASMSTART
	v_dot2_f32_f16 v48, v2, v6, v48
	;;#ASMEND
	;;#ASMSTART
	v_dot2_f32_f16 v48, v3, v7, v48
	;;#ASMEND
	s_waitcnt lgkmcnt(5)
	;;#ASMSTART
	v_dot2_f32_f16 v99, v0, v8, v99
	;;#ASMEND
	;;#ASMSTART
	v_dot2_f32_f16 v99, v1, v9, v99
	;;#ASMEND
	;;#ASMSTART
	v_dot2_f32_f16 v99, v2, v10, v99
	;;#ASMEND
	;;#ASMSTART
	v_dot2_f32_f16 v99, v3, v11, v99
	;;#ASMEND
	;; [unrolled: 13-line block ×5, first 2 shown]
	;;#ASMSTART
	v_dot2_f32_f16 v100, v109, v8, v100
	;;#ASMEND
	;;#ASMSTART
	v_dot2_f32_f16 v100, v110, v9, v100
	;;#ASMEND
	;; [unrolled: 3-line block ×12, first 2 shown]
	s_waitcnt lgkmcnt(1)
	;;#ASMSTART
	v_dot2_f32_f16 v102, v113, v4, v102
	;;#ASMEND
	;;#ASMSTART
	v_dot2_f32_f16 v102, v114, v5, v102
	;;#ASMEND
	;; [unrolled: 3-line block ×16, first 2 shown]
	s_waitcnt lgkmcnt(0)
	;;#ASMSTART
	v_dot2_f32_f16 v103, v117, v4, v103
	;;#ASMEND
	;;#ASMSTART
	v_dot2_f32_f16 v103, v118, v5, v103
	;;#ASMEND
	;; [unrolled: 3-line block ×16, first 2 shown]
	ds_load_b128 v[0:3], v39 offset:36976
	ds_load_b128 v[4:7], v104 offset:112
	;; [unrolled: 1-line block ×8, first 2 shown]
	s_waitcnt lgkmcnt(6)
	;;#ASMSTART
	v_dot2_f32_f16 v48, v0, v4, v48
	;;#ASMEND
	;;#ASMSTART
	v_dot2_f32_f16 v48, v1, v5, v48
	;;#ASMEND
	;;#ASMSTART
	v_dot2_f32_f16 v48, v2, v6, v48
	;;#ASMEND
	;;#ASMSTART
	v_dot2_f32_f16 v48, v3, v7, v48
	;;#ASMEND
	s_waitcnt lgkmcnt(5)
	;;#ASMSTART
	v_dot2_f32_f16 v99, v0, v8, v99
	;;#ASMEND
	;;#ASMSTART
	v_dot2_f32_f16 v99, v1, v9, v99
	;;#ASMEND
	;;#ASMSTART
	v_dot2_f32_f16 v99, v2, v10, v99
	;;#ASMEND
	;;#ASMSTART
	v_dot2_f32_f16 v99, v3, v11, v99
	;;#ASMEND
	s_waitcnt lgkmcnt(4)
	;;#ASMSTART
	v_dot2_f32_f16 v93, v0, v12, v93
	;;#ASMEND
	;;#ASMSTART
	v_dot2_f32_f16 v93, v1, v13, v93
	;;#ASMEND
	;;#ASMSTART
	v_dot2_f32_f16 v93, v2, v14, v93
	;;#ASMEND
	;;#ASMSTART
	v_dot2_f32_f16 v93, v3, v15, v93
	;;#ASMEND
	s_waitcnt lgkmcnt(3)
	;;#ASMSTART
	v_dot2_f32_f16 v83, v0, v104, v83
	;;#ASMEND
	;;#ASMSTART
	v_dot2_f32_f16 v83, v1, v105, v83
	;;#ASMEND
	;;#ASMSTART
	v_dot2_f32_f16 v83, v2, v106, v83
	;;#ASMEND
	;;#ASMSTART
	v_dot2_f32_f16 v83, v3, v107, v83
	;;#ASMEND
	s_waitcnt lgkmcnt(2)
	;;#ASMSTART
	v_dot2_f32_f16 v101, v108, v4, v101
	;;#ASMEND
	;;#ASMSTART
	v_dot2_f32_f16 v101, v109, v5, v101
	;;#ASMEND
	;;#ASMSTART
	v_dot2_f32_f16 v101, v110, v6, v101
	;;#ASMEND
	;;#ASMSTART
	v_dot2_f32_f16 v101, v111, v7, v101
	;;#ASMEND
	;;#ASMSTART
	v_dot2_f32_f16 v100, v108, v8, v100
	;;#ASMEND
	;;#ASMSTART
	v_dot2_f32_f16 v100, v109, v9, v100
	;;#ASMEND
	;; [unrolled: 3-line block ×12, first 2 shown]
	s_waitcnt lgkmcnt(1)
	;;#ASMSTART
	v_dot2_f32_f16 v102, v112, v4, v102
	;;#ASMEND
	v_add_co_ci_u32_e32 v123, vcc_lo, s22, v20, vcc_lo
	;;#ASMSTART
	v_dot2_f32_f16 v102, v113, v5, v102
	;;#ASMEND
	v_add_co_u32 v124, vcc_lo, s4, v21
	;;#ASMSTART
	v_dot2_f32_f16 v102, v114, v6, v102
	;;#ASMEND
	;;#ASMSTART
	v_dot2_f32_f16 v102, v115, v7, v102
	;;#ASMEND
	;;#ASMSTART
	v_dot2_f32_f16 v97, v112, v8, v97
	;;#ASMEND
	v_add_co_ci_u32_e32 v125, vcc_lo, s22, v22, vcc_lo
	;;#ASMSTART
	v_dot2_f32_f16 v97, v113, v9, v97
	;;#ASMEND
	v_add_co_u32 v127, vcc_lo, s4, v23
	;;#ASMSTART
	v_dot2_f32_f16 v97, v114, v10, v97
	;;#ASMEND
	;;#ASMSTART
	v_dot2_f32_f16 v97, v115, v11, v97
	;;#ASMEND
	;; [unrolled: 14-line block ×4, first 2 shown]
	s_waitcnt lgkmcnt(0)
	;;#ASMSTART
	v_dot2_f32_f16 v103, v116, v4, v103
	;;#ASMEND
	v_add_co_ci_u32_e32 v121, vcc_lo, 0, v123, vcc_lo
	;;#ASMSTART
	v_dot2_f32_f16 v103, v117, v5, v103
	;;#ASMEND
	v_add_co_u32 v122, vcc_lo, v124, v47
	;;#ASMSTART
	v_dot2_f32_f16 v103, v118, v6, v103
	;;#ASMEND
	;;#ASMSTART
	v_dot2_f32_f16 v103, v119, v7, v103
	;;#ASMEND
	;;#ASMSTART
	v_dot2_f32_f16 v98, v116, v8, v98
	;;#ASMEND
	v_add_co_ci_u32_e32 v123, vcc_lo, 0, v125, vcc_lo
	;;#ASMSTART
	v_dot2_f32_f16 v98, v117, v9, v98
	;;#ASMEND
	v_add_co_u32 v124, vcc_lo, v127, v47
	;;#ASMSTART
	v_dot2_f32_f16 v98, v118, v10, v98
	;;#ASMEND
	;;#ASMSTART
	v_dot2_f32_f16 v98, v119, v11, v98
	;;#ASMEND
	;; [unrolled: 14-line block ×3, first 2 shown]
	;;#ASMSTART
	v_dot2_f32_f16 v81, v116, v104, v81
	;;#ASMEND
	v_add_co_ci_u32_e32 v127, vcc_lo, 0, v130, vcc_lo
	;;#ASMSTART
	v_dot2_f32_f16 v81, v117, v105, v81
	;;#ASMEND
	;;#ASMSTART
	v_dot2_f32_f16 v81, v118, v106, v81
	;;#ASMEND
	;; [unrolled: 3-line block ×3, first 2 shown]
	s_barrier
	buffer_gl0_inv
	s_clause 0x3
	global_load_b128 v[0:3], v[120:121], off
	global_load_b128 v[4:7], v[122:123], off
	;; [unrolled: 1-line block ×4, first 2 shown]
	s_lshl_b32 s22, s23, 1
	s_add_i32 s23, s21, 0x80
	v_add_nc_u32_e32 v104, s22, v40
	v_add3_u32 v121, s22, 16, v40
	v_add3_u32 v126, 0x70, s22, v40
	s_lshr_b32 s4, s23, 1
	s_waitcnt vmcnt(3)
	ds_store_b128 v35, v[0:3]
	s_waitcnt vmcnt(2)
	ds_store_b128 v36, v[4:7]
	s_waitcnt vmcnt(1)
	ds_store_b128 v37, v[8:11]
	s_waitcnt vmcnt(0)
	ds_store_b128 v38, v[12:15]
	s_waitcnt lgkmcnt(0)
	s_barrier
	buffer_gl0_inv
	ds_load_b128 v[0:3], v39 offset:36864
	ds_load_b128 v[4:7], v104
	ds_load_b128 v[8:11], v104 offset:1152
	ds_load_b128 v[12:15], v104 offset:2304
	;; [unrolled: 1-line block ×6, first 2 shown]
	s_waitcnt lgkmcnt(6)
	;;#ASMSTART
	v_dot2_f32_f16 v48, v0, v4, v48
	;;#ASMEND
	;;#ASMSTART
	v_dot2_f32_f16 v48, v1, v5, v48
	;;#ASMEND
	;;#ASMSTART
	v_dot2_f32_f16 v48, v2, v6, v48
	;;#ASMEND
	;;#ASMSTART
	v_dot2_f32_f16 v48, v3, v7, v48
	;;#ASMEND
	s_waitcnt lgkmcnt(5)
	;;#ASMSTART
	v_dot2_f32_f16 v99, v0, v8, v99
	;;#ASMEND
	;;#ASMSTART
	v_dot2_f32_f16 v99, v1, v9, v99
	;;#ASMEND
	;;#ASMSTART
	v_dot2_f32_f16 v99, v2, v10, v99
	;;#ASMEND
	;;#ASMSTART
	v_dot2_f32_f16 v99, v3, v11, v99
	;;#ASMEND
	;; [unrolled: 13-line block ×5, first 2 shown]
	;;#ASMSTART
	v_dot2_f32_f16 v100, v109, v8, v100
	;;#ASMEND
	;;#ASMSTART
	v_dot2_f32_f16 v100, v110, v9, v100
	;;#ASMEND
	;;#ASMSTART
	v_dot2_f32_f16 v100, v111, v10, v100
	;;#ASMEND
	;;#ASMSTART
	v_dot2_f32_f16 v100, v112, v11, v100
	;;#ASMEND
	;;#ASMSTART
	v_dot2_f32_f16 v95, v109, v12, v95
	;;#ASMEND
	;;#ASMSTART
	v_dot2_f32_f16 v95, v110, v13, v95
	;;#ASMEND
	;;#ASMSTART
	v_dot2_f32_f16 v95, v111, v14, v95
	;;#ASMEND
	;;#ASMSTART
	v_dot2_f32_f16 v95, v112, v15, v95
	;;#ASMEND
	;;#ASMSTART
	v_dot2_f32_f16 v84, v109, v105, v84
	;;#ASMEND
	;;#ASMSTART
	v_dot2_f32_f16 v84, v110, v106, v84
	;;#ASMEND
	;;#ASMSTART
	v_dot2_f32_f16 v84, v111, v107, v84
	;;#ASMEND
	;;#ASMSTART
	v_dot2_f32_f16 v84, v112, v108, v84
	;;#ASMEND
	s_waitcnt lgkmcnt(1)
	;;#ASMSTART
	v_dot2_f32_f16 v102, v113, v4, v102
	;;#ASMEND
	;;#ASMSTART
	v_dot2_f32_f16 v102, v114, v5, v102
	;;#ASMEND
	;; [unrolled: 3-line block ×16, first 2 shown]
	s_waitcnt lgkmcnt(0)
	;;#ASMSTART
	v_dot2_f32_f16 v103, v117, v4, v103
	;;#ASMEND
	;;#ASMSTART
	v_dot2_f32_f16 v103, v118, v5, v103
	;;#ASMEND
	;; [unrolled: 3-line block ×16, first 2 shown]
	ds_load_b128 v[0:3], v39 offset:36880
	ds_load_b128 v[4:7], v104 offset:16
	;; [unrolled: 1-line block ×8, first 2 shown]
	s_waitcnt lgkmcnt(6)
	;;#ASMSTART
	v_dot2_f32_f16 v48, v0, v4, v48
	;;#ASMEND
	;;#ASMSTART
	v_dot2_f32_f16 v48, v1, v5, v48
	;;#ASMEND
	;;#ASMSTART
	v_dot2_f32_f16 v48, v2, v6, v48
	;;#ASMEND
	;;#ASMSTART
	v_dot2_f32_f16 v48, v3, v7, v48
	;;#ASMEND
	s_waitcnt lgkmcnt(5)
	;;#ASMSTART
	v_dot2_f32_f16 v99, v0, v8, v99
	;;#ASMEND
	;;#ASMSTART
	v_dot2_f32_f16 v99, v1, v9, v99
	;;#ASMEND
	;;#ASMSTART
	v_dot2_f32_f16 v99, v2, v10, v99
	;;#ASMEND
	;;#ASMSTART
	v_dot2_f32_f16 v99, v3, v11, v99
	;;#ASMEND
	;; [unrolled: 13-line block ×5, first 2 shown]
	;;#ASMSTART
	v_dot2_f32_f16 v100, v109, v8, v100
	;;#ASMEND
	;;#ASMSTART
	v_dot2_f32_f16 v100, v110, v9, v100
	;;#ASMEND
	;; [unrolled: 3-line block ×12, first 2 shown]
	s_waitcnt lgkmcnt(1)
	;;#ASMSTART
	v_dot2_f32_f16 v102, v113, v4, v102
	;;#ASMEND
	;;#ASMSTART
	v_dot2_f32_f16 v102, v114, v5, v102
	;;#ASMEND
	;; [unrolled: 3-line block ×16, first 2 shown]
	s_waitcnt lgkmcnt(0)
	;;#ASMSTART
	v_dot2_f32_f16 v103, v117, v4, v103
	;;#ASMEND
	;;#ASMSTART
	v_dot2_f32_f16 v103, v118, v5, v103
	;;#ASMEND
	;; [unrolled: 3-line block ×11, first 2 shown]
	v_add3_u32 v121, s22, 32, v40
	;;#ASMSTART
	v_dot2_f32_f16 v94, v120, v15, v94
	;;#ASMEND
	;;#ASMSTART
	v_dot2_f32_f16 v81, v117, v105, v81
	;;#ASMEND
	;; [unrolled: 3-line block ×5, first 2 shown]
	ds_load_b128 v[0:3], v39 offset:36896
	ds_load_b128 v[4:7], v104 offset:32
	;; [unrolled: 1-line block ×8, first 2 shown]
	s_waitcnt lgkmcnt(6)
	;;#ASMSTART
	v_dot2_f32_f16 v48, v0, v4, v48
	;;#ASMEND
	;;#ASMSTART
	v_dot2_f32_f16 v48, v1, v5, v48
	;;#ASMEND
	;;#ASMSTART
	v_dot2_f32_f16 v48, v2, v6, v48
	;;#ASMEND
	;;#ASMSTART
	v_dot2_f32_f16 v48, v3, v7, v48
	;;#ASMEND
	s_waitcnt lgkmcnt(5)
	;;#ASMSTART
	v_dot2_f32_f16 v99, v0, v8, v99
	;;#ASMEND
	;;#ASMSTART
	v_dot2_f32_f16 v99, v1, v9, v99
	;;#ASMEND
	;;#ASMSTART
	v_dot2_f32_f16 v99, v2, v10, v99
	;;#ASMEND
	;;#ASMSTART
	v_dot2_f32_f16 v99, v3, v11, v99
	;;#ASMEND
	;; [unrolled: 13-line block ×5, first 2 shown]
	;;#ASMSTART
	v_dot2_f32_f16 v100, v109, v8, v100
	;;#ASMEND
	;;#ASMSTART
	v_dot2_f32_f16 v100, v110, v9, v100
	;;#ASMEND
	;;#ASMSTART
	v_dot2_f32_f16 v100, v111, v10, v100
	;;#ASMEND
	;;#ASMSTART
	v_dot2_f32_f16 v100, v112, v11, v100
	;;#ASMEND
	;;#ASMSTART
	v_dot2_f32_f16 v95, v109, v12, v95
	;;#ASMEND
	;;#ASMSTART
	v_dot2_f32_f16 v95, v110, v13, v95
	;;#ASMEND
	;;#ASMSTART
	v_dot2_f32_f16 v95, v111, v14, v95
	;;#ASMEND
	;;#ASMSTART
	v_dot2_f32_f16 v95, v112, v15, v95
	;;#ASMEND
	;;#ASMSTART
	v_dot2_f32_f16 v84, v109, v105, v84
	;;#ASMEND
	;;#ASMSTART
	v_dot2_f32_f16 v84, v110, v106, v84
	;;#ASMEND
	;;#ASMSTART
	v_dot2_f32_f16 v84, v111, v107, v84
	;;#ASMEND
	;;#ASMSTART
	v_dot2_f32_f16 v84, v112, v108, v84
	;;#ASMEND
	s_waitcnt lgkmcnt(1)
	;;#ASMSTART
	v_dot2_f32_f16 v102, v113, v4, v102
	;;#ASMEND
	;;#ASMSTART
	v_dot2_f32_f16 v102, v114, v5, v102
	;;#ASMEND
	;; [unrolled: 3-line block ×16, first 2 shown]
	s_waitcnt lgkmcnt(0)
	;;#ASMSTART
	v_dot2_f32_f16 v103, v117, v4, v103
	;;#ASMEND
	;;#ASMSTART
	v_dot2_f32_f16 v103, v118, v5, v103
	;;#ASMEND
	;;#ASMSTART
	v_dot2_f32_f16 v103, v119, v6, v103
	;;#ASMEND
	;;#ASMSTART
	v_dot2_f32_f16 v103, v120, v7, v103
	;;#ASMEND
	;;#ASMSTART
	v_dot2_f32_f16 v98, v117, v8, v98
	;;#ASMEND
	;;#ASMSTART
	v_dot2_f32_f16 v98, v118, v9, v98
	;;#ASMEND
	;;#ASMSTART
	v_dot2_f32_f16 v98, v119, v10, v98
	;;#ASMEND
	;;#ASMSTART
	v_dot2_f32_f16 v98, v120, v11, v98
	;;#ASMEND
	;;#ASMSTART
	v_dot2_f32_f16 v94, v117, v12, v94
	;;#ASMEND
	;;#ASMSTART
	v_dot2_f32_f16 v94, v118, v13, v94
	;;#ASMEND
	;;#ASMSTART
	v_dot2_f32_f16 v94, v119, v14, v94
	;;#ASMEND
	v_add3_u32 v121, s22, 48, v40
	;;#ASMSTART
	v_dot2_f32_f16 v94, v120, v15, v94
	;;#ASMEND
	;;#ASMSTART
	v_dot2_f32_f16 v81, v117, v105, v81
	;;#ASMEND
	;; [unrolled: 3-line block ×5, first 2 shown]
	ds_load_b128 v[0:3], v39 offset:36912
	ds_load_b128 v[4:7], v104 offset:48
	;; [unrolled: 1-line block ×8, first 2 shown]
	s_waitcnt lgkmcnt(6)
	;;#ASMSTART
	v_dot2_f32_f16 v48, v0, v4, v48
	;;#ASMEND
	;;#ASMSTART
	v_dot2_f32_f16 v48, v1, v5, v48
	;;#ASMEND
	;;#ASMSTART
	v_dot2_f32_f16 v48, v2, v6, v48
	;;#ASMEND
	;;#ASMSTART
	v_dot2_f32_f16 v48, v3, v7, v48
	;;#ASMEND
	s_waitcnt lgkmcnt(5)
	;;#ASMSTART
	v_dot2_f32_f16 v99, v0, v8, v99
	;;#ASMEND
	;;#ASMSTART
	v_dot2_f32_f16 v99, v1, v9, v99
	;;#ASMEND
	;;#ASMSTART
	v_dot2_f32_f16 v99, v2, v10, v99
	;;#ASMEND
	;;#ASMSTART
	v_dot2_f32_f16 v99, v3, v11, v99
	;;#ASMEND
	s_waitcnt lgkmcnt(4)
	;;#ASMSTART
	v_dot2_f32_f16 v93, v0, v12, v93
	;;#ASMEND
	;;#ASMSTART
	v_dot2_f32_f16 v93, v1, v13, v93
	;;#ASMEND
	;;#ASMSTART
	v_dot2_f32_f16 v93, v2, v14, v93
	;;#ASMEND
	;;#ASMSTART
	v_dot2_f32_f16 v93, v3, v15, v93
	;;#ASMEND
	s_waitcnt lgkmcnt(3)
	;;#ASMSTART
	v_dot2_f32_f16 v83, v0, v105, v83
	;;#ASMEND
	;;#ASMSTART
	v_dot2_f32_f16 v83, v1, v106, v83
	;;#ASMEND
	;;#ASMSTART
	v_dot2_f32_f16 v83, v2, v107, v83
	;;#ASMEND
	;;#ASMSTART
	v_dot2_f32_f16 v83, v3, v108, v83
	;;#ASMEND
	s_waitcnt lgkmcnt(2)
	;;#ASMSTART
	v_dot2_f32_f16 v101, v109, v4, v101
	;;#ASMEND
	;;#ASMSTART
	v_dot2_f32_f16 v101, v110, v5, v101
	;;#ASMEND
	;;#ASMSTART
	v_dot2_f32_f16 v101, v111, v6, v101
	;;#ASMEND
	;;#ASMSTART
	v_dot2_f32_f16 v101, v112, v7, v101
	;;#ASMEND
	;;#ASMSTART
	v_dot2_f32_f16 v100, v109, v8, v100
	;;#ASMEND
	;;#ASMSTART
	v_dot2_f32_f16 v100, v110, v9, v100
	;;#ASMEND
	;; [unrolled: 3-line block ×12, first 2 shown]
	s_waitcnt lgkmcnt(1)
	;;#ASMSTART
	v_dot2_f32_f16 v102, v113, v4, v102
	;;#ASMEND
	;;#ASMSTART
	v_dot2_f32_f16 v102, v114, v5, v102
	;;#ASMEND
	;; [unrolled: 3-line block ×16, first 2 shown]
	s_waitcnt lgkmcnt(0)
	;;#ASMSTART
	v_dot2_f32_f16 v103, v117, v4, v103
	;;#ASMEND
	;;#ASMSTART
	v_dot2_f32_f16 v103, v118, v5, v103
	;;#ASMEND
	;; [unrolled: 3-line block ×11, first 2 shown]
	v_add3_u32 v121, s22, 64, v40
	;;#ASMSTART
	v_dot2_f32_f16 v94, v120, v15, v94
	;;#ASMEND
	;;#ASMSTART
	v_dot2_f32_f16 v81, v117, v105, v81
	;;#ASMEND
	;; [unrolled: 3-line block ×5, first 2 shown]
	ds_load_b128 v[0:3], v39 offset:36928
	ds_load_b128 v[4:7], v104 offset:64
	;; [unrolled: 1-line block ×8, first 2 shown]
	s_waitcnt lgkmcnt(6)
	;;#ASMSTART
	v_dot2_f32_f16 v48, v0, v4, v48
	;;#ASMEND
	;;#ASMSTART
	v_dot2_f32_f16 v48, v1, v5, v48
	;;#ASMEND
	;;#ASMSTART
	v_dot2_f32_f16 v48, v2, v6, v48
	;;#ASMEND
	;;#ASMSTART
	v_dot2_f32_f16 v48, v3, v7, v48
	;;#ASMEND
	s_waitcnt lgkmcnt(5)
	;;#ASMSTART
	v_dot2_f32_f16 v99, v0, v8, v99
	;;#ASMEND
	;;#ASMSTART
	v_dot2_f32_f16 v99, v1, v9, v99
	;;#ASMEND
	;;#ASMSTART
	v_dot2_f32_f16 v99, v2, v10, v99
	;;#ASMEND
	;;#ASMSTART
	v_dot2_f32_f16 v99, v3, v11, v99
	;;#ASMEND
	;; [unrolled: 13-line block ×5, first 2 shown]
	;;#ASMSTART
	v_dot2_f32_f16 v100, v110, v8, v100
	;;#ASMEND
	;;#ASMSTART
	v_dot2_f32_f16 v100, v111, v9, v100
	;;#ASMEND
	;; [unrolled: 3-line block ×12, first 2 shown]
	s_waitcnt lgkmcnt(1)
	;;#ASMSTART
	v_dot2_f32_f16 v102, v114, v4, v102
	;;#ASMEND
	;;#ASMSTART
	v_dot2_f32_f16 v102, v115, v5, v102
	;;#ASMEND
	;; [unrolled: 3-line block ×16, first 2 shown]
	s_waitcnt lgkmcnt(0)
	;;#ASMSTART
	v_dot2_f32_f16 v103, v118, v4, v103
	;;#ASMEND
	;;#ASMSTART
	v_dot2_f32_f16 v103, v119, v5, v103
	;;#ASMEND
	;; [unrolled: 3-line block ×11, first 2 shown]
	v_add3_u32 v105, 0x50, s22, v40
	;;#ASMSTART
	v_dot2_f32_f16 v94, v121, v15, v94
	;;#ASMEND
	;;#ASMSTART
	v_dot2_f32_f16 v81, v118, v106, v81
	;;#ASMEND
	;; [unrolled: 3-line block ×5, first 2 shown]
	ds_load_b128 v[12:15], v39 offset:36944
	ds_load_b128 v[8:11], v104 offset:80
	ds_load_b128 v[0:3], v105 offset:1152
	ds_load_b128 v[4:7], v105 offset:2304
	ds_load_b128 v[105:108], v105 offset:3456
	ds_load_b128 v[109:112], v39 offset:41552
	ds_load_b128 v[113:116], v39 offset:46160
	ds_load_b128 v[117:120], v39 offset:50768
	s_waitcnt lgkmcnt(6)
	;;#ASMSTART
	v_dot2_f32_f16 v48, v12, v8, v48
	;;#ASMEND
	;;#ASMSTART
	v_dot2_f32_f16 v48, v13, v9, v48
	;;#ASMEND
	;;#ASMSTART
	v_dot2_f32_f16 v48, v14, v10, v48
	;;#ASMEND
	;;#ASMSTART
	v_dot2_f32_f16 v48, v15, v11, v48
	;;#ASMEND
	s_waitcnt lgkmcnt(5)
	;;#ASMSTART
	v_dot2_f32_f16 v99, v12, v0, v99
	;;#ASMEND
	;;#ASMSTART
	v_dot2_f32_f16 v99, v13, v1, v99
	;;#ASMEND
	;;#ASMSTART
	v_dot2_f32_f16 v99, v14, v2, v99
	;;#ASMEND
	;;#ASMSTART
	v_dot2_f32_f16 v99, v15, v3, v99
	;;#ASMEND
	;; [unrolled: 13-line block ×5, first 2 shown]
	;;#ASMSTART
	v_dot2_f32_f16 v100, v109, v0, v100
	;;#ASMEND
	;;#ASMSTART
	v_dot2_f32_f16 v100, v110, v1, v100
	;;#ASMEND
	;; [unrolled: 3-line block ×12, first 2 shown]
	s_waitcnt lgkmcnt(1)
	;;#ASMSTART
	v_dot2_f32_f16 v102, v113, v8, v102
	;;#ASMEND
	;;#ASMSTART
	v_dot2_f32_f16 v102, v114, v9, v102
	;;#ASMEND
	;; [unrolled: 3-line block ×16, first 2 shown]
	s_waitcnt lgkmcnt(0)
	;;#ASMSTART
	v_dot2_f32_f16 v103, v117, v8, v103
	;;#ASMEND
	;;#ASMSTART
	v_dot2_f32_f16 v103, v118, v9, v103
	;;#ASMEND
	;; [unrolled: 3-line block ×16, first 2 shown]
	ds_load_b128 v[0:3], v39 offset:36960
	ds_load_b128 v[4:7], v104 offset:96
	v_add3_u32 v121, 0x60, s22, v40
	s_lshl_b64 s[26:27], s[4:5], 2
	s_delay_alu instid0(SALU_CYCLE_1)
	s_add_u32 s4, s19, s26
	s_addc_u32 s22, s20, s27
	ds_load_b128 v[8:11], v121 offset:1152
	ds_load_b128 v[12:15], v121 offset:2304
	;; [unrolled: 1-line block ×6, first 2 shown]
	s_waitcnt lgkmcnt(6)
	;;#ASMSTART
	v_dot2_f32_f16 v48, v0, v4, v48
	;;#ASMEND
	;;#ASMSTART
	v_dot2_f32_f16 v48, v1, v5, v48
	;;#ASMEND
	;;#ASMSTART
	v_dot2_f32_f16 v48, v2, v6, v48
	;;#ASMEND
	;;#ASMSTART
	v_dot2_f32_f16 v48, v3, v7, v48
	;;#ASMEND
	s_waitcnt lgkmcnt(5)
	;;#ASMSTART
	v_dot2_f32_f16 v99, v0, v8, v99
	;;#ASMEND
	;;#ASMSTART
	v_dot2_f32_f16 v99, v1, v9, v99
	;;#ASMEND
	;;#ASMSTART
	v_dot2_f32_f16 v99, v2, v10, v99
	;;#ASMEND
	;;#ASMSTART
	v_dot2_f32_f16 v99, v3, v11, v99
	;;#ASMEND
	;; [unrolled: 13-line block ×5, first 2 shown]
	;;#ASMSTART
	v_dot2_f32_f16 v100, v109, v8, v100
	;;#ASMEND
	;;#ASMSTART
	v_dot2_f32_f16 v100, v110, v9, v100
	;;#ASMEND
	;; [unrolled: 3-line block ×12, first 2 shown]
	s_waitcnt lgkmcnt(1)
	;;#ASMSTART
	v_dot2_f32_f16 v102, v113, v4, v102
	;;#ASMEND
	;;#ASMSTART
	v_dot2_f32_f16 v102, v114, v5, v102
	;;#ASMEND
	;; [unrolled: 3-line block ×16, first 2 shown]
	s_waitcnt lgkmcnt(0)
	;;#ASMSTART
	v_dot2_f32_f16 v103, v117, v4, v103
	;;#ASMEND
	;;#ASMSTART
	v_dot2_f32_f16 v103, v118, v5, v103
	;;#ASMEND
	;; [unrolled: 3-line block ×16, first 2 shown]
	ds_load_b128 v[0:3], v39 offset:36976
	ds_load_b128 v[4:7], v104 offset:112
	;; [unrolled: 1-line block ×8, first 2 shown]
	s_waitcnt lgkmcnt(6)
	;;#ASMSTART
	v_dot2_f32_f16 v48, v0, v4, v48
	;;#ASMEND
	;;#ASMSTART
	v_dot2_f32_f16 v48, v1, v5, v48
	;;#ASMEND
	;;#ASMSTART
	v_dot2_f32_f16 v48, v2, v6, v48
	;;#ASMEND
	;;#ASMSTART
	v_dot2_f32_f16 v48, v3, v7, v48
	;;#ASMEND
	s_waitcnt lgkmcnt(5)
	;;#ASMSTART
	v_dot2_f32_f16 v99, v0, v8, v99
	;;#ASMEND
	;;#ASMSTART
	v_dot2_f32_f16 v99, v1, v9, v99
	;;#ASMEND
	;;#ASMSTART
	v_dot2_f32_f16 v99, v2, v10, v99
	;;#ASMEND
	;;#ASMSTART
	v_dot2_f32_f16 v99, v3, v11, v99
	;;#ASMEND
	;; [unrolled: 13-line block ×5, first 2 shown]
	;;#ASMSTART
	v_dot2_f32_f16 v100, v108, v8, v100
	;;#ASMEND
	;;#ASMSTART
	v_dot2_f32_f16 v100, v109, v9, v100
	;;#ASMEND
	;; [unrolled: 3-line block ×10, first 2 shown]
	v_add_co_u32 v122, vcc_lo, s4, v19
	;;#ASMSTART
	v_dot2_f32_f16 v84, v110, v106, v84
	;;#ASMEND
	;;#ASMSTART
	v_dot2_f32_f16 v84, v111, v107, v84
	;;#ASMEND
	s_waitcnt lgkmcnt(1)
	;;#ASMSTART
	v_dot2_f32_f16 v102, v112, v4, v102
	;;#ASMEND
	v_add_co_ci_u32_e32 v123, vcc_lo, s22, v20, vcc_lo
	;;#ASMSTART
	v_dot2_f32_f16 v102, v113, v5, v102
	;;#ASMEND
	v_add_co_u32 v124, vcc_lo, s4, v21
	;;#ASMSTART
	v_dot2_f32_f16 v102, v114, v6, v102
	;;#ASMEND
	;;#ASMSTART
	v_dot2_f32_f16 v102, v115, v7, v102
	;;#ASMEND
	;;#ASMSTART
	v_dot2_f32_f16 v97, v112, v8, v97
	;;#ASMEND
	v_add_co_ci_u32_e32 v125, vcc_lo, s22, v22, vcc_lo
	;;#ASMSTART
	v_dot2_f32_f16 v97, v113, v9, v97
	;;#ASMEND
	v_add_co_u32 v127, vcc_lo, s4, v23
	;;#ASMSTART
	v_dot2_f32_f16 v97, v114, v10, v97
	;;#ASMEND
	;;#ASMSTART
	v_dot2_f32_f16 v97, v115, v11, v97
	;;#ASMEND
	;; [unrolled: 14-line block ×4, first 2 shown]
	s_waitcnt lgkmcnt(0)
	;;#ASMSTART
	v_dot2_f32_f16 v103, v116, v4, v103
	;;#ASMEND
	v_add_co_ci_u32_e32 v121, vcc_lo, 0, v123, vcc_lo
	;;#ASMSTART
	v_dot2_f32_f16 v103, v117, v5, v103
	;;#ASMEND
	v_add_co_u32 v122, vcc_lo, v124, v47
	;;#ASMSTART
	v_dot2_f32_f16 v103, v118, v6, v103
	;;#ASMEND
	;;#ASMSTART
	v_dot2_f32_f16 v103, v119, v7, v103
	;;#ASMEND
	;;#ASMSTART
	v_dot2_f32_f16 v98, v116, v8, v98
	;;#ASMEND
	v_add_co_ci_u32_e32 v123, vcc_lo, 0, v125, vcc_lo
	;;#ASMSTART
	v_dot2_f32_f16 v98, v117, v9, v98
	;;#ASMEND
	v_add_co_u32 v124, vcc_lo, v127, v47
	;;#ASMSTART
	v_dot2_f32_f16 v98, v118, v10, v98
	;;#ASMEND
	;;#ASMSTART
	v_dot2_f32_f16 v98, v119, v11, v98
	;;#ASMEND
	;; [unrolled: 14-line block ×3, first 2 shown]
	;;#ASMSTART
	v_dot2_f32_f16 v81, v116, v104, v81
	;;#ASMEND
	v_add_co_ci_u32_e32 v127, vcc_lo, 0, v130, vcc_lo
	;;#ASMSTART
	v_dot2_f32_f16 v81, v117, v105, v81
	;;#ASMEND
	;;#ASMSTART
	v_dot2_f32_f16 v81, v118, v106, v81
	;;#ASMEND
	;; [unrolled: 3-line block ×3, first 2 shown]
	s_barrier
	buffer_gl0_inv
	s_clause 0x3
	global_load_b128 v[1:4], v[120:121], off
	global_load_b128 v[5:8], v[122:123], off
	;; [unrolled: 1-line block ×4, first 2 shown]
	s_lshl_b32 s4, s23, 1
	s_waitcnt vmcnt(3)
	ds_store_b128 v35, v[1:4]
	s_waitcnt vmcnt(2)
	ds_store_b128 v36, v[5:8]
	;; [unrolled: 2-line block ×4, first 2 shown]
	v_add_nc_u32_e32 v0, s4, v40
	s_waitcnt lgkmcnt(0)
	s_barrier
	buffer_gl0_inv
	ds_load_b128 v[1:4], v39 offset:36864
	ds_load_b128 v[5:8], v0
	ds_load_b128 v[9:12], v0 offset:1152
	ds_load_b128 v[104:107], v0 offset:2304
	;; [unrolled: 1-line block ×6, first 2 shown]
	s_waitcnt lgkmcnt(6)
	;;#ASMSTART
	v_dot2_f32_f16 v48, v1, v5, v48
	;;#ASMEND
	;;#ASMSTART
	v_dot2_f32_f16 v48, v2, v6, v48
	;;#ASMEND
	;;#ASMSTART
	v_dot2_f32_f16 v48, v3, v7, v48
	;;#ASMEND
	;;#ASMSTART
	v_dot2_f32_f16 v48, v4, v8, v48
	;;#ASMEND
	s_waitcnt lgkmcnt(5)
	;;#ASMSTART
	v_dot2_f32_f16 v99, v1, v9, v99
	;;#ASMEND
	;;#ASMSTART
	v_dot2_f32_f16 v99, v2, v10, v99
	;;#ASMEND
	;;#ASMSTART
	v_dot2_f32_f16 v99, v3, v11, v99
	;;#ASMEND
	;;#ASMSTART
	v_dot2_f32_f16 v99, v4, v12, v99
	;;#ASMEND
	;; [unrolled: 13-line block ×5, first 2 shown]
	;;#ASMSTART
	v_dot2_f32_f16 v100, v112, v9, v100
	;;#ASMEND
	;;#ASMSTART
	v_dot2_f32_f16 v100, v113, v10, v100
	;;#ASMEND
	;; [unrolled: 3-line block ×12, first 2 shown]
	s_waitcnt lgkmcnt(1)
	;;#ASMSTART
	v_dot2_f32_f16 v102, v116, v5, v102
	;;#ASMEND
	;;#ASMSTART
	v_dot2_f32_f16 v102, v117, v6, v102
	;;#ASMEND
	;; [unrolled: 3-line block ×16, first 2 shown]
	s_waitcnt lgkmcnt(0)
	;;#ASMSTART
	v_dot2_f32_f16 v103, v120, v5, v103
	;;#ASMEND
	;;#ASMSTART
	v_dot2_f32_f16 v103, v121, v6, v103
	;;#ASMEND
	;;#ASMSTART
	v_dot2_f32_f16 v103, v122, v7, v103
	;;#ASMEND
	;;#ASMSTART
	v_dot2_f32_f16 v103, v123, v8, v103
	;;#ASMEND
	;;#ASMSTART
	v_dot2_f32_f16 v98, v120, v9, v98
	;;#ASMEND
	;;#ASMSTART
	v_dot2_f32_f16 v98, v121, v10, v98
	;;#ASMEND
	;;#ASMSTART
	v_dot2_f32_f16 v98, v122, v11, v98
	;;#ASMEND
	;;#ASMSTART
	v_dot2_f32_f16 v98, v123, v12, v98
	;;#ASMEND
	;;#ASMSTART
	v_dot2_f32_f16 v94, v120, v104, v94
	;;#ASMEND
	;;#ASMSTART
	v_dot2_f32_f16 v94, v121, v105, v94
	;;#ASMEND
	;;#ASMSTART
	v_dot2_f32_f16 v94, v122, v106, v94
	;;#ASMEND
	v_add3_u32 v13, s4, 16, v40
	;;#ASMSTART
	v_dot2_f32_f16 v94, v123, v107, v94
	;;#ASMEND
	;;#ASMSTART
	v_dot2_f32_f16 v81, v120, v108, v81
	;;#ASMEND
	;;#ASMSTART
	v_dot2_f32_f16 v81, v121, v109, v81
	;;#ASMEND
	;;#ASMSTART
	v_dot2_f32_f16 v81, v122, v110, v81
	;;#ASMEND
	;;#ASMSTART
	v_dot2_f32_f16 v81, v123, v111, v81
	;;#ASMEND
	ds_load_b128 v[1:4], v39 offset:36880
	ds_load_b128 v[5:8], v0 offset:16
	;; [unrolled: 1-line block ×8, first 2 shown]
	s_waitcnt lgkmcnt(6)
	;;#ASMSTART
	v_dot2_f32_f16 v48, v1, v5, v48
	;;#ASMEND
	;;#ASMSTART
	v_dot2_f32_f16 v48, v2, v6, v48
	;;#ASMEND
	;;#ASMSTART
	v_dot2_f32_f16 v48, v3, v7, v48
	;;#ASMEND
	;;#ASMSTART
	v_dot2_f32_f16 v48, v4, v8, v48
	;;#ASMEND
	s_waitcnt lgkmcnt(5)
	;;#ASMSTART
	v_dot2_f32_f16 v99, v1, v9, v99
	;;#ASMEND
	;;#ASMSTART
	v_dot2_f32_f16 v99, v2, v10, v99
	;;#ASMEND
	;;#ASMSTART
	v_dot2_f32_f16 v99, v3, v11, v99
	;;#ASMEND
	;;#ASMSTART
	v_dot2_f32_f16 v99, v4, v12, v99
	;;#ASMEND
	;; [unrolled: 13-line block ×5, first 2 shown]
	;;#ASMSTART
	v_dot2_f32_f16 v100, v112, v9, v100
	;;#ASMEND
	;;#ASMSTART
	v_dot2_f32_f16 v100, v113, v10, v100
	;;#ASMEND
	;; [unrolled: 3-line block ×12, first 2 shown]
	s_waitcnt lgkmcnt(1)
	;;#ASMSTART
	v_dot2_f32_f16 v102, v116, v5, v102
	;;#ASMEND
	;;#ASMSTART
	v_dot2_f32_f16 v102, v117, v6, v102
	;;#ASMEND
	;; [unrolled: 3-line block ×16, first 2 shown]
	s_waitcnt lgkmcnt(0)
	;;#ASMSTART
	v_dot2_f32_f16 v103, v120, v5, v103
	;;#ASMEND
	;;#ASMSTART
	v_dot2_f32_f16 v103, v121, v6, v103
	;;#ASMEND
	;; [unrolled: 3-line block ×11, first 2 shown]
	v_add3_u32 v13, s4, 32, v40
	;;#ASMSTART
	v_dot2_f32_f16 v94, v123, v107, v94
	;;#ASMEND
	;;#ASMSTART
	v_dot2_f32_f16 v81, v120, v108, v81
	;;#ASMEND
	;; [unrolled: 3-line block ×5, first 2 shown]
	ds_load_b128 v[1:4], v39 offset:36896
	ds_load_b128 v[5:8], v0 offset:32
	;; [unrolled: 1-line block ×8, first 2 shown]
	s_waitcnt lgkmcnt(6)
	;;#ASMSTART
	v_dot2_f32_f16 v48, v1, v5, v48
	;;#ASMEND
	;;#ASMSTART
	v_dot2_f32_f16 v48, v2, v6, v48
	;;#ASMEND
	;;#ASMSTART
	v_dot2_f32_f16 v48, v3, v7, v48
	;;#ASMEND
	;;#ASMSTART
	v_dot2_f32_f16 v48, v4, v8, v48
	;;#ASMEND
	s_waitcnt lgkmcnt(5)
	;;#ASMSTART
	v_dot2_f32_f16 v99, v1, v9, v99
	;;#ASMEND
	;;#ASMSTART
	v_dot2_f32_f16 v99, v2, v10, v99
	;;#ASMEND
	;;#ASMSTART
	v_dot2_f32_f16 v99, v3, v11, v99
	;;#ASMEND
	;;#ASMSTART
	v_dot2_f32_f16 v99, v4, v12, v99
	;;#ASMEND
	;; [unrolled: 13-line block ×5, first 2 shown]
	;;#ASMSTART
	v_dot2_f32_f16 v100, v112, v9, v100
	;;#ASMEND
	;;#ASMSTART
	v_dot2_f32_f16 v100, v113, v10, v100
	;;#ASMEND
	;; [unrolled: 3-line block ×12, first 2 shown]
	s_waitcnt lgkmcnt(1)
	;;#ASMSTART
	v_dot2_f32_f16 v102, v116, v5, v102
	;;#ASMEND
	;;#ASMSTART
	v_dot2_f32_f16 v102, v117, v6, v102
	;;#ASMEND
	;; [unrolled: 3-line block ×16, first 2 shown]
	s_waitcnt lgkmcnt(0)
	;;#ASMSTART
	v_dot2_f32_f16 v103, v120, v5, v103
	;;#ASMEND
	;;#ASMSTART
	v_dot2_f32_f16 v103, v121, v6, v103
	;;#ASMEND
	;; [unrolled: 3-line block ×11, first 2 shown]
	v_add3_u32 v13, s4, 48, v40
	;;#ASMSTART
	v_dot2_f32_f16 v94, v123, v107, v94
	;;#ASMEND
	;;#ASMSTART
	v_dot2_f32_f16 v81, v120, v108, v81
	;;#ASMEND
	;; [unrolled: 3-line block ×5, first 2 shown]
	ds_load_b128 v[1:4], v39 offset:36912
	ds_load_b128 v[5:8], v0 offset:48
	;; [unrolled: 1-line block ×8, first 2 shown]
	s_waitcnt lgkmcnt(6)
	;;#ASMSTART
	v_dot2_f32_f16 v48, v1, v5, v48
	;;#ASMEND
	;;#ASMSTART
	v_dot2_f32_f16 v48, v2, v6, v48
	;;#ASMEND
	;;#ASMSTART
	v_dot2_f32_f16 v48, v3, v7, v48
	;;#ASMEND
	;;#ASMSTART
	v_dot2_f32_f16 v48, v4, v8, v48
	;;#ASMEND
	s_waitcnt lgkmcnt(5)
	;;#ASMSTART
	v_dot2_f32_f16 v99, v1, v9, v99
	;;#ASMEND
	;;#ASMSTART
	v_dot2_f32_f16 v99, v2, v10, v99
	;;#ASMEND
	;;#ASMSTART
	v_dot2_f32_f16 v99, v3, v11, v99
	;;#ASMEND
	;;#ASMSTART
	v_dot2_f32_f16 v99, v4, v12, v99
	;;#ASMEND
	s_waitcnt lgkmcnt(4)
	;;#ASMSTART
	v_dot2_f32_f16 v93, v1, v104, v93
	;;#ASMEND
	;;#ASMSTART
	v_dot2_f32_f16 v93, v2, v105, v93
	;;#ASMEND
	;;#ASMSTART
	v_dot2_f32_f16 v93, v3, v106, v93
	;;#ASMEND
	;;#ASMSTART
	v_dot2_f32_f16 v93, v4, v107, v93
	;;#ASMEND
	s_waitcnt lgkmcnt(3)
	;;#ASMSTART
	v_dot2_f32_f16 v83, v1, v108, v83
	;;#ASMEND
	;;#ASMSTART
	v_dot2_f32_f16 v83, v2, v109, v83
	;;#ASMEND
	;;#ASMSTART
	v_dot2_f32_f16 v83, v3, v110, v83
	;;#ASMEND
	;;#ASMSTART
	v_dot2_f32_f16 v83, v4, v111, v83
	;;#ASMEND
	s_waitcnt lgkmcnt(2)
	;;#ASMSTART
	v_dot2_f32_f16 v101, v112, v5, v101
	;;#ASMEND
	;;#ASMSTART
	v_dot2_f32_f16 v101, v113, v6, v101
	;;#ASMEND
	;;#ASMSTART
	v_dot2_f32_f16 v101, v114, v7, v101
	;;#ASMEND
	;;#ASMSTART
	v_dot2_f32_f16 v101, v115, v8, v101
	;;#ASMEND
	;;#ASMSTART
	v_dot2_f32_f16 v100, v112, v9, v100
	;;#ASMEND
	;;#ASMSTART
	v_dot2_f32_f16 v100, v113, v10, v100
	;;#ASMEND
	;; [unrolled: 3-line block ×12, first 2 shown]
	s_waitcnt lgkmcnt(1)
	;;#ASMSTART
	v_dot2_f32_f16 v102, v116, v5, v102
	;;#ASMEND
	;;#ASMSTART
	v_dot2_f32_f16 v102, v117, v6, v102
	;;#ASMEND
	;; [unrolled: 3-line block ×16, first 2 shown]
	s_waitcnt lgkmcnt(0)
	;;#ASMSTART
	v_dot2_f32_f16 v103, v120, v5, v103
	;;#ASMEND
	;;#ASMSTART
	v_dot2_f32_f16 v103, v121, v6, v103
	;;#ASMEND
	;; [unrolled: 3-line block ×11, first 2 shown]
	v_add3_u32 v13, s4, 64, v40
	;;#ASMSTART
	v_dot2_f32_f16 v94, v123, v107, v94
	;;#ASMEND
	;;#ASMSTART
	v_dot2_f32_f16 v81, v120, v108, v81
	;;#ASMEND
	;; [unrolled: 3-line block ×5, first 2 shown]
	ds_load_b128 v[1:4], v39 offset:36928
	ds_load_b128 v[5:8], v0 offset:64
	ds_load_b128 v[9:12], v13 offset:1152
	ds_load_b128 v[104:107], v13 offset:2304
	ds_load_b128 v[108:111], v13 offset:3456
	ds_load_b128 v[112:115], v39 offset:41536
	ds_load_b128 v[116:119], v39 offset:46144
	ds_load_b128 v[120:123], v39 offset:50752
	s_waitcnt lgkmcnt(6)
	;;#ASMSTART
	v_dot2_f32_f16 v48, v1, v5, v48
	;;#ASMEND
	;;#ASMSTART
	v_dot2_f32_f16 v48, v2, v6, v48
	;;#ASMEND
	;;#ASMSTART
	v_dot2_f32_f16 v48, v3, v7, v48
	;;#ASMEND
	;;#ASMSTART
	v_dot2_f32_f16 v48, v4, v8, v48
	;;#ASMEND
	s_waitcnt lgkmcnt(5)
	;;#ASMSTART
	v_dot2_f32_f16 v99, v1, v9, v99
	;;#ASMEND
	;;#ASMSTART
	v_dot2_f32_f16 v99, v2, v10, v99
	;;#ASMEND
	;;#ASMSTART
	v_dot2_f32_f16 v99, v3, v11, v99
	;;#ASMEND
	;;#ASMSTART
	v_dot2_f32_f16 v99, v4, v12, v99
	;;#ASMEND
	;; [unrolled: 13-line block ×5, first 2 shown]
	;;#ASMSTART
	v_dot2_f32_f16 v100, v112, v9, v100
	;;#ASMEND
	;;#ASMSTART
	v_dot2_f32_f16 v100, v113, v10, v100
	;;#ASMEND
	;; [unrolled: 3-line block ×12, first 2 shown]
	s_waitcnt lgkmcnt(1)
	;;#ASMSTART
	v_dot2_f32_f16 v102, v116, v5, v102
	;;#ASMEND
	;;#ASMSTART
	v_dot2_f32_f16 v102, v117, v6, v102
	;;#ASMEND
	;; [unrolled: 3-line block ×16, first 2 shown]
	s_waitcnt lgkmcnt(0)
	;;#ASMSTART
	v_dot2_f32_f16 v103, v120, v5, v103
	;;#ASMEND
	;;#ASMSTART
	v_dot2_f32_f16 v103, v121, v6, v103
	;;#ASMEND
	;; [unrolled: 3-line block ×11, first 2 shown]
	v_add3_u32 v13, 0x50, s4, v40
	;;#ASMSTART
	v_dot2_f32_f16 v94, v123, v107, v94
	;;#ASMEND
	;;#ASMSTART
	v_dot2_f32_f16 v81, v120, v108, v81
	;;#ASMEND
	;; [unrolled: 3-line block ×5, first 2 shown]
	ds_load_b128 v[1:4], v39 offset:36944
	ds_load_b128 v[5:8], v0 offset:80
	;; [unrolled: 1-line block ×8, first 2 shown]
	s_waitcnt lgkmcnt(6)
	;;#ASMSTART
	v_dot2_f32_f16 v48, v1, v5, v48
	;;#ASMEND
	;;#ASMSTART
	v_dot2_f32_f16 v48, v2, v6, v48
	;;#ASMEND
	;;#ASMSTART
	v_dot2_f32_f16 v48, v3, v7, v48
	;;#ASMEND
	;;#ASMSTART
	v_dot2_f32_f16 v48, v4, v8, v48
	;;#ASMEND
	s_waitcnt lgkmcnt(5)
	;;#ASMSTART
	v_dot2_f32_f16 v99, v1, v9, v99
	;;#ASMEND
	;;#ASMSTART
	v_dot2_f32_f16 v99, v2, v10, v99
	;;#ASMEND
	;;#ASMSTART
	v_dot2_f32_f16 v99, v3, v11, v99
	;;#ASMEND
	;;#ASMSTART
	v_dot2_f32_f16 v99, v4, v12, v99
	;;#ASMEND
	;; [unrolled: 13-line block ×5, first 2 shown]
	;;#ASMSTART
	v_dot2_f32_f16 v100, v112, v9, v100
	;;#ASMEND
	;;#ASMSTART
	v_dot2_f32_f16 v100, v113, v10, v100
	;;#ASMEND
	;; [unrolled: 3-line block ×12, first 2 shown]
	s_waitcnt lgkmcnt(1)
	;;#ASMSTART
	v_dot2_f32_f16 v102, v116, v5, v102
	;;#ASMEND
	;;#ASMSTART
	v_dot2_f32_f16 v102, v117, v6, v102
	;;#ASMEND
	;; [unrolled: 3-line block ×16, first 2 shown]
	s_waitcnt lgkmcnt(0)
	;;#ASMSTART
	v_dot2_f32_f16 v103, v120, v5, v103
	;;#ASMEND
	;;#ASMSTART
	v_dot2_f32_f16 v103, v121, v6, v103
	;;#ASMEND
	;; [unrolled: 3-line block ×11, first 2 shown]
	v_add3_u32 v13, 0x60, s4, v40
	;;#ASMSTART
	v_dot2_f32_f16 v94, v123, v107, v94
	;;#ASMEND
	;;#ASMSTART
	v_dot2_f32_f16 v81, v120, v108, v81
	;;#ASMEND
	;; [unrolled: 3-line block ×5, first 2 shown]
	ds_load_b128 v[1:4], v39 offset:36960
	ds_load_b128 v[5:8], v0 offset:96
	ds_load_b128 v[9:12], v13 offset:1152
	ds_load_b128 v[104:107], v13 offset:2304
	ds_load_b128 v[108:111], v13 offset:3456
	ds_load_b128 v[112:115], v39 offset:41568
	ds_load_b128 v[116:119], v39 offset:46176
	ds_load_b128 v[120:123], v39 offset:50784
	s_waitcnt lgkmcnt(6)
	;;#ASMSTART
	v_dot2_f32_f16 v48, v1, v5, v48
	;;#ASMEND
	;;#ASMSTART
	v_dot2_f32_f16 v48, v2, v6, v48
	;;#ASMEND
	;;#ASMSTART
	v_dot2_f32_f16 v48, v3, v7, v48
	;;#ASMEND
	;;#ASMSTART
	v_dot2_f32_f16 v48, v4, v8, v48
	;;#ASMEND
	s_waitcnt lgkmcnt(5)
	;;#ASMSTART
	v_dot2_f32_f16 v99, v1, v9, v99
	;;#ASMEND
	;;#ASMSTART
	v_dot2_f32_f16 v99, v2, v10, v99
	;;#ASMEND
	;;#ASMSTART
	v_dot2_f32_f16 v99, v3, v11, v99
	;;#ASMEND
	;;#ASMSTART
	v_dot2_f32_f16 v99, v4, v12, v99
	;;#ASMEND
	;; [unrolled: 13-line block ×5, first 2 shown]
	;;#ASMSTART
	v_dot2_f32_f16 v100, v112, v9, v100
	;;#ASMEND
	;;#ASMSTART
	v_dot2_f32_f16 v100, v113, v10, v100
	;;#ASMEND
	;; [unrolled: 3-line block ×12, first 2 shown]
	s_waitcnt lgkmcnt(1)
	;;#ASMSTART
	v_dot2_f32_f16 v102, v116, v5, v102
	;;#ASMEND
	;;#ASMSTART
	v_dot2_f32_f16 v102, v117, v6, v102
	;;#ASMEND
	;; [unrolled: 3-line block ×16, first 2 shown]
	s_waitcnt lgkmcnt(0)
	;;#ASMSTART
	v_dot2_f32_f16 v103, v120, v5, v103
	;;#ASMEND
	;;#ASMSTART
	v_dot2_f32_f16 v103, v121, v6, v103
	;;#ASMEND
	;; [unrolled: 3-line block ×11, first 2 shown]
	v_add3_u32 v13, 0x70, s4, v40
	;;#ASMSTART
	v_dot2_f32_f16 v94, v123, v107, v94
	;;#ASMEND
	;;#ASMSTART
	v_dot2_f32_f16 v81, v120, v108, v81
	;;#ASMEND
	;; [unrolled: 3-line block ×5, first 2 shown]
	ds_load_b128 v[1:4], v39 offset:36976
	ds_load_b128 v[5:8], v0 offset:112
	;; [unrolled: 1-line block ×8, first 2 shown]
	s_waitcnt lgkmcnt(6)
	;;#ASMSTART
	v_dot2_f32_f16 v48, v1, v5, v48
	;;#ASMEND
	;;#ASMSTART
	v_dot2_f32_f16 v48, v2, v6, v48
	;;#ASMEND
	;;#ASMSTART
	v_dot2_f32_f16 v48, v3, v7, v48
	;;#ASMEND
	;;#ASMSTART
	v_dot2_f32_f16 v48, v4, v8, v48
	;;#ASMEND
	s_waitcnt lgkmcnt(5)
	;;#ASMSTART
	v_dot2_f32_f16 v99, v1, v9, v99
	;;#ASMEND
	;;#ASMSTART
	v_dot2_f32_f16 v99, v2, v10, v99
	;;#ASMEND
	;;#ASMSTART
	v_dot2_f32_f16 v99, v3, v11, v99
	;;#ASMEND
	;;#ASMSTART
	v_dot2_f32_f16 v99, v4, v12, v99
	;;#ASMEND
	;; [unrolled: 13-line block ×5, first 2 shown]
	;;#ASMSTART
	v_dot2_f32_f16 v100, v112, v9, v100
	;;#ASMEND
	;;#ASMSTART
	v_dot2_f32_f16 v100, v113, v10, v100
	;;#ASMEND
	;; [unrolled: 3-line block ×12, first 2 shown]
	s_waitcnt lgkmcnt(1)
	;;#ASMSTART
	v_dot2_f32_f16 v102, v116, v5, v102
	;;#ASMEND
	;;#ASMSTART
	v_dot2_f32_f16 v102, v117, v6, v102
	;;#ASMEND
	;; [unrolled: 3-line block ×16, first 2 shown]
	s_waitcnt lgkmcnt(0)
	;;#ASMSTART
	v_dot2_f32_f16 v103, v120, v5, v103
	;;#ASMEND
	;;#ASMSTART
	v_dot2_f32_f16 v103, v121, v6, v103
	;;#ASMEND
	;;#ASMSTART
	v_dot2_f32_f16 v103, v122, v7, v103
	;;#ASMEND
	;;#ASMSTART
	v_dot2_f32_f16 v103, v123, v8, v103
	;;#ASMEND
	;;#ASMSTART
	v_dot2_f32_f16 v98, v120, v9, v98
	;;#ASMEND
	;;#ASMSTART
	v_dot2_f32_f16 v98, v121, v10, v98
	;;#ASMEND
	;;#ASMSTART
	v_dot2_f32_f16 v98, v122, v11, v98
	;;#ASMEND
	s_cmpk_gt_u32 s21, 0x17f
	;;#ASMSTART
	v_dot2_f32_f16 v98, v123, v12, v98
	;;#ASMEND
	;;#ASMSTART
	v_dot2_f32_f16 v94, v120, v104, v94
	;;#ASMEND
	;; [unrolled: 3-line block ×3, first 2 shown]
	s_cselect_b32 s4, -1, 0
	;;#ASMSTART
	v_dot2_f32_f16 v94, v122, v106, v94
	;;#ASMEND
	;;#ASMSTART
	v_dot2_f32_f16 v94, v123, v107, v94
	;;#ASMEND
	;; [unrolled: 3-line block ×3, first 2 shown]
	s_and_b32 vcc_lo, exec_lo, s4
	;;#ASMSTART
	v_dot2_f32_f16 v81, v121, v109, v81
	;;#ASMEND
	;;#ASMSTART
	v_dot2_f32_f16 v81, v122, v110, v81
	;;#ASMEND
	;; [unrolled: 3-line block ×3, first 2 shown]
	s_cbranch_vccnz .LBB23_18
; %bb.20:                               ;   in Loop: Header=BB23_19 Depth=2
	s_barrier
	buffer_gl0_inv
	s_branch .LBB23_18
.LBB23_21:                              ;   in Loop: Header=BB23_17 Depth=1
	v_cmp_ngt_f32_e64 s4, 0x3f200000, |v48|
                                        ; implicit-def: $vgpr2
	s_delay_alu instid0(VALU_DEP_1) | instskip(NEXT) | instid1(SALU_CYCLE_1)
	s_and_saveexec_b32 s19, s4
	s_xor_b32 s4, exec_lo, s19
	s_cbranch_execz .LBB23_23
; %bb.22:                               ;   in Loop: Header=BB23_17 Depth=1
	v_add_f32_e64 v0, |v48|, |v48|
	s_delay_alu instid0(VALU_DEP_1) | instskip(SKIP_1) | instid1(VALU_DEP_2)
	v_mul_f32_e32 v1, 0x3fb8aa3b, v0
	v_cmp_ngt_f32_e32 vcc_lo, 0xc2ce8ed0, v0
	v_rndne_f32_e32 v2, v1
	v_fma_f32 v3, 0x3fb8aa3b, v0, -v1
	s_delay_alu instid0(VALU_DEP_2) | instskip(NEXT) | instid1(VALU_DEP_2)
	v_sub_f32_e32 v1, v1, v2
	v_fmac_f32_e32 v3, 0x32a5705f, v0
	v_cvt_i32_f32_e32 v2, v2
	s_delay_alu instid0(VALU_DEP_2) | instskip(NEXT) | instid1(VALU_DEP_1)
	v_add_f32_e32 v1, v1, v3
	v_exp_f32_e32 v1, v1
	s_waitcnt_depctr 0xfff
	v_ldexp_f32 v1, v1, v2
	s_delay_alu instid0(VALU_DEP_1) | instskip(SKIP_1) | instid1(VALU_DEP_2)
	v_cndmask_b32_e32 v1, 0, v1, vcc_lo
	v_cmp_nlt_f32_e32 vcc_lo, 0x42b17218, v0
	v_cndmask_b32_e32 v0, 0x7f800000, v1, vcc_lo
	s_delay_alu instid0(VALU_DEP_1) | instskip(NEXT) | instid1(VALU_DEP_1)
	v_add_f32_e32 v0, 1.0, v0
	v_rcp_f32_e32 v0, v0
	s_waitcnt_depctr 0xfff
	v_fma_f32 v2, v0, -2.0, 1.0
.LBB23_23:                              ;   in Loop: Header=BB23_17 Depth=1
	s_and_not1_saveexec_b32 s4, s4
; %bb.24:                               ;   in Loop: Header=BB23_17 Depth=1
	v_mul_f32_e32 v0, v48, v48
	s_delay_alu instid0(VALU_DEP_1) | instskip(NEXT) | instid1(VALU_DEP_1)
	v_fmaak_f32 v1, s18, v0, 0x3ca908c9
	v_fmaak_f32 v1, v0, v1, 0xbd5c1c4e
	s_delay_alu instid0(VALU_DEP_1) | instskip(NEXT) | instid1(VALU_DEP_1)
	v_fmaak_f32 v1, v0, v1, 0x3e088382
	v_fmaak_f32 v1, v0, v1, 0xbeaaaa99
	s_delay_alu instid0(VALU_DEP_1) | instskip(NEXT) | instid1(VALU_DEP_1)
	v_mul_f32_e64 v1, |v48|, v1
	v_fma_f32 v2, v0, v1, |v48|
; %bb.25:                               ;   in Loop: Header=BB23_17 Depth=1
	s_or_b32 exec_lo, exec_lo, s4
	v_add_nc_u32_e32 v0, s13, v18
	v_cmp_ngt_f32_e64 s4, 0x3f200000, |v101|
                                        ; implicit-def: $vgpr3
	s_delay_alu instid0(VALU_DEP_2) | instskip(NEXT) | instid1(VALU_DEP_1)
	v_ashrrev_i32_e32 v1, 31, v0
	v_lshlrev_b64 v[0:1], 1, v[0:1]
	s_delay_alu instid0(VALU_DEP_1) | instskip(NEXT) | instid1(VALU_DEP_2)
	v_add_co_u32 v0, vcc_lo, s36, v0
	v_add_co_ci_u32_e32 v1, vcc_lo, s37, v1, vcc_lo
	flat_load_u16 v4, v[0:1]
	s_and_saveexec_b32 s19, s4
	s_delay_alu instid0(SALU_CYCLE_1)
	s_xor_b32 s4, exec_lo, s19
	s_cbranch_execz .LBB23_27
; %bb.26:                               ;   in Loop: Header=BB23_17 Depth=1
	v_add_f32_e64 v3, |v101|, |v101|
	s_delay_alu instid0(VALU_DEP_1) | instskip(SKIP_1) | instid1(VALU_DEP_2)
	v_mul_f32_e32 v5, 0x3fb8aa3b, v3
	v_cmp_ngt_f32_e32 vcc_lo, 0xc2ce8ed0, v3
	v_rndne_f32_e32 v6, v5
	v_fma_f32 v7, 0x3fb8aa3b, v3, -v5
	s_delay_alu instid0(VALU_DEP_2) | instskip(NEXT) | instid1(VALU_DEP_2)
	v_sub_f32_e32 v5, v5, v6
	v_fmac_f32_e32 v7, 0x32a5705f, v3
	v_cvt_i32_f32_e32 v6, v6
	s_delay_alu instid0(VALU_DEP_2) | instskip(NEXT) | instid1(VALU_DEP_1)
	v_add_f32_e32 v5, v5, v7
	v_exp_f32_e32 v5, v5
	s_waitcnt_depctr 0xfff
	v_ldexp_f32 v5, v5, v6
	s_delay_alu instid0(VALU_DEP_1) | instskip(SKIP_1) | instid1(VALU_DEP_2)
	v_cndmask_b32_e32 v5, 0, v5, vcc_lo
	v_cmp_nlt_f32_e32 vcc_lo, 0x42b17218, v3
	v_cndmask_b32_e32 v3, 0x7f800000, v5, vcc_lo
	s_delay_alu instid0(VALU_DEP_1) | instskip(NEXT) | instid1(VALU_DEP_1)
	v_add_f32_e32 v3, 1.0, v3
	v_rcp_f32_e32 v3, v3
	s_waitcnt_depctr 0xfff
	v_fma_f32 v3, v3, -2.0, 1.0
.LBB23_27:                              ;   in Loop: Header=BB23_17 Depth=1
	s_and_not1_saveexec_b32 s4, s4
; %bb.28:                               ;   in Loop: Header=BB23_17 Depth=1
	v_mul_f32_e32 v3, v101, v101
	s_delay_alu instid0(VALU_DEP_1) | instskip(NEXT) | instid1(VALU_DEP_1)
	v_fmaak_f32 v5, s18, v3, 0x3ca908c9
	v_fmaak_f32 v5, v3, v5, 0xbd5c1c4e
	s_delay_alu instid0(VALU_DEP_1) | instskip(NEXT) | instid1(VALU_DEP_1)
	v_fmaak_f32 v5, v3, v5, 0x3e088382
	v_fmaak_f32 v5, v3, v5, 0xbeaaaa99
	s_delay_alu instid0(VALU_DEP_1) | instskip(NEXT) | instid1(VALU_DEP_1)
	v_mul_f32_e64 v5, |v101|, v5
	v_fma_f32 v3, v3, v5, |v101|
; %bb.29:                               ;   in Loop: Header=BB23_17 Depth=1
	s_or_b32 exec_lo, exec_lo, s4
	flat_load_u16 v5, v[0:1] offset:64
	v_cmp_ngt_f32_e64 s4, 0x3f200000, |v102|
                                        ; implicit-def: $vgpr6
	s_delay_alu instid0(VALU_DEP_1) | instskip(NEXT) | instid1(SALU_CYCLE_1)
	s_and_saveexec_b32 s19, s4
	s_xor_b32 s4, exec_lo, s19
	s_cbranch_execz .LBB23_31
; %bb.30:                               ;   in Loop: Header=BB23_17 Depth=1
	v_add_f32_e64 v6, |v102|, |v102|
	s_delay_alu instid0(VALU_DEP_1) | instskip(SKIP_1) | instid1(VALU_DEP_2)
	v_mul_f32_e32 v7, 0x3fb8aa3b, v6
	v_cmp_ngt_f32_e32 vcc_lo, 0xc2ce8ed0, v6
	v_rndne_f32_e32 v8, v7
	v_fma_f32 v9, 0x3fb8aa3b, v6, -v7
	s_delay_alu instid0(VALU_DEP_2) | instskip(NEXT) | instid1(VALU_DEP_2)
	v_sub_f32_e32 v7, v7, v8
	v_fmac_f32_e32 v9, 0x32a5705f, v6
	v_cvt_i32_f32_e32 v8, v8
	s_delay_alu instid0(VALU_DEP_2) | instskip(NEXT) | instid1(VALU_DEP_1)
	v_add_f32_e32 v7, v7, v9
	v_exp_f32_e32 v7, v7
	s_waitcnt_depctr 0xfff
	v_ldexp_f32 v7, v7, v8
	s_delay_alu instid0(VALU_DEP_1) | instskip(SKIP_1) | instid1(VALU_DEP_2)
	v_cndmask_b32_e32 v7, 0, v7, vcc_lo
	v_cmp_nlt_f32_e32 vcc_lo, 0x42b17218, v6
	v_cndmask_b32_e32 v6, 0x7f800000, v7, vcc_lo
	s_delay_alu instid0(VALU_DEP_1) | instskip(NEXT) | instid1(VALU_DEP_1)
	v_add_f32_e32 v6, 1.0, v6
	v_rcp_f32_e32 v6, v6
	s_waitcnt_depctr 0xfff
	v_fma_f32 v6, v6, -2.0, 1.0
.LBB23_31:                              ;   in Loop: Header=BB23_17 Depth=1
	s_and_not1_saveexec_b32 s4, s4
; %bb.32:                               ;   in Loop: Header=BB23_17 Depth=1
	v_mul_f32_e32 v6, v102, v102
	s_delay_alu instid0(VALU_DEP_1) | instskip(NEXT) | instid1(VALU_DEP_1)
	v_fmaak_f32 v7, s18, v6, 0x3ca908c9
	v_fmaak_f32 v7, v6, v7, 0xbd5c1c4e
	s_delay_alu instid0(VALU_DEP_1) | instskip(NEXT) | instid1(VALU_DEP_1)
	v_fmaak_f32 v7, v6, v7, 0x3e088382
	v_fmaak_f32 v7, v6, v7, 0xbeaaaa99
	s_delay_alu instid0(VALU_DEP_1) | instskip(NEXT) | instid1(VALU_DEP_1)
	v_mul_f32_e64 v7, |v102|, v7
	v_fma_f32 v6, v6, v7, |v102|
; %bb.33:                               ;   in Loop: Header=BB23_17 Depth=1
	s_or_b32 exec_lo, exec_lo, s4
	flat_load_u16 v104, v[0:1] offset:128
	v_cmp_ngt_f32_e64 s4, 0x3f200000, |v103|
                                        ; implicit-def: $vgpr7
	s_delay_alu instid0(VALU_DEP_1) | instskip(NEXT) | instid1(SALU_CYCLE_1)
	s_and_saveexec_b32 s19, s4
	s_xor_b32 s4, exec_lo, s19
	s_cbranch_execz .LBB23_35
; %bb.34:                               ;   in Loop: Header=BB23_17 Depth=1
	v_add_f32_e64 v7, |v103|, |v103|
	s_delay_alu instid0(VALU_DEP_1) | instskip(SKIP_1) | instid1(VALU_DEP_2)
	v_mul_f32_e32 v8, 0x3fb8aa3b, v7
	v_cmp_ngt_f32_e32 vcc_lo, 0xc2ce8ed0, v7
	v_rndne_f32_e32 v9, v8
	v_fma_f32 v10, 0x3fb8aa3b, v7, -v8
	s_delay_alu instid0(VALU_DEP_2) | instskip(NEXT) | instid1(VALU_DEP_2)
	v_sub_f32_e32 v8, v8, v9
	v_fmac_f32_e32 v10, 0x32a5705f, v7
	v_cvt_i32_f32_e32 v9, v9
	s_delay_alu instid0(VALU_DEP_2) | instskip(NEXT) | instid1(VALU_DEP_1)
	v_add_f32_e32 v8, v8, v10
	v_exp_f32_e32 v8, v8
	s_waitcnt_depctr 0xfff
	v_ldexp_f32 v8, v8, v9
	s_delay_alu instid0(VALU_DEP_1) | instskip(SKIP_1) | instid1(VALU_DEP_2)
	v_cndmask_b32_e32 v8, 0, v8, vcc_lo
	v_cmp_nlt_f32_e32 vcc_lo, 0x42b17218, v7
	v_cndmask_b32_e32 v7, 0x7f800000, v8, vcc_lo
	s_delay_alu instid0(VALU_DEP_1) | instskip(NEXT) | instid1(VALU_DEP_1)
	v_add_f32_e32 v7, 1.0, v7
	v_rcp_f32_e32 v7, v7
	s_waitcnt_depctr 0xfff
	v_fma_f32 v7, v7, -2.0, 1.0
.LBB23_35:                              ;   in Loop: Header=BB23_17 Depth=1
	s_and_not1_saveexec_b32 s4, s4
; %bb.36:                               ;   in Loop: Header=BB23_17 Depth=1
	v_mul_f32_e32 v7, v103, v103
	s_delay_alu instid0(VALU_DEP_1) | instskip(NEXT) | instid1(VALU_DEP_1)
	v_fmaak_f32 v8, s18, v7, 0x3ca908c9
	v_fmaak_f32 v8, v7, v8, 0xbd5c1c4e
	s_delay_alu instid0(VALU_DEP_1) | instskip(NEXT) | instid1(VALU_DEP_1)
	v_fmaak_f32 v8, v7, v8, 0x3e088382
	v_fmaak_f32 v8, v7, v8, 0xbeaaaa99
	s_delay_alu instid0(VALU_DEP_1) | instskip(NEXT) | instid1(VALU_DEP_1)
	v_mul_f32_e64 v8, |v103|, v8
	v_fma_f32 v7, v7, v8, |v103|
; %bb.37:                               ;   in Loop: Header=BB23_17 Depth=1
	s_or_b32 exec_lo, exec_lo, s4
	flat_load_u16 v105, v[0:1] offset:192
	v_bfi_b32 v0, 0x7fffffff, v2, v48
	v_bfi_b32 v1, 0x7fffffff, v3, v101
	;; [unrolled: 1-line block ×3, first 2 shown]
	v_xor_b32_e32 v48, 16, v33
	v_xor_b32_e32 v15, 8, v33
	s_waitcnt vmcnt(3) lgkmcnt(3)
	v_fma_mix_f32 v10, v0, s17, v4 op_sel_hi:[0,0,1]
	s_waitcnt vmcnt(2) lgkmcnt(2)
	v_fma_mix_f32 v11, v1, s17, v5 op_sel_hi:[0,0,1]
	v_bfi_b32 v0, 0x7fffffff, v6, v102
	v_cmp_gt_i32_e32 vcc_lo, 32, v48
	v_xor_b32_e32 v14, 4, v33
	v_xor_b32_e32 v13, 2, v33
	v_add_f32_e32 v3, 0x40051340, v11
	s_waitcnt vmcnt(1) lgkmcnt(1)
	v_fma_mix_f32 v101, v0, s17, v104 op_sel_hi:[0,0,1]
	v_dual_cndmask_b32 v0, v33, v48 :: v_dual_add_f32 v1, 0x40051340, v10
	v_cmp_gt_i32_e32 vcc_lo, 32, v15
	v_xor_b32_e32 v12, 1, v33
	v_cmp_ngt_f32_e64 s4, 0x3f200000, |v99|
                                        ; implicit-def: $vgpr7
	s_delay_alu instid0(VALU_DEP_4) | instskip(SKIP_4) | instid1(VALU_DEP_3)
	v_lshlrev_b32_e32 v0, 2, v0
	s_waitcnt vmcnt(0) lgkmcnt(0)
	v_fma_mix_f32 v102, v2, s17, v105 op_sel_hi:[0,0,1]
	v_add_f32_e32 v2, 0x40051340, v101
	v_max3_f32 v1, v92, v1, v3
	v_add_f32_e32 v3, 0x40051340, v102
	s_delay_alu instid0(VALU_DEP_1) | instskip(SKIP_4) | instid1(VALU_DEP_2)
	v_max3_f32 v1, v1, v2, v3
	ds_bpermute_b32 v2, v0, v1
	v_cndmask_b32_e32 v3, v33, v15, vcc_lo
	v_cmp_gt_i32_e32 vcc_lo, 32, v14
	s_waitcnt lgkmcnt(0)
	v_dual_max_f32 v2, v2, v2 :: v_dual_lshlrev_b32 v103, 2, v3
	v_cndmask_b32_e32 v3, v33, v14, vcc_lo
	v_cmp_gt_i32_e32 vcc_lo, 32, v13
	s_delay_alu instid0(VALU_DEP_2)
	v_dual_max_f32 v1, v1, v2 :: v_dual_lshlrev_b32 v8, 2, v3
	v_cndmask_b32_e32 v3, v33, v13, vcc_lo
	v_cmp_gt_i32_e32 vcc_lo, 32, v12
	ds_bpermute_b32 v2, v103, v1
	v_lshlrev_b32_e32 v6, 2, v3
	s_waitcnt lgkmcnt(0)
	v_max_f32_e32 v2, v2, v2
	s_delay_alu instid0(VALU_DEP_1) | instskip(SKIP_3) | instid1(VALU_DEP_1)
	v_max_f32_e32 v1, v1, v2
	ds_bpermute_b32 v2, v8, v1
	s_waitcnt lgkmcnt(0)
	v_max_f32_e32 v2, v2, v2
	v_max_f32_e32 v1, v1, v2
	ds_bpermute_b32 v2, v6, v1
	s_waitcnt lgkmcnt(0)
	v_dual_cndmask_b32 v3, v33, v12 :: v_dual_max_f32 v2, v2, v2
	s_delay_alu instid0(VALU_DEP_1) | instskip(NEXT) | instid1(VALU_DEP_2)
	v_lshlrev_b32_e32 v3, 2, v3
	v_max_f32_e32 v1, v1, v2
	ds_bpermute_b32 v2, v3, v1
	s_and_saveexec_b32 s19, s4
	s_delay_alu instid0(SALU_CYCLE_1)
	s_xor_b32 s4, exec_lo, s19
	s_cbranch_execz .LBB23_39
; %bb.38:                               ;   in Loop: Header=BB23_17 Depth=1
	v_add_f32_e64 v7, |v99|, |v99|
	s_delay_alu instid0(VALU_DEP_1) | instskip(SKIP_1) | instid1(VALU_DEP_2)
	v_mul_f32_e32 v9, 0x3fb8aa3b, v7
	v_cmp_ngt_f32_e32 vcc_lo, 0xc2ce8ed0, v7
	v_rndne_f32_e32 v106, v9
	v_fma_f32 v107, 0x3fb8aa3b, v7, -v9
	s_delay_alu instid0(VALU_DEP_2) | instskip(NEXT) | instid1(VALU_DEP_2)
	v_sub_f32_e32 v9, v9, v106
	v_fmac_f32_e32 v107, 0x32a5705f, v7
	v_cvt_i32_f32_e32 v106, v106
	s_delay_alu instid0(VALU_DEP_2) | instskip(NEXT) | instid1(VALU_DEP_1)
	v_add_f32_e32 v9, v9, v107
	v_exp_f32_e32 v9, v9
	s_waitcnt_depctr 0xfff
	v_ldexp_f32 v9, v9, v106
	s_delay_alu instid0(VALU_DEP_1) | instskip(SKIP_1) | instid1(VALU_DEP_2)
	v_cndmask_b32_e32 v9, 0, v9, vcc_lo
	v_cmp_nlt_f32_e32 vcc_lo, 0x42b17218, v7
	v_cndmask_b32_e32 v7, 0x7f800000, v9, vcc_lo
	s_delay_alu instid0(VALU_DEP_1) | instskip(NEXT) | instid1(VALU_DEP_1)
	v_add_f32_e32 v7, 1.0, v7
	v_rcp_f32_e32 v7, v7
	s_waitcnt_depctr 0xfff
	v_fma_f32 v7, v7, -2.0, 1.0
.LBB23_39:                              ;   in Loop: Header=BB23_17 Depth=1
	s_and_not1_saveexec_b32 s4, s4
; %bb.40:                               ;   in Loop: Header=BB23_17 Depth=1
	v_mul_f32_e32 v7, v99, v99
	s_delay_alu instid0(VALU_DEP_1) | instskip(NEXT) | instid1(VALU_DEP_1)
	v_fmaak_f32 v9, s18, v7, 0x3ca908c9
	v_fmaak_f32 v9, v7, v9, 0xbd5c1c4e
	s_delay_alu instid0(VALU_DEP_1) | instskip(NEXT) | instid1(VALU_DEP_1)
	v_fmaak_f32 v9, v7, v9, 0x3e088382
	v_fmaak_f32 v9, v7, v9, 0xbeaaaa99
	s_delay_alu instid0(VALU_DEP_1) | instskip(NEXT) | instid1(VALU_DEP_1)
	v_mul_f32_e64 v9, |v99|, v9
	v_fma_f32 v7, v7, v9, |v99|
; %bb.41:                               ;   in Loop: Header=BB23_17 Depth=1
	s_or_b32 exec_lo, exec_lo, s4
	v_cmp_ngt_f32_e64 s4, 0x3f200000, |v100|
                                        ; implicit-def: $vgpr106
	s_delay_alu instid0(VALU_DEP_1) | instskip(NEXT) | instid1(SALU_CYCLE_1)
	s_and_saveexec_b32 s19, s4
	s_xor_b32 s4, exec_lo, s19
	s_cbranch_execz .LBB23_43
; %bb.42:                               ;   in Loop: Header=BB23_17 Depth=1
	v_add_f32_e64 v9, |v100|, |v100|
	s_delay_alu instid0(VALU_DEP_1) | instskip(SKIP_1) | instid1(VALU_DEP_2)
	v_mul_f32_e32 v106, 0x3fb8aa3b, v9
	v_cmp_ngt_f32_e32 vcc_lo, 0xc2ce8ed0, v9
	v_rndne_f32_e32 v107, v106
	v_fma_f32 v108, 0x3fb8aa3b, v9, -v106
	s_delay_alu instid0(VALU_DEP_2) | instskip(NEXT) | instid1(VALU_DEP_2)
	v_sub_f32_e32 v106, v106, v107
	v_fmac_f32_e32 v108, 0x32a5705f, v9
	v_cvt_i32_f32_e32 v107, v107
	s_delay_alu instid0(VALU_DEP_2) | instskip(NEXT) | instid1(VALU_DEP_1)
	v_add_f32_e32 v106, v106, v108
	v_exp_f32_e32 v106, v106
	s_waitcnt_depctr 0xfff
	v_ldexp_f32 v106, v106, v107
	s_delay_alu instid0(VALU_DEP_1) | instskip(SKIP_1) | instid1(VALU_DEP_2)
	v_cndmask_b32_e32 v106, 0, v106, vcc_lo
	v_cmp_nlt_f32_e32 vcc_lo, 0x42b17218, v9
	v_cndmask_b32_e32 v9, 0x7f800000, v106, vcc_lo
	s_delay_alu instid0(VALU_DEP_1) | instskip(NEXT) | instid1(VALU_DEP_1)
	v_add_f32_e32 v9, 1.0, v9
	v_rcp_f32_e32 v9, v9
	s_waitcnt_depctr 0xfff
	v_fma_f32 v106, v9, -2.0, 1.0
.LBB23_43:                              ;   in Loop: Header=BB23_17 Depth=1
	s_and_not1_saveexec_b32 s4, s4
; %bb.44:                               ;   in Loop: Header=BB23_17 Depth=1
	v_mul_f32_e32 v9, v100, v100
	s_delay_alu instid0(VALU_DEP_1) | instskip(NEXT) | instid1(VALU_DEP_1)
	v_fmaak_f32 v106, s18, v9, 0x3ca908c9
	v_fmaak_f32 v106, v9, v106, 0xbd5c1c4e
	s_delay_alu instid0(VALU_DEP_1) | instskip(NEXT) | instid1(VALU_DEP_1)
	v_fmaak_f32 v106, v9, v106, 0x3e088382
	v_fmaak_f32 v106, v9, v106, 0xbeaaaa99
	s_delay_alu instid0(VALU_DEP_1) | instskip(NEXT) | instid1(VALU_DEP_1)
	v_mul_f32_e64 v106, |v100|, v106
	v_fma_f32 v106, v9, v106, |v100|
; %bb.45:                               ;   in Loop: Header=BB23_17 Depth=1
	s_or_b32 exec_lo, exec_lo, s4
	v_cmp_ngt_f32_e64 s4, 0x3f200000, |v97|
                                        ; implicit-def: $vgpr107
	s_delay_alu instid0(VALU_DEP_1) | instskip(NEXT) | instid1(SALU_CYCLE_1)
	s_and_saveexec_b32 s19, s4
	s_xor_b32 s4, exec_lo, s19
	s_cbranch_execz .LBB23_47
; %bb.46:                               ;   in Loop: Header=BB23_17 Depth=1
	v_add_f32_e64 v9, |v97|, |v97|
	s_delay_alu instid0(VALU_DEP_1) | instskip(SKIP_1) | instid1(VALU_DEP_2)
	v_mul_f32_e32 v107, 0x3fb8aa3b, v9
	v_cmp_ngt_f32_e32 vcc_lo, 0xc2ce8ed0, v9
	v_rndne_f32_e32 v108, v107
	v_fma_f32 v109, 0x3fb8aa3b, v9, -v107
	s_delay_alu instid0(VALU_DEP_2) | instskip(NEXT) | instid1(VALU_DEP_2)
	v_sub_f32_e32 v107, v107, v108
	v_fmac_f32_e32 v109, 0x32a5705f, v9
	v_cvt_i32_f32_e32 v108, v108
	s_delay_alu instid0(VALU_DEP_2) | instskip(NEXT) | instid1(VALU_DEP_1)
	v_add_f32_e32 v107, v107, v109
	v_exp_f32_e32 v107, v107
	s_waitcnt_depctr 0xfff
	v_ldexp_f32 v107, v107, v108
	s_delay_alu instid0(VALU_DEP_1) | instskip(SKIP_1) | instid1(VALU_DEP_2)
	v_cndmask_b32_e32 v107, 0, v107, vcc_lo
	v_cmp_nlt_f32_e32 vcc_lo, 0x42b17218, v9
	v_cndmask_b32_e32 v9, 0x7f800000, v107, vcc_lo
	s_delay_alu instid0(VALU_DEP_1) | instskip(NEXT) | instid1(VALU_DEP_1)
	v_add_f32_e32 v9, 1.0, v9
	v_rcp_f32_e32 v9, v9
	s_waitcnt_depctr 0xfff
	v_fma_f32 v107, v9, -2.0, 1.0
.LBB23_47:                              ;   in Loop: Header=BB23_17 Depth=1
	s_and_not1_saveexec_b32 s4, s4
; %bb.48:                               ;   in Loop: Header=BB23_17 Depth=1
	v_mul_f32_e32 v9, v97, v97
	s_delay_alu instid0(VALU_DEP_1) | instskip(NEXT) | instid1(VALU_DEP_1)
	v_fmaak_f32 v107, s18, v9, 0x3ca908c9
	v_fmaak_f32 v107, v9, v107, 0xbd5c1c4e
	s_delay_alu instid0(VALU_DEP_1) | instskip(NEXT) | instid1(VALU_DEP_1)
	v_fmaak_f32 v107, v9, v107, 0x3e088382
	v_fmaak_f32 v107, v9, v107, 0xbeaaaa99
	s_delay_alu instid0(VALU_DEP_1) | instskip(NEXT) | instid1(VALU_DEP_1)
	v_mul_f32_e64 v107, |v97|, v107
	v_fma_f32 v107, v9, v107, |v97|
; %bb.49:                               ;   in Loop: Header=BB23_17 Depth=1
	s_or_b32 exec_lo, exec_lo, s4
	v_cmp_ngt_f32_e64 s4, 0x3f200000, |v98|
                                        ; implicit-def: $vgpr108
	s_delay_alu instid0(VALU_DEP_1) | instskip(NEXT) | instid1(SALU_CYCLE_1)
	s_and_saveexec_b32 s19, s4
	s_xor_b32 s4, exec_lo, s19
	s_cbranch_execz .LBB23_51
; %bb.50:                               ;   in Loop: Header=BB23_17 Depth=1
	v_add_f32_e64 v9, |v98|, |v98|
	s_delay_alu instid0(VALU_DEP_1) | instskip(SKIP_1) | instid1(VALU_DEP_2)
	v_mul_f32_e32 v108, 0x3fb8aa3b, v9
	v_cmp_ngt_f32_e32 vcc_lo, 0xc2ce8ed0, v9
	v_rndne_f32_e32 v109, v108
	v_fma_f32 v110, 0x3fb8aa3b, v9, -v108
	s_delay_alu instid0(VALU_DEP_2) | instskip(NEXT) | instid1(VALU_DEP_2)
	v_sub_f32_e32 v108, v108, v109
	v_fmac_f32_e32 v110, 0x32a5705f, v9
	v_cvt_i32_f32_e32 v109, v109
	s_delay_alu instid0(VALU_DEP_2) | instskip(NEXT) | instid1(VALU_DEP_1)
	v_add_f32_e32 v108, v108, v110
	v_exp_f32_e32 v108, v108
	s_waitcnt_depctr 0xfff
	v_ldexp_f32 v108, v108, v109
	s_delay_alu instid0(VALU_DEP_1) | instskip(SKIP_1) | instid1(VALU_DEP_2)
	v_cndmask_b32_e32 v108, 0, v108, vcc_lo
	v_cmp_nlt_f32_e32 vcc_lo, 0x42b17218, v9
	v_cndmask_b32_e32 v9, 0x7f800000, v108, vcc_lo
	s_delay_alu instid0(VALU_DEP_1) | instskip(NEXT) | instid1(VALU_DEP_1)
	v_add_f32_e32 v9, 1.0, v9
	v_rcp_f32_e32 v9, v9
	s_waitcnt_depctr 0xfff
	v_fma_f32 v108, v9, -2.0, 1.0
.LBB23_51:                              ;   in Loop: Header=BB23_17 Depth=1
	s_and_not1_saveexec_b32 s4, s4
; %bb.52:                               ;   in Loop: Header=BB23_17 Depth=1
	v_mul_f32_e32 v9, v98, v98
	s_delay_alu instid0(VALU_DEP_1) | instskip(NEXT) | instid1(VALU_DEP_1)
	v_fmaak_f32 v108, s18, v9, 0x3ca908c9
	v_fmaak_f32 v108, v9, v108, 0xbd5c1c4e
	s_delay_alu instid0(VALU_DEP_1) | instskip(NEXT) | instid1(VALU_DEP_1)
	v_fmaak_f32 v108, v9, v108, 0x3e088382
	v_fmaak_f32 v108, v9, v108, 0xbeaaaa99
	s_delay_alu instid0(VALU_DEP_1) | instskip(NEXT) | instid1(VALU_DEP_1)
	v_mul_f32_e64 v108, |v98|, v108
	v_fma_f32 v108, v9, v108, |v98|
; %bb.53:                               ;   in Loop: Header=BB23_17 Depth=1
	s_or_b32 exec_lo, exec_lo, s4
	v_cvt_f32_f16_e32 v9, v4
	v_bfi_b32 v99, 0x7fffffff, v7, v99
	v_cvt_f32_f16_e32 v7, v5
	v_bfi_b32 v100, 0x7fffffff, v106, v100
	v_cvt_f32_f16_e32 v4, v104
	v_cvt_f32_f16_e32 v5, v105
	v_fma_f32 v99, s17, v99, v9
	v_bfi_b32 v97, 0x7fffffff, v107, v97
	v_fma_f32 v100, s17, v100, v7
	v_bfi_b32 v104, 0x7fffffff, v108, v98
	v_cmp_ngt_f32_e64 s4, 0x3f200000, |v93|
	v_add_f32_e32 v105, 0x40051340, v99
	v_fma_f32 v98, s17, v97, v4
	v_add_f32_e32 v106, 0x40051340, v100
	v_fma_f32 v97, s17, v104, v5
	s_delay_alu instid0(VALU_DEP_3) | instskip(NEXT) | instid1(VALU_DEP_3)
	v_add_f32_e32 v104, 0x40051340, v98
	v_max3_f32 v105, v90, v105, v106
	s_delay_alu instid0(VALU_DEP_3) | instskip(NEXT) | instid1(VALU_DEP_1)
	v_add_f32_e32 v106, 0x40051340, v97
	v_max3_f32 v104, v105, v104, v106
	ds_bpermute_b32 v105, v0, v104
	s_waitcnt lgkmcnt(0)
	v_max_f32_e32 v105, v105, v105
	s_delay_alu instid0(VALU_DEP_1) | instskip(SKIP_3) | instid1(VALU_DEP_1)
	v_max_f32_e32 v104, v104, v105
	ds_bpermute_b32 v105, v103, v104
	s_waitcnt lgkmcnt(0)
	v_max_f32_e32 v105, v105, v105
	v_max_f32_e32 v104, v104, v105
	ds_bpermute_b32 v105, v8, v104
	s_waitcnt lgkmcnt(0)
	v_max_f32_e32 v105, v105, v105
	s_delay_alu instid0(VALU_DEP_1) | instskip(SKIP_3) | instid1(VALU_DEP_1)
	v_max_f32_e32 v104, v104, v105
	ds_bpermute_b32 v105, v6, v104
	s_waitcnt lgkmcnt(0)
	v_max_f32_e32 v105, v105, v105
	v_max_f32_e32 v105, v104, v105
                                        ; implicit-def: $vgpr104
	ds_bpermute_b32 v106, v3, v105
	s_and_saveexec_b32 s19, s4
	s_delay_alu instid0(SALU_CYCLE_1)
	s_xor_b32 s4, exec_lo, s19
	s_cbranch_execz .LBB23_55
; %bb.54:                               ;   in Loop: Header=BB23_17 Depth=1
	v_add_f32_e64 v104, |v93|, |v93|
	s_delay_alu instid0(VALU_DEP_1) | instskip(SKIP_1) | instid1(VALU_DEP_2)
	v_mul_f32_e32 v107, 0x3fb8aa3b, v104
	v_cmp_ngt_f32_e32 vcc_lo, 0xc2ce8ed0, v104
	v_rndne_f32_e32 v108, v107
	v_fma_f32 v109, 0x3fb8aa3b, v104, -v107
	s_delay_alu instid0(VALU_DEP_2) | instskip(NEXT) | instid1(VALU_DEP_2)
	v_sub_f32_e32 v107, v107, v108
	v_fmac_f32_e32 v109, 0x32a5705f, v104
	v_cvt_i32_f32_e32 v108, v108
	s_delay_alu instid0(VALU_DEP_2) | instskip(NEXT) | instid1(VALU_DEP_1)
	v_add_f32_e32 v107, v107, v109
	v_exp_f32_e32 v107, v107
	s_waitcnt_depctr 0xfff
	v_ldexp_f32 v107, v107, v108
	s_delay_alu instid0(VALU_DEP_1) | instskip(SKIP_1) | instid1(VALU_DEP_2)
	v_cndmask_b32_e32 v107, 0, v107, vcc_lo
	v_cmp_nlt_f32_e32 vcc_lo, 0x42b17218, v104
	v_cndmask_b32_e32 v104, 0x7f800000, v107, vcc_lo
	s_delay_alu instid0(VALU_DEP_1) | instskip(NEXT) | instid1(VALU_DEP_1)
	v_add_f32_e32 v104, 1.0, v104
	v_rcp_f32_e32 v104, v104
	s_waitcnt_depctr 0xfff
	v_fma_f32 v104, v104, -2.0, 1.0
.LBB23_55:                              ;   in Loop: Header=BB23_17 Depth=1
	s_and_not1_saveexec_b32 s4, s4
; %bb.56:                               ;   in Loop: Header=BB23_17 Depth=1
	v_mul_f32_e32 v104, v93, v93
	s_delay_alu instid0(VALU_DEP_1) | instskip(NEXT) | instid1(VALU_DEP_1)
	v_fmaak_f32 v107, s18, v104, 0x3ca908c9
	v_fmaak_f32 v107, v104, v107, 0xbd5c1c4e
	s_delay_alu instid0(VALU_DEP_1) | instskip(NEXT) | instid1(VALU_DEP_1)
	v_fmaak_f32 v107, v104, v107, 0x3e088382
	v_fmaak_f32 v107, v104, v107, 0xbeaaaa99
	s_delay_alu instid0(VALU_DEP_1) | instskip(NEXT) | instid1(VALU_DEP_1)
	v_mul_f32_e64 v107, |v93|, v107
	v_fma_f32 v104, v104, v107, |v93|
; %bb.57:                               ;   in Loop: Header=BB23_17 Depth=1
	s_or_b32 exec_lo, exec_lo, s4
	v_cmp_ngt_f32_e64 s4, 0x3f200000, |v95|
                                        ; implicit-def: $vgpr107
	s_delay_alu instid0(VALU_DEP_1) | instskip(NEXT) | instid1(SALU_CYCLE_1)
	s_and_saveexec_b32 s19, s4
	s_xor_b32 s4, exec_lo, s19
	s_cbranch_execz .LBB23_59
; %bb.58:                               ;   in Loop: Header=BB23_17 Depth=1
	v_add_f32_e64 v107, |v95|, |v95|
	s_delay_alu instid0(VALU_DEP_1) | instskip(SKIP_1) | instid1(VALU_DEP_2)
	v_mul_f32_e32 v108, 0x3fb8aa3b, v107
	v_cmp_ngt_f32_e32 vcc_lo, 0xc2ce8ed0, v107
	v_rndne_f32_e32 v109, v108
	v_fma_f32 v110, 0x3fb8aa3b, v107, -v108
	s_delay_alu instid0(VALU_DEP_2) | instskip(NEXT) | instid1(VALU_DEP_2)
	v_sub_f32_e32 v108, v108, v109
	v_fmac_f32_e32 v110, 0x32a5705f, v107
	v_cvt_i32_f32_e32 v109, v109
	s_delay_alu instid0(VALU_DEP_2) | instskip(NEXT) | instid1(VALU_DEP_1)
	v_add_f32_e32 v108, v108, v110
	v_exp_f32_e32 v108, v108
	s_waitcnt_depctr 0xfff
	v_ldexp_f32 v108, v108, v109
	s_delay_alu instid0(VALU_DEP_1) | instskip(SKIP_1) | instid1(VALU_DEP_2)
	v_cndmask_b32_e32 v108, 0, v108, vcc_lo
	v_cmp_nlt_f32_e32 vcc_lo, 0x42b17218, v107
	v_cndmask_b32_e32 v107, 0x7f800000, v108, vcc_lo
	s_delay_alu instid0(VALU_DEP_1) | instskip(NEXT) | instid1(VALU_DEP_1)
	v_add_f32_e32 v107, 1.0, v107
	v_rcp_f32_e32 v107, v107
	s_waitcnt_depctr 0xfff
	v_fma_f32 v107, v107, -2.0, 1.0
.LBB23_59:                              ;   in Loop: Header=BB23_17 Depth=1
	s_and_not1_saveexec_b32 s4, s4
; %bb.60:                               ;   in Loop: Header=BB23_17 Depth=1
	v_mul_f32_e32 v107, v95, v95
	s_delay_alu instid0(VALU_DEP_1) | instskip(NEXT) | instid1(VALU_DEP_1)
	v_fmaak_f32 v108, s18, v107, 0x3ca908c9
	v_fmaak_f32 v108, v107, v108, 0xbd5c1c4e
	s_delay_alu instid0(VALU_DEP_1) | instskip(NEXT) | instid1(VALU_DEP_1)
	v_fmaak_f32 v108, v107, v108, 0x3e088382
	v_fmaak_f32 v108, v107, v108, 0xbeaaaa99
	s_delay_alu instid0(VALU_DEP_1) | instskip(NEXT) | instid1(VALU_DEP_1)
	v_mul_f32_e64 v108, |v95|, v108
	v_fma_f32 v107, v107, v108, |v95|
; %bb.61:                               ;   in Loop: Header=BB23_17 Depth=1
	s_or_b32 exec_lo, exec_lo, s4
	v_cmp_ngt_f32_e64 s4, 0x3f200000, |v96|
                                        ; implicit-def: $vgpr108
	s_delay_alu instid0(VALU_DEP_1) | instskip(NEXT) | instid1(SALU_CYCLE_1)
	s_and_saveexec_b32 s19, s4
	s_xor_b32 s4, exec_lo, s19
	s_cbranch_execz .LBB23_63
; %bb.62:                               ;   in Loop: Header=BB23_17 Depth=1
	v_add_f32_e64 v108, |v96|, |v96|
	s_delay_alu instid0(VALU_DEP_1) | instskip(SKIP_1) | instid1(VALU_DEP_2)
	v_mul_f32_e32 v109, 0x3fb8aa3b, v108
	v_cmp_ngt_f32_e32 vcc_lo, 0xc2ce8ed0, v108
	v_rndne_f32_e32 v110, v109
	v_fma_f32 v111, 0x3fb8aa3b, v108, -v109
	s_delay_alu instid0(VALU_DEP_2) | instskip(NEXT) | instid1(VALU_DEP_2)
	v_sub_f32_e32 v109, v109, v110
	v_fmac_f32_e32 v111, 0x32a5705f, v108
	v_cvt_i32_f32_e32 v110, v110
	s_delay_alu instid0(VALU_DEP_2) | instskip(NEXT) | instid1(VALU_DEP_1)
	v_add_f32_e32 v109, v109, v111
	v_exp_f32_e32 v109, v109
	s_waitcnt_depctr 0xfff
	v_ldexp_f32 v109, v109, v110
	s_delay_alu instid0(VALU_DEP_1) | instskip(SKIP_1) | instid1(VALU_DEP_2)
	v_cndmask_b32_e32 v109, 0, v109, vcc_lo
	v_cmp_nlt_f32_e32 vcc_lo, 0x42b17218, v108
	v_cndmask_b32_e32 v108, 0x7f800000, v109, vcc_lo
	s_delay_alu instid0(VALU_DEP_1) | instskip(NEXT) | instid1(VALU_DEP_1)
	v_add_f32_e32 v108, 1.0, v108
	v_rcp_f32_e32 v108, v108
	s_waitcnt_depctr 0xfff
	v_fma_f32 v108, v108, -2.0, 1.0
.LBB23_63:                              ;   in Loop: Header=BB23_17 Depth=1
	s_and_not1_saveexec_b32 s4, s4
; %bb.64:                               ;   in Loop: Header=BB23_17 Depth=1
	v_mul_f32_e32 v108, v96, v96
	s_delay_alu instid0(VALU_DEP_1) | instskip(NEXT) | instid1(VALU_DEP_1)
	v_fmaak_f32 v109, s18, v108, 0x3ca908c9
	v_fmaak_f32 v109, v108, v109, 0xbd5c1c4e
	s_delay_alu instid0(VALU_DEP_1) | instskip(NEXT) | instid1(VALU_DEP_1)
	v_fmaak_f32 v109, v108, v109, 0x3e088382
	v_fmaak_f32 v109, v108, v109, 0xbeaaaa99
	s_delay_alu instid0(VALU_DEP_1) | instskip(NEXT) | instid1(VALU_DEP_1)
	v_mul_f32_e64 v109, |v96|, v109
	v_fma_f32 v108, v108, v109, |v96|
; %bb.65:                               ;   in Loop: Header=BB23_17 Depth=1
	s_or_b32 exec_lo, exec_lo, s4
	v_cmp_ngt_f32_e64 s4, 0x3f200000, |v94|
                                        ; implicit-def: $vgpr109
	s_delay_alu instid0(VALU_DEP_1) | instskip(NEXT) | instid1(SALU_CYCLE_1)
	s_and_saveexec_b32 s19, s4
	s_xor_b32 s4, exec_lo, s19
	s_cbranch_execz .LBB23_67
; %bb.66:                               ;   in Loop: Header=BB23_17 Depth=1
	v_add_f32_e64 v109, |v94|, |v94|
	s_delay_alu instid0(VALU_DEP_1) | instskip(SKIP_1) | instid1(VALU_DEP_2)
	v_mul_f32_e32 v110, 0x3fb8aa3b, v109
	v_cmp_ngt_f32_e32 vcc_lo, 0xc2ce8ed0, v109
	v_rndne_f32_e32 v111, v110
	v_fma_f32 v112, 0x3fb8aa3b, v109, -v110
	s_delay_alu instid0(VALU_DEP_2) | instskip(NEXT) | instid1(VALU_DEP_2)
	v_sub_f32_e32 v110, v110, v111
	v_fmac_f32_e32 v112, 0x32a5705f, v109
	v_cvt_i32_f32_e32 v111, v111
	s_delay_alu instid0(VALU_DEP_2) | instskip(NEXT) | instid1(VALU_DEP_1)
	v_add_f32_e32 v110, v110, v112
	v_exp_f32_e32 v110, v110
	s_waitcnt_depctr 0xfff
	v_ldexp_f32 v110, v110, v111
	s_delay_alu instid0(VALU_DEP_1) | instskip(SKIP_1) | instid1(VALU_DEP_2)
	v_cndmask_b32_e32 v110, 0, v110, vcc_lo
	v_cmp_nlt_f32_e32 vcc_lo, 0x42b17218, v109
	v_cndmask_b32_e32 v109, 0x7f800000, v110, vcc_lo
	s_delay_alu instid0(VALU_DEP_1) | instskip(NEXT) | instid1(VALU_DEP_1)
	v_add_f32_e32 v109, 1.0, v109
	v_rcp_f32_e32 v109, v109
	s_waitcnt_depctr 0xfff
	v_fma_f32 v109, v109, -2.0, 1.0
.LBB23_67:                              ;   in Loop: Header=BB23_17 Depth=1
	s_and_not1_saveexec_b32 s4, s4
; %bb.68:                               ;   in Loop: Header=BB23_17 Depth=1
	v_mul_f32_e32 v109, v94, v94
	s_delay_alu instid0(VALU_DEP_1) | instskip(NEXT) | instid1(VALU_DEP_1)
	v_fmaak_f32 v110, s18, v109, 0x3ca908c9
	v_fmaak_f32 v110, v109, v110, 0xbd5c1c4e
	s_delay_alu instid0(VALU_DEP_1) | instskip(NEXT) | instid1(VALU_DEP_1)
	v_fmaak_f32 v110, v109, v110, 0x3e088382
	v_fmaak_f32 v110, v109, v110, 0xbeaaaa99
	s_delay_alu instid0(VALU_DEP_1) | instskip(NEXT) | instid1(VALU_DEP_1)
	v_mul_f32_e64 v110, |v94|, v110
	v_fma_f32 v109, v109, v110, |v94|
; %bb.69:                               ;   in Loop: Header=BB23_17 Depth=1
	s_or_b32 exec_lo, exec_lo, s4
	v_bfi_b32 v93, 0x7fffffff, v104, v93
	v_bfi_b32 v95, 0x7fffffff, v107, v95
	;; [unrolled: 1-line block ×3, first 2 shown]
	v_cmp_ngt_f32_e64 s4, 0x3f200000, |v83|
	s_delay_alu instid0(VALU_DEP_4) | instskip(NEXT) | instid1(VALU_DEP_4)
	v_fma_f32 v104, s17, v93, v9
	v_fma_f32 v96, s17, v95, v7
	v_bfi_b32 v93, 0x7fffffff, v109, v94
	v_fma_f32 v95, s17, v107, v4
	s_delay_alu instid0(VALU_DEP_3) | instskip(NEXT) | instid1(VALU_DEP_3)
	v_add_f32_e32 v108, 0x40051340, v96
	v_fma_f32 v94, s17, v93, v5
	s_delay_alu instid0(VALU_DEP_3) | instskip(SKIP_1) | instid1(VALU_DEP_1)
	v_add_f32_e32 v93, 0x40051340, v95
	v_add_f32_e32 v107, 0x40051340, v104
	v_max3_f32 v107, v88, v107, v108
	s_delay_alu instid0(VALU_DEP_4) | instskip(NEXT) | instid1(VALU_DEP_1)
	v_add_f32_e32 v108, 0x40051340, v94
	v_max3_f32 v93, v107, v93, v108
                                        ; implicit-def: $vgpr108
	ds_bpermute_b32 v107, v0, v93
	s_waitcnt lgkmcnt(0)
	v_max_f32_e32 v107, v107, v107
	s_delay_alu instid0(VALU_DEP_1) | instskip(SKIP_3) | instid1(VALU_DEP_1)
	v_max_f32_e32 v93, v93, v107
	ds_bpermute_b32 v107, v103, v93
	s_waitcnt lgkmcnt(0)
	v_max_f32_e32 v107, v107, v107
	v_max_f32_e32 v93, v93, v107
	ds_bpermute_b32 v107, v8, v93
	s_waitcnt lgkmcnt(0)
	v_max_f32_e32 v107, v107, v107
	s_delay_alu instid0(VALU_DEP_1) | instskip(SKIP_3) | instid1(VALU_DEP_1)
	v_max_f32_e32 v93, v93, v107
	ds_bpermute_b32 v107, v6, v93
	s_waitcnt lgkmcnt(0)
	v_max_f32_e32 v107, v107, v107
	v_max_f32_e32 v93, v93, v107
	ds_bpermute_b32 v107, v3, v93
	s_and_saveexec_b32 s19, s4
	s_delay_alu instid0(SALU_CYCLE_1)
	s_xor_b32 s4, exec_lo, s19
	s_cbranch_execz .LBB23_71
; %bb.70:                               ;   in Loop: Header=BB23_17 Depth=1
	v_add_f32_e64 v108, |v83|, |v83|
	s_delay_alu instid0(VALU_DEP_1) | instskip(SKIP_1) | instid1(VALU_DEP_2)
	v_mul_f32_e32 v109, 0x3fb8aa3b, v108
	v_cmp_ngt_f32_e32 vcc_lo, 0xc2ce8ed0, v108
	v_rndne_f32_e32 v110, v109
	v_fma_f32 v111, 0x3fb8aa3b, v108, -v109
	s_delay_alu instid0(VALU_DEP_2) | instskip(NEXT) | instid1(VALU_DEP_2)
	v_sub_f32_e32 v109, v109, v110
	v_fmac_f32_e32 v111, 0x32a5705f, v108
	v_cvt_i32_f32_e32 v110, v110
	s_delay_alu instid0(VALU_DEP_2) | instskip(NEXT) | instid1(VALU_DEP_1)
	v_add_f32_e32 v109, v109, v111
	v_exp_f32_e32 v109, v109
	s_waitcnt_depctr 0xfff
	v_ldexp_f32 v109, v109, v110
	s_delay_alu instid0(VALU_DEP_1) | instskip(SKIP_1) | instid1(VALU_DEP_2)
	v_cndmask_b32_e32 v109, 0, v109, vcc_lo
	v_cmp_nlt_f32_e32 vcc_lo, 0x42b17218, v108
	v_cndmask_b32_e32 v108, 0x7f800000, v109, vcc_lo
	s_delay_alu instid0(VALU_DEP_1) | instskip(NEXT) | instid1(VALU_DEP_1)
	v_add_f32_e32 v108, 1.0, v108
	v_rcp_f32_e32 v108, v108
	s_waitcnt_depctr 0xfff
	v_fma_f32 v108, v108, -2.0, 1.0
.LBB23_71:                              ;   in Loop: Header=BB23_17 Depth=1
	s_and_not1_saveexec_b32 s4, s4
; %bb.72:                               ;   in Loop: Header=BB23_17 Depth=1
	v_mul_f32_e32 v108, v83, v83
	s_delay_alu instid0(VALU_DEP_1) | instskip(NEXT) | instid1(VALU_DEP_1)
	v_fmaak_f32 v109, s18, v108, 0x3ca908c9
	v_fmaak_f32 v109, v108, v109, 0xbd5c1c4e
	s_delay_alu instid0(VALU_DEP_1) | instskip(NEXT) | instid1(VALU_DEP_1)
	v_fmaak_f32 v109, v108, v109, 0x3e088382
	v_fmaak_f32 v109, v108, v109, 0xbeaaaa99
	s_delay_alu instid0(VALU_DEP_1) | instskip(NEXT) | instid1(VALU_DEP_1)
	v_mul_f32_e64 v109, |v83|, v109
	v_fma_f32 v108, v108, v109, |v83|
; %bb.73:                               ;   in Loop: Header=BB23_17 Depth=1
	s_or_b32 exec_lo, exec_lo, s4
	v_cmp_ngt_f32_e64 s4, 0x3f200000, |v84|
                                        ; implicit-def: $vgpr109
	s_delay_alu instid0(VALU_DEP_1) | instskip(NEXT) | instid1(SALU_CYCLE_1)
	s_and_saveexec_b32 s19, s4
	s_xor_b32 s4, exec_lo, s19
	s_cbranch_execz .LBB23_75
; %bb.74:                               ;   in Loop: Header=BB23_17 Depth=1
	v_add_f32_e64 v109, |v84|, |v84|
	s_delay_alu instid0(VALU_DEP_1) | instskip(SKIP_1) | instid1(VALU_DEP_2)
	v_mul_f32_e32 v110, 0x3fb8aa3b, v109
	v_cmp_ngt_f32_e32 vcc_lo, 0xc2ce8ed0, v109
	v_rndne_f32_e32 v111, v110
	v_fma_f32 v112, 0x3fb8aa3b, v109, -v110
	s_delay_alu instid0(VALU_DEP_2) | instskip(NEXT) | instid1(VALU_DEP_2)
	v_sub_f32_e32 v110, v110, v111
	v_fmac_f32_e32 v112, 0x32a5705f, v109
	v_cvt_i32_f32_e32 v111, v111
	s_delay_alu instid0(VALU_DEP_2) | instskip(NEXT) | instid1(VALU_DEP_1)
	v_add_f32_e32 v110, v110, v112
	v_exp_f32_e32 v110, v110
	s_waitcnt_depctr 0xfff
	v_ldexp_f32 v110, v110, v111
	s_delay_alu instid0(VALU_DEP_1) | instskip(SKIP_1) | instid1(VALU_DEP_2)
	v_cndmask_b32_e32 v110, 0, v110, vcc_lo
	v_cmp_nlt_f32_e32 vcc_lo, 0x42b17218, v109
	v_cndmask_b32_e32 v109, 0x7f800000, v110, vcc_lo
	s_delay_alu instid0(VALU_DEP_1) | instskip(NEXT) | instid1(VALU_DEP_1)
	v_add_f32_e32 v109, 1.0, v109
	v_rcp_f32_e32 v109, v109
	s_waitcnt_depctr 0xfff
	v_fma_f32 v109, v109, -2.0, 1.0
.LBB23_75:                              ;   in Loop: Header=BB23_17 Depth=1
	s_and_not1_saveexec_b32 s4, s4
; %bb.76:                               ;   in Loop: Header=BB23_17 Depth=1
	v_mul_f32_e32 v109, v84, v84
	s_delay_alu instid0(VALU_DEP_1) | instskip(NEXT) | instid1(VALU_DEP_1)
	v_fmaak_f32 v110, s18, v109, 0x3ca908c9
	v_fmaak_f32 v110, v109, v110, 0xbd5c1c4e
	s_delay_alu instid0(VALU_DEP_1) | instskip(NEXT) | instid1(VALU_DEP_1)
	v_fmaak_f32 v110, v109, v110, 0x3e088382
	v_fmaak_f32 v110, v109, v110, 0xbeaaaa99
	s_delay_alu instid0(VALU_DEP_1) | instskip(NEXT) | instid1(VALU_DEP_1)
	v_mul_f32_e64 v110, |v84|, v110
	v_fma_f32 v109, v109, v110, |v84|
; %bb.77:                               ;   in Loop: Header=BB23_17 Depth=1
	s_or_b32 exec_lo, exec_lo, s4
	v_cmp_ngt_f32_e64 s4, 0x3f200000, |v82|
                                        ; implicit-def: $vgpr110
	s_delay_alu instid0(VALU_DEP_1) | instskip(NEXT) | instid1(SALU_CYCLE_1)
	s_and_saveexec_b32 s19, s4
	s_xor_b32 s4, exec_lo, s19
	s_cbranch_execz .LBB23_79
; %bb.78:                               ;   in Loop: Header=BB23_17 Depth=1
	v_add_f32_e64 v110, |v82|, |v82|
	s_delay_alu instid0(VALU_DEP_1) | instskip(SKIP_1) | instid1(VALU_DEP_2)
	v_mul_f32_e32 v111, 0x3fb8aa3b, v110
	v_cmp_ngt_f32_e32 vcc_lo, 0xc2ce8ed0, v110
	v_rndne_f32_e32 v112, v111
	v_fma_f32 v113, 0x3fb8aa3b, v110, -v111
	s_delay_alu instid0(VALU_DEP_2) | instskip(NEXT) | instid1(VALU_DEP_2)
	v_sub_f32_e32 v111, v111, v112
	v_fmac_f32_e32 v113, 0x32a5705f, v110
	v_cvt_i32_f32_e32 v112, v112
	s_delay_alu instid0(VALU_DEP_2) | instskip(NEXT) | instid1(VALU_DEP_1)
	v_add_f32_e32 v111, v111, v113
	v_exp_f32_e32 v111, v111
	s_waitcnt_depctr 0xfff
	v_ldexp_f32 v111, v111, v112
	s_delay_alu instid0(VALU_DEP_1) | instskip(SKIP_1) | instid1(VALU_DEP_2)
	v_cndmask_b32_e32 v111, 0, v111, vcc_lo
	v_cmp_nlt_f32_e32 vcc_lo, 0x42b17218, v110
	v_cndmask_b32_e32 v110, 0x7f800000, v111, vcc_lo
	s_delay_alu instid0(VALU_DEP_1) | instskip(NEXT) | instid1(VALU_DEP_1)
	v_add_f32_e32 v110, 1.0, v110
	v_rcp_f32_e32 v110, v110
	s_waitcnt_depctr 0xfff
	v_fma_f32 v110, v110, -2.0, 1.0
.LBB23_79:                              ;   in Loop: Header=BB23_17 Depth=1
	s_and_not1_saveexec_b32 s4, s4
; %bb.80:                               ;   in Loop: Header=BB23_17 Depth=1
	v_mul_f32_e32 v110, v82, v82
	s_delay_alu instid0(VALU_DEP_1) | instskip(NEXT) | instid1(VALU_DEP_1)
	v_fmaak_f32 v111, s18, v110, 0x3ca908c9
	v_fmaak_f32 v111, v110, v111, 0xbd5c1c4e
	s_delay_alu instid0(VALU_DEP_1) | instskip(NEXT) | instid1(VALU_DEP_1)
	v_fmaak_f32 v111, v110, v111, 0x3e088382
	v_fmaak_f32 v111, v110, v111, 0xbeaaaa99
	s_delay_alu instid0(VALU_DEP_1) | instskip(NEXT) | instid1(VALU_DEP_1)
	v_mul_f32_e64 v111, |v82|, v111
	v_fma_f32 v110, v110, v111, |v82|
; %bb.81:                               ;   in Loop: Header=BB23_17 Depth=1
	s_or_b32 exec_lo, exec_lo, s4
	v_cmp_ngt_f32_e64 s4, 0x3f200000, |v81|
                                        ; implicit-def: $vgpr111
	s_delay_alu instid0(VALU_DEP_1) | instskip(NEXT) | instid1(SALU_CYCLE_1)
	s_and_saveexec_b32 s19, s4
	s_xor_b32 s4, exec_lo, s19
	s_cbranch_execz .LBB23_83
; %bb.82:                               ;   in Loop: Header=BB23_17 Depth=1
	v_add_f32_e64 v111, |v81|, |v81|
	s_delay_alu instid0(VALU_DEP_1) | instskip(SKIP_1) | instid1(VALU_DEP_2)
	v_mul_f32_e32 v112, 0x3fb8aa3b, v111
	v_cmp_ngt_f32_e32 vcc_lo, 0xc2ce8ed0, v111
	v_rndne_f32_e32 v113, v112
	v_fma_f32 v114, 0x3fb8aa3b, v111, -v112
	s_delay_alu instid0(VALU_DEP_2) | instskip(NEXT) | instid1(VALU_DEP_2)
	v_sub_f32_e32 v112, v112, v113
	v_fmac_f32_e32 v114, 0x32a5705f, v111
	v_cvt_i32_f32_e32 v113, v113
	s_delay_alu instid0(VALU_DEP_2) | instskip(NEXT) | instid1(VALU_DEP_1)
	v_add_f32_e32 v112, v112, v114
	v_exp_f32_e32 v112, v112
	s_waitcnt_depctr 0xfff
	v_ldexp_f32 v112, v112, v113
	s_delay_alu instid0(VALU_DEP_1) | instskip(SKIP_1) | instid1(VALU_DEP_2)
	v_cndmask_b32_e32 v112, 0, v112, vcc_lo
	v_cmp_nlt_f32_e32 vcc_lo, 0x42b17218, v111
	v_cndmask_b32_e32 v111, 0x7f800000, v112, vcc_lo
	s_delay_alu instid0(VALU_DEP_1) | instskip(NEXT) | instid1(VALU_DEP_1)
	v_add_f32_e32 v111, 1.0, v111
	v_rcp_f32_e32 v111, v111
	s_waitcnt_depctr 0xfff
	v_fma_f32 v111, v111, -2.0, 1.0
.LBB23_83:                              ;   in Loop: Header=BB23_17 Depth=1
	s_and_not1_saveexec_b32 s4, s4
; %bb.84:                               ;   in Loop: Header=BB23_17 Depth=1
	v_mul_f32_e32 v111, v81, v81
	s_delay_alu instid0(VALU_DEP_1) | instskip(NEXT) | instid1(VALU_DEP_1)
	v_fmaak_f32 v112, s18, v111, 0x3ca908c9
	v_fmaak_f32 v112, v111, v112, 0xbd5c1c4e
	s_delay_alu instid0(VALU_DEP_1) | instskip(NEXT) | instid1(VALU_DEP_1)
	v_fmaak_f32 v112, v111, v112, 0x3e088382
	v_fmaak_f32 v112, v111, v112, 0xbeaaaa99
	s_delay_alu instid0(VALU_DEP_1) | instskip(NEXT) | instid1(VALU_DEP_1)
	v_mul_f32_e64 v112, |v81|, v112
	v_fma_f32 v111, v111, v112, |v81|
; %bb.85:                               ;   in Loop: Header=BB23_17 Depth=1
	s_or_b32 exec_lo, exec_lo, s4
	v_bfi_b32 v83, 0x7fffffff, v108, v83
	v_bfi_b32 v84, 0x7fffffff, v109, v84
	s_delay_alu instid0(VALU_DEP_3)
	v_bfi_b32 v81, 0x7fffffff, v111, v81
	v_bfi_b32 v82, 0x7fffffff, v110, v82
	s_mul_hi_i32 s21, s13, s10
	v_fmac_f32_e32 v9, s17, v83
	s_mul_i32 s20, s13, s10
	v_fmac_f32_e32 v5, s17, v81
	v_dual_fmac_f32 v7, s17, v84 :: v_dual_fmac_f32 v4, s17, v82
	s_delay_alu instid0(VALU_DEP_3) | instskip(NEXT) | instid1(VALU_DEP_3)
	v_dual_add_f32 v81, 0x40051340, v9 :: v_dual_max_f32 v106, v106, v106
	v_add_f32_e32 v84, 0x40051340, v5
	s_delay_alu instid0(VALU_DEP_3) | instskip(SKIP_3) | instid1(VALU_DEP_1)
	v_dual_add_f32 v82, 0x40051340, v7 :: v_dual_add_f32 v83, 0x40051340, v4
	s_lshl_b64 s[20:21], s[20:21], 2
	s_waitcnt lgkmcnt(0)
	s_add_u32 s4, s11, s20
	v_max3_f32 v81, v86, v81, v82
	v_dual_max_f32 v82, v107, v107 :: v_dual_max_f32 v107, v93, v93
	s_addc_u32 s19, s16, s21
	s_barrier
	s_delay_alu instid0(VALU_DEP_2)
	v_max3_f32 v81, v81, v83, v84
	v_dual_max_f32 v84, v2, v2 :: v_dual_max_f32 v83, v105, v105
	v_max_f32_e32 v2, v107, v82
	v_add_co_u32 v82, vcc_lo, s4, v27
	ds_bpermute_b32 v108, v0, v81
	v_max_f32_e32 v105, v1, v1
	v_max_f32_e32 v1, v83, v106
	v_add_co_ci_u32_e32 v83, vcc_lo, s19, v28, vcc_lo
	s_waitcnt lgkmcnt(0)
	buffer_gl0_inv
	v_sub_f32_e32 v96, v96, v2
	v_dual_max_f32 v106, v108, v108 :: v_dual_lshlrev_b32 v93, 2, v31
	v_max_f32_e32 v0, v105, v84
	v_add_co_u32 v84, vcc_lo, s4, v29
	s_delay_alu instid0(VALU_DEP_3) | instskip(SKIP_1) | instid1(VALU_DEP_4)
	v_max_f32_e32 v120, v81, v106
	v_add_co_ci_u32_e32 v105, vcc_lo, s19, v30, vcc_lo
	v_sub_f32_e32 v117, v10, v0
	v_add_co_u32 v10, vcc_lo, v82, v93
	ds_bpermute_b32 v103, v103, v120
	v_sub_f32_e32 v92, v92, v0
	v_dual_sub_f32 v118, v11, v0 :: v_dual_sub_f32 v123, v98, v1
	v_add_co_ci_u32_e32 v11, vcc_lo, 0, v83, vcc_lo
	v_add_co_u32 v81, vcc_lo, v84, v93
	s_delay_alu instid0(VALU_DEP_3)
	v_dual_mul_f32 v83, 0x3fb8aa3b, v117 :: v_dual_mul_f32 v84, 0x3fb8aa3b, v118
	v_add_co_ci_u32_e32 v82, vcc_lo, 0, v105, vcc_lo
	v_dual_sub_f32 v119, v101, v0 :: v_dual_sub_f32 v122, v100, v1
	v_dual_sub_f32 v102, v102, v0 :: v_dual_sub_f32 v121, v99, v1
	s_clause 0x3
	global_load_b128 v[98:101], v[10:11], off
	global_load_b128 v[105:108], v[10:11], off offset:512
	global_load_b128 v[109:112], v[81:82], off
	global_load_b128 v[113:116], v[81:82], off offset:512
	v_fma_f32 v10, 0x3fb8aa3b, v117, -v83
	v_fma_f32 v82, 0x3fb8aa3b, v118, -v84
	v_dual_mul_f32 v124, 0x3fb8aa3b, v119 :: v_dual_mul_f32 v125, 0x3fb8aa3b, v102
	s_waitcnt lgkmcnt(0)
	s_delay_alu instid0(VALU_DEP_3) | instskip(NEXT) | instid1(VALU_DEP_3)
	v_dual_max_f32 v81, v103, v103 :: v_dual_fmac_f32 v10, 0x32a5705f, v117
	v_fmac_f32_e32 v82, 0x32a5705f, v118
	v_dual_mul_f32 v126, 0x3fb8aa3b, v92 :: v_dual_mul_f32 v127, 0x3fb8aa3b, v121
	s_delay_alu instid0(VALU_DEP_3)
	v_dual_max_f32 v81, v120, v81 :: v_dual_mul_f32 v128, 0x3fb8aa3b, v122
	v_mul_f32_e32 v129, 0x3fb8aa3b, v123
	v_fma_f32 v130, 0x3fb8aa3b, v119, -v124
	v_rndne_f32_e32 v131, v124
	ds_bpermute_b32 v8, v8, v81
	v_fma_f32 v133, 0x3fb8aa3b, v92, -v126
	v_fma_f32 v135, 0x3fb8aa3b, v121, -v127
	;; [unrolled: 1-line block ×3, first 2 shown]
	v_fmac_f32_e32 v130, 0x32a5705f, v119
	s_delay_alu instid0(VALU_DEP_4) | instskip(NEXT) | instid1(VALU_DEP_4)
	v_dual_sub_f32 v124, v124, v131 :: v_dual_fmac_f32 v133, 0x32a5705f, v92
	v_fmac_f32_e32 v135, 0x32a5705f, v121
	v_rndne_f32_e32 v11, v83
	v_rndne_f32_e32 v103, v84
	v_fma_f32 v120, 0x3fb8aa3b, v102, -v125
	v_rndne_f32_e32 v132, v125
	v_fma_f32 v139, 0x3fb8aa3b, v123, -v129
	v_sub_f32_e32 v83, v83, v11
	v_fmac_f32_e32 v137, 0x32a5705f, v122
	v_fmac_f32_e32 v120, 0x32a5705f, v102
	v_dual_sub_f32 v84, v84, v103 :: v_dual_sub_f32 v125, v125, v132
	s_delay_alu instid0(VALU_DEP_4)
	v_add_f32_e32 v10, v83, v10
	v_cvt_i32_f32_e32 v11, v11
	s_waitcnt lgkmcnt(0)
	v_max_f32_e32 v8, v8, v8
	v_cmp_ngt_f32_e32 vcc_lo, 0xc2ce8ed0, v117
	v_add_f32_e32 v83, v125, v120
	v_exp_f32_e32 v10, v10
	v_rndne_f32_e32 v134, v126
	v_dual_max_f32 v8, v81, v8 :: v_dual_add_f32 v81, v124, v130
	v_cvt_i32_f32_e32 v103, v103
	v_rndne_f32_e32 v136, v127
	s_delay_alu instid0(VALU_DEP_4)
	v_sub_f32_e32 v126, v126, v134
	ds_bpermute_b32 v6, v6, v8
	v_exp_f32_e32 v81, v81
	v_cvt_i32_f32_e32 v131, v131
	v_sub_f32_e32 v127, v127, v136
	v_ldexp_f32 v10, v10, v11
	v_exp_f32_e32 v83, v83
	v_cvt_i32_f32_e32 v124, v132
	v_cvt_i32_f32_e32 v125, v134
	v_rndne_f32_e32 v138, v128
	v_rndne_f32_e32 v140, v129
	s_or_b32 s4, s13, 16
	v_ldexp_f32 v81, v81, v131
	s_mul_hi_i32 s21, s4, s10
	s_mul_i32 s20, s4, s10
	v_fmac_f32_e32 v139, 0x32a5705f, v123
	s_lshl_b64 s[20:21], s[20:21], 2
	s_delay_alu instid0(SALU_CYCLE_1) | instskip(SKIP_3) | instid1(VALU_DEP_1)
	s_add_u32 s4, s11, s20
	s_addc_u32 s19, s16, s21
	s_waitcnt lgkmcnt(0)
	v_max_f32_e32 v6, v6, v6
	v_max_f32_e32 v6, v8, v6
	ds_bpermute_b32 v3, v3, v6
	v_cndmask_b32_e32 v10, 0, v10, vcc_lo
	v_cmp_ngt_f32_e32 vcc_lo, 0xc2ce8ed0, v118
	v_add_f32_e32 v82, v84, v82
	s_delay_alu instid0(VALU_DEP_1)
	v_exp_f32_e32 v82, v82
	s_waitcnt_depctr 0xfff
	v_ldexp_f32 v11, v82, v103
	v_ldexp_f32 v82, v83, v124
	s_waitcnt lgkmcnt(0)
	v_max_f32_e32 v3, v3, v3
	s_delay_alu instid0(VALU_DEP_3) | instskip(SKIP_2) | instid1(VALU_DEP_4)
	v_dual_cndmask_b32 v11, 0, v11 :: v_dual_add_f32 v84, v126, v133
	v_cmp_ngt_f32_e32 vcc_lo, 0xc2ce8ed0, v119
	v_add_f32_e32 v120, v127, v135
	v_dual_max_f32 v3, v6, v3 :: v_dual_sub_f32 v6, v97, v1
	s_delay_alu instid0(VALU_DEP_4)
	v_exp_f32_e32 v84, v84
	v_cndmask_b32_e32 v81, 0, v81, vcc_lo
	v_cmp_ngt_f32_e32 vcc_lo, 0xc2ce8ed0, v102
	v_exp_f32_e32 v120, v120
	v_sub_f32_e32 v4, v4, v3
	v_sub_f32_e32 v9, v9, v3
	v_dual_sub_f32 v7, v7, v3 :: v_dual_cndmask_b32 v82, 0, v82
	v_cmp_ngt_f32_e32 vcc_lo, 0xc2ce8ed0, v92
	v_sub_f32_e32 v5, v5, v3
	s_delay_alu instid0(TRANS32_DEP_2) | instskip(NEXT) | instid1(VALU_DEP_1)
	v_ldexp_f32 v83, v84, v125
	v_cndmask_b32_e32 v8, 0, v83, vcc_lo
	v_cmp_nlt_f32_e32 vcc_lo, 0x42b17218, v117
	v_cndmask_b32_e32 v10, 0x7f800000, v10, vcc_lo
	v_cmp_nlt_f32_e32 vcc_lo, 0x42b17218, v118
	s_delay_alu instid0(VALU_DEP_2) | instskip(SKIP_3) | instid1(VALU_DEP_3)
	v_cvt_f16_f32_e32 v84, v10
	v_cndmask_b32_e32 v11, 0x7f800000, v11, vcc_lo
	v_cmp_nlt_f32_e32 vcc_lo, 0x42b17218, v119
	v_sub_f32_e32 v126, v128, v138
	v_dual_add_f32 v10, v10, v11 :: v_dual_cndmask_b32 v81, 0x7f800000, v81
	v_cmp_nlt_f32_e32 vcc_lo, 0x42b17218, v92
	v_cvt_f16_f32_e32 v11, v11
	v_cndmask_b32_e32 v8, 0x7f800000, v8, vcc_lo
	v_cmp_nlt_f32_e32 vcc_lo, 0x42b17218, v102
	v_cvt_f16_f32_e32 v102, v81
	s_delay_alu instid0(VALU_DEP_3) | instskip(SKIP_2) | instid1(VALU_DEP_3)
	v_cvt_f16_f32_e32 v92, v8
	v_cndmask_b32_e32 v82, 0x7f800000, v82, vcc_lo
	v_cmp_ngt_f32_e32 vcc_lo, 0xc2ce8ed0, v121
	v_pk_mul_f16 v117, v92, v76 op_sel_hi:[0,1]
	v_pk_mul_f16 v119, v92, v75 op_sel_hi:[0,1]
	v_dual_mul_f32 v75, 0x3fb8aa3b, v6 :: v_dual_sub_f32 v76, v90, v1
	v_add_f32_e32 v10, v81, v10
	v_cvt_f16_f32_e32 v103, v82
	v_pk_mul_f16 v118, v92, v74 op_sel_hi:[0,1]
	s_delay_alu instid0(VALU_DEP_4) | instskip(NEXT) | instid1(VALU_DEP_4)
	v_rndne_f32_e32 v83, v75
	v_dual_sub_f32 v74, v129, v140 :: v_dual_add_f32 v81, v82, v10
	v_fma_f32 v82, 0x3fb8aa3b, v6, -v75
	s_delay_alu instid0(VALU_DEP_3) | instskip(NEXT) | instid1(VALU_DEP_3)
	v_dual_add_f32 v10, v126, v137 :: v_dual_sub_f32 v75, v75, v83
	v_add_f32_e32 v74, v74, v139
	v_cvt_i32_f32_e32 v90, v138
	s_delay_alu instid0(VALU_DEP_4) | instskip(NEXT) | instid1(VALU_DEP_4)
	v_fmac_f32_e32 v82, 0x32a5705f, v6
	v_exp_f32_e32 v10, v10
	v_cvt_i32_f32_e32 v83, v83
	v_exp_f32_e32 v74, v74
	v_pk_mul_f16 v79, v92, v79 op_sel_hi:[0,1]
	v_add_f32_e32 v75, v75, v82
	v_fmac_f32_e32 v81, v91, v8
	v_cvt_i32_f32_e32 v8, v136
	v_mul_f32_e32 v91, 0x3fb8aa3b, v76
	v_pk_mul_f16 v77, v92, v77 op_sel_hi:[0,1]
	v_exp_f32_e32 v75, v75
	v_ldexp_f32 v10, v10, v90
	v_ldexp_f32 v8, v120, v8
	v_cvt_i32_f32_e32 v90, v140
	v_fma_f32 v82, 0x3fb8aa3b, v76, -v91
	v_rndne_f32_e32 v97, v91
	v_pk_mul_f16 v80, v92, v80 op_sel_hi:[0,1]
	v_cndmask_b32_e32 v8, 0, v8, vcc_lo
	v_cmp_nlt_f32_e32 vcc_lo, 0x42b17218, v121
	v_ldexp_f32 v74, v74, v90
	v_fmac_f32_e32 v82, 0x32a5705f, v76
	v_sub_f32_e32 v90, v91, v97
	v_ldexp_f32 v75, v75, v83
	v_cndmask_b32_e32 v8, 0x7f800000, v8, vcc_lo
	v_cmp_ngt_f32_e32 vcc_lo, 0xc2ce8ed0, v122
	v_sub_f32_e32 v91, v104, v2
	v_add_f32_e32 v82, v90, v82
	v_pk_mul_f16 v78, v92, v78 op_sel_hi:[0,1]
	v_cndmask_b32_e32 v10, 0, v10, vcc_lo
	v_cmp_nlt_f32_e32 vcc_lo, 0x42b17218, v122
	s_delay_alu instid0(VALU_DEP_4) | instskip(NEXT) | instid1(VALU_DEP_2)
	v_exp_f32_e32 v82, v82
	v_cndmask_b32_e32 v10, 0x7f800000, v10, vcc_lo
	v_cmp_ngt_f32_e32 vcc_lo, 0xc2ce8ed0, v123
	s_delay_alu instid0(VALU_DEP_2) | instskip(SKIP_2) | instid1(VALU_DEP_2)
	v_add_f32_e32 v90, v8, v10
	v_cndmask_b32_e32 v74, 0, v74, vcc_lo
	v_cmp_nlt_f32_e32 vcc_lo, 0x42b17218, v123
	v_cndmask_b32_e32 v74, 0x7f800000, v74, vcc_lo
	v_cmp_ngt_f32_e32 vcc_lo, 0xc2ce8ed0, v6
	s_delay_alu instid0(VALU_DEP_2) | instskip(SKIP_4) | instid1(VALU_DEP_4)
	v_add_f32_e32 v83, v74, v90
	v_cndmask_b32_e32 v75, 0, v75, vcc_lo
	v_cvt_i32_f32_e32 v90, v97
	v_cmp_nlt_f32_e32 vcc_lo, 0x42b17218, v6
	v_cvt_f16_f32_e32 v74, v74
	v_cndmask_b32_e32 v6, 0x7f800000, v75, vcc_lo
	s_delay_alu instid0(VALU_DEP_4) | instskip(SKIP_2) | instid1(VALU_DEP_4)
	v_ldexp_f32 v75, v82, v90
	v_mul_f32_e32 v90, 0x3fb8aa3b, v91
	v_cmp_ngt_f32_e32 vcc_lo, 0xc2ce8ed0, v76
	v_add_f32_e32 v82, v6, v83
	v_cvt_f16_f32_e32 v104, v6
	s_delay_alu instid0(VALU_DEP_4) | instskip(SKIP_3) | instid1(VALU_DEP_2)
	v_fma_f32 v83, 0x3fb8aa3b, v91, -v90
	v_cndmask_b32_e32 v75, 0, v75, vcc_lo
	v_rndne_f32_e32 v97, v90
	v_cmp_nlt_f32_e32 vcc_lo, 0x42b17218, v76
	v_dual_fmac_f32 v83, 0x32a5705f, v91 :: v_dual_sub_f32 v76, v90, v97
	s_delay_alu instid0(VALU_DEP_4) | instskip(SKIP_2) | instid1(VALU_DEP_4)
	v_cndmask_b32_e32 v75, 0x7f800000, v75, vcc_lo
	v_mul_f32_e32 v90, 0x3fb8aa3b, v96
	v_cmp_ngt_f32_e32 vcc_lo, 0xc2ce8ed0, v91
	v_add_f32_e32 v6, v76, v83
	s_delay_alu instid0(VALU_DEP_4) | instskip(NEXT) | instid1(VALU_DEP_4)
	v_cvt_f16_f32_e32 v120, v75
	v_rndne_f32_e32 v76, v90
	v_fmac_f32_e32 v82, v89, v75
	v_fma_f32 v75, 0x3fb8aa3b, v96, -v90
	v_exp_f32_e32 v6, v6
	v_pk_mul_f16 v121, v120, v70 op_sel_hi:[0,1]
	v_sub_f32_e32 v70, v90, v76
	v_pk_mul_f16 v90, v120, v72 op_sel_hi:[0,1]
	v_sub_f32_e32 v72, v88, v2
	;; [unrolled: 2-line block ×3, first 2 shown]
	v_pk_mul_f16 v122, v120, v69 op_sel_hi:[0,1]
	v_cvt_i32_f32_e32 v69, v97
	v_mul_f32_e32 v83, 0x3fb8aa3b, v72
	v_pk_mul_f16 v89, v120, v73 op_sel_hi:[0,1]
	v_cvt_i32_f32_e32 v73, v76
	v_cvt_f16_f32_e32 v8, v8
	v_ldexp_f32 v6, v6, v69
	v_fma_f32 v95, 0x3fb8aa3b, v72, -v83
	v_pk_mul_f16 v66, v120, v66 op_sel_hi:[0,1]
	v_pk_mul_f16 v67, v120, v67 op_sel_hi:[0,1]
	s_delay_alu instid0(VALU_DEP_3) | instskip(SKIP_2) | instid1(VALU_DEP_2)
	v_dual_cndmask_b32 v6, 0, v6 :: v_dual_fmac_f32 v95, 0x32a5705f, v72
	v_fmac_f32_e32 v75, 0x32a5705f, v96
	v_cmp_nlt_f32_e32 vcc_lo, 0x42b17218, v91
	v_add_f32_e32 v70, v70, v75
	s_delay_alu instid0(VALU_DEP_4) | instskip(SKIP_1) | instid1(VALU_DEP_3)
	v_cndmask_b32_e32 v6, 0x7f800000, v6, vcc_lo
	v_cmp_ngt_f32_e32 vcc_lo, 0xc2ce8ed0, v96
	v_exp_f32_e32 v69, v70
	v_mul_f32_e32 v70, 0x3fb8aa3b, v71
	s_delay_alu instid0(VALU_DEP_3) | instskip(NEXT) | instid1(VALU_DEP_2)
	v_cvt_f16_f32_e32 v88, v6
	v_fma_f32 v75, 0x3fb8aa3b, v71, -v70
	v_rndne_f32_e32 v76, v70
	s_waitcnt_depctr 0xfff
	v_ldexp_f32 v69, v69, v73
	v_dual_fmac_f32 v75, 0x32a5705f, v71 :: v_dual_sub_f32 v70, v70, v76
	v_sub_f32_e32 v73, v94, v2
	v_cvt_i32_f32_e32 v76, v76
	s_delay_alu instid0(VALU_DEP_4) | instskip(SKIP_1) | instid1(VALU_DEP_4)
	v_cndmask_b32_e32 v69, 0, v69, vcc_lo
	v_cmp_nlt_f32_e32 vcc_lo, 0x42b17218, v96
	v_dual_add_f32 v70, v70, v75 :: v_dual_mul_f32 v75, 0x3fb8aa3b, v73
	v_rndne_f32_e32 v96, v83
	s_delay_alu instid0(VALU_DEP_4) | instskip(NEXT) | instid1(VALU_DEP_3)
	v_cndmask_b32_e32 v69, 0x7f800000, v69, vcc_lo
	v_exp_f32_e32 v70, v70
	s_delay_alu instid0(VALU_DEP_3)
	v_fma_f32 v91, 0x3fb8aa3b, v73, -v75
	v_rndne_f32_e32 v94, v75
	v_sub_f32_e32 v83, v83, v96
	v_cmp_ngt_f32_e32 vcc_lo, 0xc2ce8ed0, v71
	v_add_f32_e32 v6, v6, v69
	v_fmac_f32_e32 v91, 0x32a5705f, v73
	v_sub_f32_e32 v75, v75, v94
	v_cvt_f16_f32_e32 v69, v69
	s_delay_alu instid0(TRANS32_DEP_1) | instskip(SKIP_1) | instid1(VALU_DEP_4)
	v_ldexp_f32 v70, v70, v76
	v_add_f32_e32 v76, v83, v95
	v_add_f32_e32 v75, v75, v91
	v_mul_f32_e32 v83, 0x3fb8aa3b, v9
	v_cvt_i32_f32_e32 v91, v96
	v_cndmask_b32_e32 v70, 0, v70, vcc_lo
	v_exp_f32_e32 v76, v76
	v_exp_f32_e32 v75, v75
	v_cmp_nlt_f32_e32 vcc_lo, 0x42b17218, v71
	v_cvt_i32_f32_e32 v71, v94
	v_fma_f32 v94, 0x3fb8aa3b, v9, -v83
	v_rndne_f32_e32 v95, v83
	v_cvt_f16_f32_e32 v10, v10
	v_cndmask_b32_e32 v70, 0x7f800000, v70, vcc_lo
	v_cmp_ngt_f32_e32 vcc_lo, 0xc2ce8ed0, v73
	v_fmac_f32_e32 v94, 0x32a5705f, v9
	s_delay_alu instid0(TRANS32_DEP_1)
	v_ldexp_f32 v71, v75, v71
	v_ldexp_f32 v75, v76, v91
	v_sub_f32_e32 v76, v83, v95
	v_add_f32_e32 v6, v70, v6
	v_cvt_f16_f32_e32 v70, v70
	v_cndmask_b32_e32 v71, 0, v71, vcc_lo
	v_cmp_ngt_f32_e32 vcc_lo, 0xc2ce8ed0, v72
	v_dual_add_f32 v76, v76, v94 :: v_dual_cndmask_b32 v75, 0, v75
	v_cmp_nlt_f32_e32 vcc_lo, 0x42b17218, v73
	s_delay_alu instid0(VALU_DEP_2) | instskip(SKIP_3) | instid1(VALU_DEP_2)
	v_exp_f32_e32 v73, v76
	v_mul_f32_e32 v76, 0x3fb8aa3b, v4
	v_cndmask_b32_e32 v71, 0x7f800000, v71, vcc_lo
	v_cmp_nlt_f32_e32 vcc_lo, 0x42b17218, v72
	v_dual_add_f32 v83, v71, v6 :: v_dual_cndmask_b32 v72, 0x7f800000, v75
	v_cvt_i32_f32_e32 v6, v95
	v_mul_f32_e32 v75, 0x3fb8aa3b, v7
	v_cmp_ngt_f32_e32 vcc_lo, 0xc2ce8ed0, v9
	v_cvt_f16_f32_e32 v71, v71
	v_cvt_f16_f32_e32 v91, v72
	v_fmac_f32_e32 v83, v87, v72
	v_ldexp_f32 v6, v73, v6
	v_fma_f32 v72, 0x3fb8aa3b, v7, -v75
	v_rndne_f32_e32 v73, v75
	v_pk_mul_f16 v87, v91, v64 op_sel_hi:[0,1]
	v_sub_f32_e32 v64, v86, v3
	v_cndmask_b32_e32 v6, 0, v6, vcc_lo
	s_delay_alu instid0(VALU_DEP_4)
	v_dual_fmac_f32 v72, 0x32a5705f, v7 :: v_dual_sub_f32 v75, v75, v73
	v_mul_f32_e32 v86, 0x3fb8aa3b, v5
	v_cmp_nlt_f32_e32 vcc_lo, 0x42b17218, v9
	v_cvt_i32_f32_e32 v73, v73
	v_mul_f32_e32 v96, 0x3fb8aa3b, v64
	v_add_f32_e32 v9, v75, v72
	v_fma_f32 v72, 0x3fb8aa3b, v4, -v76
	v_rndne_f32_e32 v75, v76
	v_fma_f32 v94, 0x3fb8aa3b, v5, -v86
	v_rndne_f32_e32 v95, v86
	v_exp_f32_e32 v9, v9
	v_fmac_f32_e32 v72, 0x32a5705f, v4
	v_sub_f32_e32 v76, v76, v75
	v_fmac_f32_e32 v94, 0x32a5705f, v5
	v_sub_f32_e32 v86, v86, v95
	v_cndmask_b32_e32 v6, 0x7f800000, v6, vcc_lo
	v_cmp_ngt_f32_e32 vcc_lo, 0xc2ce8ed0, v7
	v_add_f32_e32 v72, v76, v72
	v_cvt_i32_f32_e32 v75, v75
	v_add_f32_e32 v76, v86, v94
	v_ldexp_f32 v9, v9, v73
	v_fma_f32 v86, 0x3fb8aa3b, v64, -v96
	v_exp_f32_e32 v72, v72
	v_rndne_f32_e32 v94, v96
	v_exp_f32_e32 v73, v76
	v_cndmask_b32_e32 v9, 0, v9, vcc_lo
	v_cmp_nlt_f32_e32 vcc_lo, 0x42b17218, v7
	v_cvt_i32_f32_e32 v95, v95
	v_fmac_f32_e32 v86, 0x32a5705f, v64
	v_sub_f32_e32 v76, v96, v94
	v_cvt_f16_f32_e32 v97, v6
	v_cndmask_b32_e32 v7, 0x7f800000, v9, vcc_lo
	v_ldexp_f32 v72, v72, v75
	v_cmp_ngt_f32_e32 vcc_lo, 0xc2ce8ed0, v4
	v_ldexp_f32 v9, v73, v95
	v_add_f32_e32 v76, v76, v86
	v_cvt_i32_f32_e32 v75, v94
	v_add_nc_u32_e32 v94, v41, v42
	v_cndmask_b32_e32 v72, 0, v72, vcc_lo
	v_cmp_ngt_f32_e32 vcc_lo, 0xc2ce8ed0, v5
	v_exp_f32_e32 v73, v76
	v_add_f32_e32 v76, v6, v7
	v_cvt_f16_f32_e32 v6, v7
	v_pk_mul_f16 v95, v91, v58 op_sel_hi:[0,1]
	v_cndmask_b32_e32 v9, 0, v9, vcc_lo
	v_cmp_nlt_f32_e32 vcc_lo, 0x42b17218, v4
	v_pk_mul_f16 v61, v91, v61 op_sel_hi:[0,1]
	v_pack_b32_f16 v7, v69, v6
	v_pack_b32_f16 v6, v11, v10
	;; [unrolled: 1-line block ×3, first 2 shown]
	v_cndmask_b32_e32 v72, 0x7f800000, v72, vcc_lo
	v_cmp_nlt_f32_e32 vcc_lo, 0x42b17218, v5
	v_ldexp_f32 v4, v73, v75
	v_pack_b32_f16 v5, v88, v97
	v_pk_mul_f16 v63, v91, v63 op_sel_hi:[0,1]
	v_pk_mul_f16 v62, v91, v62 op_sel_hi:[0,1]
	v_cndmask_b32_e32 v86, 0x7f800000, v9, vcc_lo
	v_cmp_ngt_f32_e32 vcc_lo, 0xc2ce8ed0, v64
	v_cvt_f16_f32_e32 v9, v72
	s_delay_alu instid0(VALU_DEP_3)
	v_cvt_f16_f32_e32 v73, v86
	v_cndmask_b32_e32 v75, 0, v4, vcc_lo
	v_pack_b32_f16 v4, v84, v8
	v_cmp_nlt_f32_e32 vcc_lo, 0x42b17218, v64
	v_add_nc_u32_e32 v64, 0x9000, v42
	v_pack_b32_f16 v9, v70, v9
	v_pack_b32_f16 v8, v102, v74
	;; [unrolled: 1-line block ×3, first 2 shown]
	v_add_f32_e32 v84, v72, v76
	v_cndmask_b32_e32 v88, 0x7f800000, v75, vcc_lo
	ds_store_2addr_b64 v94, v[4:5], v[6:7] offset1:32
	ds_store_2addr_b64 v94, v[8:9], v[10:11] offset0:64 offset1:96
	s_waitcnt vmcnt(3)
	ds_store_b128 v43, v[98:101]
	s_waitcnt vmcnt(2)
	ds_store_b128 v44, v[105:108]
	;; [unrolled: 2-line block ×4, first 2 shown]
	s_waitcnt lgkmcnt(0)
	s_barrier
	buffer_gl0_inv
	ds_load_2addr_b64 v[69:72], v64 offset1:32
	ds_load_b128 v[73:76], v41
	v_add_f32_e32 v84, v86, v84
	v_cvt_f16_f32_e32 v4, v88
	v_pk_mul_f16 v94, v91, v59 op_sel_hi:[0,1]
	v_pk_mul_f16 v86, v91, v57 op_sel_hi:[0,1]
	s_delay_alu instid0(VALU_DEP_4) | instskip(NEXT) | instid1(VALU_DEP_4)
	v_fmac_f32_e32 v84, v85, v88
	v_pk_mul_f16 v58, v4, v55 op_sel_hi:[0,1]
	v_pk_mul_f16 v59, v4, v56 op_sel_hi:[0,1]
	;; [unrolled: 1-line block ×7, first 2 shown]
	ds_load_2addr_b64 v[49:52], v64 offset0:64 offset1:96
	ds_load_b128 v[54:57], v41 offset:16
	v_pk_mul_f16 v53, v4, v53 op_sel_hi:[0,1]
	ds_load_b128 v[8:11], v41 offset:32
	ds_load_b128 v[4:7], v41 offset:48
	s_waitcnt lgkmcnt(4)
	v_pk_mul_f16 v101, v69, v74 op_sel_hi:[1,0]
	v_pk_mul_f16 v99, v69, v73 op_sel_hi:[1,0]
	v_pk_mul_f16 v100, v69, v73 op_sel:[0,1]
	v_pk_fma_f16 v69, v69, v74, v58 op_sel:[0,1,0]
	v_pk_fma_f16 v79, v70, v73, v79 op_sel_hi:[1,0,1]
	v_pk_fma_f16 v91, v91, v60, v101 op_sel_hi:[0,1,1]
	v_pk_fma_f16 v89, v70, v73, v89 op_sel:[0,1,0]
	v_pk_fma_f16 v87, v70, v74, v87 op_sel_hi:[1,0,1]
	v_pk_fma_f16 v70, v70, v74, v59 op_sel:[0,1,0]
	v_pk_fma_f16 v101, v71, v74, v61 op_sel_hi:[1,0,1]
	ds_load_2addr_b64 v[58:61], v64 offset0:128 offset1:160
	v_pk_fma_f16 v92, v92, v68, v99 op_sel_hi:[0,1,1]
	v_pk_fma_f16 v99, v120, v65, v100 op_sel_hi:[0,1,1]
	;; [unrolled: 1-line block ×3, first 2 shown]
	v_pk_fma_f16 v100, v71, v73, v121 op_sel:[0,1,0]
	v_pk_fma_f16 v71, v71, v74, v85 op_sel:[0,1,0]
	v_pk_fma_f16 v80, v72, v73, v80 op_sel_hi:[1,0,1]
	v_pk_fma_f16 v85, v72, v73, v90 op_sel:[0,1,0]
	v_pk_fma_f16 v63, v72, v74, v63 op_sel_hi:[1,0,1]
	v_pk_fma_f16 v72, v72, v74, v88 op_sel:[0,1,0]
	s_waitcnt lgkmcnt(4)
	v_pk_fma_f16 v88, v49, v73, v117 op_sel_hi:[1,0,1]
	v_pk_fma_f16 v90, v49, v73, v122 op_sel:[0,1,0]
	v_pk_fma_f16 v78, v50, v73, v78 op_sel_hi:[1,0,1]
	v_pk_fma_f16 v102, v50, v73, v123 op_sel:[0,1,0]
	v_pk_fma_f16 v104, v51, v73, v118 op_sel_hi:[1,0,1]
	v_pk_fma_f16 v105, v51, v73, v66 op_sel:[0,1,0]
	v_pk_fma_f16 v106, v52, v73, v119 op_sel_hi:[1,0,1]
	v_pk_fma_f16 v73, v52, v73, v67 op_sel:[0,1,0]
	ds_load_2addr_b64 v[65:68], v64 offset0:192 offset1:224
	v_pk_fma_f16 v103, v50, v74, v53 op_sel:[0,1,0]
	v_add_nc_u32_e32 v53, 0x9800, v42
	v_pk_fma_f16 v94, v49, v74, v94 op_sel_hi:[1,0,1]
	v_pk_fma_f16 v96, v49, v74, v96 op_sel:[0,1,0]
	v_pk_fma_f16 v62, v50, v74, v62 op_sel_hi:[1,0,1]
	v_pk_fma_f16 v86, v51, v74, v86 op_sel_hi:[1,0,1]
	v_pk_fma_f16 v97, v51, v74, v97 op_sel:[0,1,0]
	v_pk_fma_f16 v95, v52, v74, v95 op_sel_hi:[1,0,1]
	v_pk_fma_f16 v74, v52, v74, v98 op_sel:[0,1,0]
	s_waitcnt lgkmcnt(1)
	v_pk_fma_f16 v92, v58, v75, v92 op_sel_hi:[1,0,1]
	v_pk_fma_f16 v98, v58, v75, v99 op_sel:[0,1,0]
	v_pk_fma_f16 v91, v58, v76, v91 op_sel_hi:[1,0,1]
	v_pk_fma_f16 v69, v58, v76, v69 op_sel:[0,1,0]
	;; [unrolled: 2-line block ×7, first 2 shown]
	ds_load_2addr_b64 v[49:52], v53 offset1:32
	v_pk_fma_f16 v63, v61, v76, v63 op_sel_hi:[1,0,1]
	v_pk_fma_f16 v72, v61, v76, v72 op_sel:[0,1,0]
	ds_load_2addr_b64 v[58:61], v53 offset0:64 offset1:96
	s_waitcnt lgkmcnt(2)
	v_pk_fma_f16 v88, v65, v75, v88 op_sel_hi:[1,0,1]
	v_pk_fma_f16 v90, v65, v75, v90 op_sel:[0,1,0]
	v_pk_fma_f16 v94, v65, v76, v94 op_sel_hi:[1,0,1]
	v_pk_fma_f16 v96, v65, v76, v96 op_sel:[0,1,0]
	v_pk_fma_f16 v78, v66, v75, v78 op_sel_hi:[1,0,1]
	v_pk_fma_f16 v101, v66, v75, v102 op_sel:[0,1,0]
	v_pk_fma_f16 v62, v66, v76, v62 op_sel_hi:[1,0,1]
	v_pk_fma_f16 v102, v66, v76, v103 op_sel:[0,1,0]
	v_pk_fma_f16 v103, v67, v75, v104 op_sel_hi:[1,0,1]
	v_pk_fma_f16 v104, v67, v75, v105 op_sel:[0,1,0]
	v_pk_fma_f16 v86, v67, v76, v86 op_sel_hi:[1,0,1]
	v_pk_fma_f16 v97, v67, v76, v97 op_sel:[0,1,0]
	v_pk_fma_f16 v105, v68, v75, v106 op_sel_hi:[1,0,1]
	v_pk_fma_f16 v73, v68, v75, v73 op_sel:[0,1,0]
	v_pk_fma_f16 v75, v68, v76, v95 op_sel_hi:[1,0,1]
	v_pk_fma_f16 v74, v68, v76, v74 op_sel:[0,1,0]
	ds_load_2addr_b64 v[65:68], v53 offset0:128 offset1:160
	s_waitcnt lgkmcnt(2)
	v_pk_fma_f16 v76, v49, v54, v92 op_sel_hi:[1,0,1]
	v_pk_fma_f16 v92, v49, v54, v98 op_sel:[0,1,0]
	v_pk_fma_f16 v91, v49, v55, v91 op_sel_hi:[1,0,1]
	v_pk_fma_f16 v69, v49, v55, v69 op_sel:[0,1,0]
	v_pk_fma_f16 v79, v50, v54, v79 op_sel_hi:[1,0,1]
	v_pk_fma_f16 v89, v50, v54, v89 op_sel:[0,1,0]
	v_pk_fma_f16 v87, v50, v55, v87 op_sel_hi:[1,0,1]
	v_pk_fma_f16 v70, v50, v55, v70 op_sel:[0,1,0]
	v_pk_fma_f16 v77, v51, v54, v77 op_sel_hi:[1,0,1]
	v_pk_fma_f16 v95, v51, v54, v99 op_sel:[0,1,0]
	v_pk_fma_f16 v98, v51, v55, v100 op_sel_hi:[1,0,1]
	v_pk_fma_f16 v71, v51, v55, v71 op_sel:[0,1,0]
	v_pk_fma_f16 v80, v52, v54, v80 op_sel_hi:[1,0,1]
	v_pk_fma_f16 v85, v52, v54, v85 op_sel:[0,1,0]
	v_pk_fma_f16 v63, v52, v55, v63 op_sel_hi:[1,0,1]
	v_pk_fma_f16 v72, v52, v55, v72 op_sel:[0,1,0]
	s_waitcnt lgkmcnt(1)
	v_pk_fma_f16 v88, v58, v54, v88 op_sel_hi:[1,0,1]
	v_pk_fma_f16 v90, v58, v54, v90 op_sel:[0,1,0]
	v_pk_fma_f16 v78, v59, v54, v78 op_sel_hi:[1,0,1]
	v_pk_fma_f16 v99, v59, v54, v101 op_sel:[0,1,0]
	v_pk_fma_f16 v100, v59, v55, v102 op_sel:[0,1,0]
	v_pk_fma_f16 v101, v60, v54, v103 op_sel_hi:[1,0,1]
	v_pk_fma_f16 v102, v60, v54, v104 op_sel:[0,1,0]
	v_pk_fma_f16 v103, v61, v54, v105 op_sel_hi:[1,0,1]
	v_pk_fma_f16 v73, v61, v54, v73 op_sel:[0,1,0]
	ds_load_2addr_b64 v[49:52], v53 offset0:192 offset1:224
	v_add_nc_u32_e32 v54, 0xa000, v42
	v_pk_fma_f16 v94, v58, v55, v94 op_sel_hi:[1,0,1]
	v_pk_fma_f16 v96, v58, v55, v96 op_sel:[0,1,0]
	v_pk_fma_f16 v62, v59, v55, v62 op_sel_hi:[1,0,1]
	v_pk_fma_f16 v86, v60, v55, v86 op_sel_hi:[1,0,1]
	v_pk_fma_f16 v97, v60, v55, v97 op_sel:[0,1,0]
	v_pk_fma_f16 v75, v61, v55, v75 op_sel_hi:[1,0,1]
	v_pk_fma_f16 v55, v61, v55, v74 op_sel:[0,1,0]
	ds_load_2addr_b64 v[58:61], v54 offset1:32
	s_waitcnt lgkmcnt(2)
	v_pk_fma_f16 v74, v65, v56, v76 op_sel_hi:[1,0,1]
	v_pk_fma_f16 v76, v65, v56, v92 op_sel:[0,1,0]
	v_pk_fma_f16 v91, v65, v57, v91 op_sel_hi:[1,0,1]
	v_pk_fma_f16 v69, v65, v57, v69 op_sel:[0,1,0]
	;; [unrolled: 2-line block ×8, first 2 shown]
	ds_load_2addr_b64 v[65:68], v54 offset0:64 offset1:96
	s_waitcnt lgkmcnt(2)
	v_pk_fma_f16 v88, v49, v56, v88 op_sel_hi:[1,0,1]
	v_pk_fma_f16 v90, v49, v56, v90 op_sel:[0,1,0]
	v_pk_fma_f16 v94, v49, v57, v94 op_sel_hi:[1,0,1]
	v_pk_fma_f16 v96, v49, v57, v96 op_sel:[0,1,0]
	;; [unrolled: 2-line block ×8, first 2 shown]
	ds_load_2addr_b64 v[49:52], v54 offset0:128 offset1:160
	s_waitcnt lgkmcnt(2)
	v_pk_fma_f16 v74, v58, v8, v74 op_sel_hi:[1,0,1]
	v_pk_fma_f16 v76, v58, v8, v76 op_sel:[0,1,0]
	v_pk_fma_f16 v91, v58, v9, v91 op_sel_hi:[1,0,1]
	v_pk_fma_f16 v69, v58, v9, v69 op_sel:[0,1,0]
	;; [unrolled: 2-line block ×4, first 2 shown]
	ds_load_2addr_b64 v[56:59], v54 offset0:192 offset1:224
	v_pk_fma_f16 v77, v60, v8, v77 op_sel_hi:[1,0,1]
	v_pk_fma_f16 v92, v60, v8, v92 op_sel:[0,1,0]
	v_pk_fma_f16 v95, v60, v9, v95 op_sel_hi:[1,0,1]
	v_pk_fma_f16 v60, v60, v9, v71 op_sel:[0,1,0]
	;; [unrolled: 2-line block ×4, first 2 shown]
	s_waitcnt lgkmcnt(2)
	v_pk_fma_f16 v72, v65, v8, v88 op_sel_hi:[1,0,1]
	v_pk_fma_f16 v85, v65, v8, v90 op_sel:[0,1,0]
	v_pk_fma_f16 v78, v66, v8, v78 op_sel_hi:[1,0,1]
	v_pk_fma_f16 v178, v66, v8, v98 op_sel:[0,1,0]
	;; [unrolled: 2-line block ×4, first 2 shown]
	v_add_co_u32 v8, vcc_lo, s4, v27
	v_pk_fma_f16 v88, v65, v9, v94 op_sel_hi:[1,0,1]
	v_pk_fma_f16 v65, v65, v9, v96 op_sel:[0,1,0]
	v_pk_fma_f16 v179, v66, v9, v62 op_sel_hi:[1,0,1]
	v_pk_fma_f16 v180, v66, v9, v99 op_sel:[0,1,0]
	;; [unrolled: 2-line block ×4, first 2 shown]
	v_add_co_ci_u32_e32 v9, vcc_lo, s19, v28, vcc_lo
	v_add_co_u32 v162, vcc_lo, s4, v29
	v_add_co_ci_u32_e32 v163, vcc_lo, s19, v30, vcc_lo
	v_add_co_u32 v8, vcc_lo, v8, v93
	s_delay_alu instid0(VALU_DEP_4)
	v_add_co_ci_u32_e32 v9, vcc_lo, 0, v9, vcc_lo
	s_waitcnt lgkmcnt(1)
	v_pk_fma_f16 v189, v49, v10, v74 op_sel_hi:[1,0,1]
	v_pk_fma_f16 v190, v49, v10, v76 op_sel:[0,1,0]
	v_pk_fma_f16 v191, v49, v11, v91 op_sel_hi:[1,0,1]
	v_pk_fma_f16 v192, v49, v11, v69 op_sel:[0,1,0]
	v_add_nc_u32_e32 v49, 0xc800, v42
	v_pk_fma_f16 v193, v50, v10, v79 op_sel_hi:[1,0,1]
	v_pk_fma_f16 v194, v50, v10, v89 op_sel:[0,1,0]
	v_pk_fma_f16 v195, v50, v11, v87 op_sel_hi:[1,0,1]
	v_pk_fma_f16 v196, v50, v11, v70 op_sel:[0,1,0]
	v_pk_fma_f16 v201, v52, v10, v71 op_sel_hi:[1,0,1]
	v_pk_fma_f16 v202, v52, v10, v80 op_sel:[0,1,0]
	v_pk_fma_f16 v203, v52, v11, v63 op_sel_hi:[1,0,1]
	v_pk_fma_f16 v204, v52, v11, v61 op_sel:[0,1,0]
	v_add_nc_u32_e32 v55, 0xa800, v42
	v_add_nc_u32_e32 v52, 0xb000, v42
	;; [unrolled: 1-line block ×3, first 2 shown]
	v_add_co_u32 v174, vcc_lo, v162, v93
	v_pk_fma_f16 v197, v51, v10, v77 op_sel_hi:[1,0,1]
	v_pk_fma_f16 v198, v51, v10, v92 op_sel:[0,1,0]
	v_pk_fma_f16 v199, v51, v11, v95 op_sel_hi:[1,0,1]
	v_pk_fma_f16 v200, v51, v11, v60 op_sel:[0,1,0]
	v_add_nc_u32_e32 v51, 0xb800, v42
	v_add_co_ci_u32_e32 v175, vcc_lo, 0, v163, vcc_lo
	s_waitcnt lgkmcnt(0)
	v_pk_fma_f16 v205, v56, v10, v72 op_sel_hi:[1,0,1]
	v_pk_fma_f16 v206, v56, v10, v85 op_sel:[0,1,0]
	v_pk_fma_f16 v207, v56, v11, v88 op_sel_hi:[1,0,1]
	v_pk_fma_f16 v56, v56, v11, v65 op_sel:[0,1,0]
	v_pk_fma_f16 v208, v57, v10, v78 op_sel_hi:[1,0,1]
	ds_load_2addr_b64 v[60:63], v55 offset1:32
	ds_load_2addr_b64 v[65:68], v55 offset0:64 offset1:96
	ds_load_2addr_b64 v[69:72], v55 offset0:128 offset1:160
	;; [unrolled: 1-line block ×3, first 2 shown]
	ds_load_2addr_b64 v[77:80], v52 offset1:32
	ds_load_2addr_b64 v[85:88], v52 offset0:64 offset1:96
	ds_load_2addr_b64 v[89:92], v52 offset0:128 offset1:160
	;; [unrolled: 1-line block ×3, first 2 shown]
	ds_load_2addr_b64 v[98:101], v51 offset1:32
	ds_load_2addr_b64 v[102:105], v51 offset0:64 offset1:96
	ds_load_b128 v[106:109], v41 offset:64
	ds_load_b128 v[110:113], v41 offset:80
	ds_load_2addr_b64 v[114:117], v51 offset0:128 offset1:160
	ds_load_2addr_b64 v[118:121], v51 offset0:192 offset1:224
	ds_load_2addr_b64 v[122:125], v50 offset1:32
	ds_load_2addr_b64 v[126:129], v50 offset0:64 offset1:96
	ds_load_2addr_b64 v[130:133], v50 offset0:128 offset1:160
	;; [unrolled: 1-line block ×3, first 2 shown]
	ds_load_2addr_b64 v[138:141], v49 offset1:32
	ds_load_2addr_b64 v[142:145], v49 offset0:64 offset1:96
	ds_load_b128 v[146:149], v41 offset:96
	ds_load_b128 v[150:153], v41 offset:112
	ds_load_2addr_b64 v[154:157], v49 offset0:128 offset1:160
	ds_load_2addr_b64 v[158:161], v49 offset0:192 offset1:224
	s_waitcnt lgkmcnt(0)
	s_barrier
	buffer_gl0_inv
	s_clause 0x3
	global_load_b128 v[162:165], v[8:9], off
	global_load_b128 v[166:169], v[8:9], off offset:512
	global_load_b128 v[170:173], v[174:175], off
	global_load_b128 v[174:177], v[174:175], off offset:512
	v_pk_fma_f16 v8, v57, v10, v178 op_sel:[0,1,0]
	v_pk_fma_f16 v9, v57, v11, v179 op_sel_hi:[1,0,1]
	v_pk_fma_f16 v57, v57, v11, v180 op_sel:[0,1,0]
	v_pk_fma_f16 v178, v58, v10, v181 op_sel_hi:[1,0,1]
	;; [unrolled: 2-line block ×24, first 2 shown]
	v_pk_fma_f16 v61, v70, v7, v61 op_sel:[0,1,0]
	v_pk_fma_f16 v62, v71, v7, v62 op_sel:[0,1,0]
	;; [unrolled: 1-line block ×4, first 2 shown]
	v_pk_fma_f16 v181, v70, v7, v187 op_sel_hi:[1,0,1]
	v_pk_fma_f16 v70, v71, v6, v188 op_sel_hi:[1,0,1]
	v_pk_fma_f16 v182, v71, v6, v189 op_sel:[0,1,0]
	v_pk_fma_f16 v183, v71, v7, v190 op_sel_hi:[1,0,1]
	v_pk_fma_f16 v71, v72, v6, v191 op_sel_hi:[1,0,1]
	v_pk_fma_f16 v184, v72, v6, v192 op_sel:[0,1,0]
	;; [unrolled: 3-line block ×3, first 2 shown]
	v_pk_fma_f16 v187, v73, v7, v196 op_sel_hi:[1,0,1]
	v_pk_fma_f16 v56, v73, v7, v56 op_sel:[0,1,0]
	v_pk_fma_f16 v65, v74, v6, v65 op_sel_hi:[1,0,1]
	v_pk_fma_f16 v8, v74, v6, v8 op_sel:[0,1,0]
	v_pk_fma_f16 v57, v74, v7, v57 op_sel:[0,1,0]
	v_pk_fma_f16 v66, v75, v6, v66 op_sel_hi:[1,0,1]
	v_pk_fma_f16 v73, v75, v6, v178 op_sel:[0,1,0]
	;; [unrolled: 3-line block ×3, first 2 shown]
	v_pk_fma_f16 v6, v76, v7, v10 op_sel_hi:[1,0,1]
	v_pk_fma_f16 v10, v77, v106, v59 op_sel:[0,1,0]
	v_pk_fma_f16 v59, v77, v107, v60 op_sel:[0,1,0]
	v_pk_fma_f16 v60, v78, v106, v69 op_sel_hi:[1,0,1]
	v_pk_fma_f16 v61, v78, v107, v61 op_sel:[0,1,0]
	v_pk_fma_f16 v62, v79, v107, v62 op_sel:[0,1,0]
	;; [unrolled: 1-line block ×7, first 2 shown]
	v_pk_fma_f16 v60, v90, v108, v60 op_sel_hi:[1,0,1]
	v_pk_fma_f16 v61, v90, v109, v61 op_sel:[0,1,0]
	v_pk_fma_f16 v62, v91, v109, v62 op_sel:[0,1,0]
	;; [unrolled: 1-line block ×7, first 2 shown]
	v_pk_fma_f16 v60, v99, v110, v60 op_sel_hi:[1,0,1]
	v_pk_fma_f16 v61, v99, v111, v61 op_sel:[0,1,0]
	v_pk_fma_f16 v62, v100, v111, v62 op_sel:[0,1,0]
	;; [unrolled: 1-line block ×3, first 2 shown]
	v_pk_fma_f16 v9, v74, v7, v9 op_sel_hi:[1,0,1]
	v_pk_fma_f16 v5, v76, v7, v5 op_sel:[0,1,0]
	v_pk_fma_f16 v74, v75, v7, v179 op_sel_hi:[1,0,1]
	v_pk_fma_f16 v7, v77, v106, v11 op_sel_hi:[1,0,1]
	;; [unrolled: 1-line block ×3, first 2 shown]
	v_pk_fma_f16 v68, v78, v106, v180 op_sel:[0,1,0]
	v_pk_fma_f16 v69, v78, v107, v181 op_sel_hi:[1,0,1]
	v_pk_fma_f16 v70, v79, v106, v70 op_sel_hi:[1,0,1]
	v_pk_fma_f16 v75, v79, v106, v182 op_sel:[0,1,0]
	v_pk_fma_f16 v76, v79, v107, v183 op_sel_hi:[1,0,1]
	v_pk_fma_f16 v71, v80, v106, v71 op_sel_hi:[1,0,1]
	v_pk_fma_f16 v77, v80, v106, v184 op_sel:[0,1,0]
	v_pk_fma_f16 v78, v80, v107, v185 op_sel_hi:[1,0,1]
	v_pk_fma_f16 v56, v102, v111, v56 op_sel:[0,1,0]
	v_pk_fma_f16 v57, v103, v111, v57 op_sel:[0,1,0]
	;; [unrolled: 1-line block ×4, first 2 shown]
	v_pk_fma_f16 v60, v115, v112, v60 op_sel_hi:[1,0,1]
	v_pk_fma_f16 v61, v115, v113, v61 op_sel:[0,1,0]
	v_pk_fma_f16 v62, v116, v113, v62 op_sel:[0,1,0]
	;; [unrolled: 1-line block ×3, first 2 shown]
	v_pk_fma_f16 v72, v85, v106, v72 op_sel_hi:[1,0,1]
	v_pk_fma_f16 v65, v86, v106, v65 op_sel_hi:[1,0,1]
	v_pk_fma_f16 v8, v86, v106, v8 op_sel:[0,1,0]
	v_pk_fma_f16 v9, v86, v107, v9 op_sel_hi:[1,0,1]
	v_pk_fma_f16 v66, v87, v106, v66 op_sel_hi:[1,0,1]
	;; [unrolled: 1-line block ×3, first 2 shown]
	v_pk_fma_f16 v4, v88, v106, v4 op_sel:[0,1,0]
	v_pk_fma_f16 v6, v88, v107, v6 op_sel_hi:[1,0,1]
	v_pk_fma_f16 v5, v88, v107, v5 op_sel:[0,1,0]
	v_pk_fma_f16 v73, v87, v106, v73 op_sel:[0,1,0]
	v_pk_fma_f16 v74, v87, v107, v74 op_sel_hi:[1,0,1]
	v_pk_fma_f16 v7, v89, v108, v7 op_sel_hi:[1,0,1]
	v_pk_fma_f16 v10, v89, v108, v10 op_sel:[0,1,0]
	v_pk_fma_f16 v11, v89, v109, v11 op_sel_hi:[1,0,1]
	v_pk_fma_f16 v68, v90, v108, v68 op_sel:[0,1,0]
	v_pk_fma_f16 v69, v90, v109, v69 op_sel_hi:[1,0,1]
	v_pk_fma_f16 v70, v91, v108, v70 op_sel_hi:[1,0,1]
	v_pk_fma_f16 v75, v91, v108, v75 op_sel:[0,1,0]
	v_pk_fma_f16 v76, v91, v109, v76 op_sel_hi:[1,0,1]
	;; [unrolled: 3-line block ×3, first 2 shown]
	v_pk_fma_f16 v56, v118, v113, v56 op_sel:[0,1,0]
	v_pk_fma_f16 v57, v119, v113, v57 op_sel:[0,1,0]
	;; [unrolled: 1-line block ×4, first 2 shown]
	v_pk_fma_f16 v60, v123, v146, v60 op_sel_hi:[1,0,1]
	v_pk_fma_f16 v61, v123, v147, v61 op_sel:[0,1,0]
	v_pk_fma_f16 v62, v124, v147, v62 op_sel:[0,1,0]
	;; [unrolled: 1-line block ×3, first 2 shown]
	v_pk_fma_f16 v72, v94, v108, v72 op_sel_hi:[1,0,1]
	v_pk_fma_f16 v65, v95, v108, v65 op_sel_hi:[1,0,1]
	v_pk_fma_f16 v8, v95, v108, v8 op_sel:[0,1,0]
	v_pk_fma_f16 v9, v95, v109, v9 op_sel_hi:[1,0,1]
	v_pk_fma_f16 v66, v96, v108, v66 op_sel_hi:[1,0,1]
	;; [unrolled: 1-line block ×3, first 2 shown]
	v_pk_fma_f16 v4, v97, v108, v4 op_sel:[0,1,0]
	v_pk_fma_f16 v6, v97, v109, v6 op_sel_hi:[1,0,1]
	v_pk_fma_f16 v5, v97, v109, v5 op_sel:[0,1,0]
	v_pk_fma_f16 v73, v96, v108, v73 op_sel:[0,1,0]
	v_pk_fma_f16 v74, v96, v109, v74 op_sel_hi:[1,0,1]
	v_pk_fma_f16 v7, v98, v110, v7 op_sel_hi:[1,0,1]
	v_pk_fma_f16 v10, v98, v110, v10 op_sel:[0,1,0]
	v_pk_fma_f16 v11, v98, v111, v11 op_sel_hi:[1,0,1]
	v_pk_fma_f16 v68, v99, v110, v68 op_sel:[0,1,0]
	v_pk_fma_f16 v69, v99, v111, v69 op_sel_hi:[1,0,1]
	v_pk_fma_f16 v70, v100, v110, v70 op_sel_hi:[1,0,1]
	v_pk_fma_f16 v75, v100, v110, v75 op_sel:[0,1,0]
	v_pk_fma_f16 v76, v100, v111, v76 op_sel_hi:[1,0,1]
	;; [unrolled: 3-line block ×3, first 2 shown]
	v_pk_fma_f16 v56, v126, v147, v56 op_sel:[0,1,0]
	v_pk_fma_f16 v57, v127, v147, v57 op_sel:[0,1,0]
	;; [unrolled: 1-line block ×4, first 2 shown]
	v_pk_fma_f16 v60, v131, v148, v60 op_sel_hi:[1,0,1]
	v_pk_fma_f16 v61, v131, v149, v61 op_sel:[0,1,0]
	v_pk_fma_f16 v62, v132, v149, v62 op_sel:[0,1,0]
	;; [unrolled: 1-line block ×3, first 2 shown]
	v_pk_fma_f16 v72, v102, v110, v72 op_sel_hi:[1,0,1]
	v_pk_fma_f16 v65, v103, v110, v65 op_sel_hi:[1,0,1]
	v_pk_fma_f16 v8, v103, v110, v8 op_sel:[0,1,0]
	v_pk_fma_f16 v9, v103, v111, v9 op_sel_hi:[1,0,1]
	v_pk_fma_f16 v66, v104, v110, v66 op_sel_hi:[1,0,1]
	;; [unrolled: 1-line block ×3, first 2 shown]
	v_pk_fma_f16 v4, v105, v110, v4 op_sel:[0,1,0]
	v_pk_fma_f16 v6, v105, v111, v6 op_sel_hi:[1,0,1]
	v_pk_fma_f16 v5, v105, v111, v5 op_sel:[0,1,0]
	v_pk_fma_f16 v79, v85, v106, v186 op_sel:[0,1,0]
	v_pk_fma_f16 v80, v85, v107, v187 op_sel_hi:[1,0,1]
	v_pk_fma_f16 v73, v104, v110, v73 op_sel:[0,1,0]
	v_pk_fma_f16 v74, v104, v111, v74 op_sel_hi:[1,0,1]
	v_pk_fma_f16 v7, v114, v112, v7 op_sel_hi:[1,0,1]
	v_pk_fma_f16 v10, v114, v112, v10 op_sel:[0,1,0]
	v_pk_fma_f16 v11, v114, v113, v11 op_sel_hi:[1,0,1]
	v_pk_fma_f16 v68, v115, v112, v68 op_sel:[0,1,0]
	v_pk_fma_f16 v69, v115, v113, v69 op_sel_hi:[1,0,1]
	v_pk_fma_f16 v70, v116, v112, v70 op_sel_hi:[1,0,1]
	v_pk_fma_f16 v75, v116, v112, v75 op_sel:[0,1,0]
	v_pk_fma_f16 v76, v116, v113, v76 op_sel_hi:[1,0,1]
	;; [unrolled: 3-line block ×3, first 2 shown]
	v_pk_fma_f16 v56, v134, v149, v56 op_sel:[0,1,0]
	v_pk_fma_f16 v57, v135, v149, v57 op_sel:[0,1,0]
	;; [unrolled: 1-line block ×4, first 2 shown]
	v_pk_fma_f16 v60, v139, v150, v60 op_sel_hi:[1,0,1]
	v_pk_fma_f16 v61, v139, v151, v61 op_sel:[0,1,0]
	v_pk_fma_f16 v62, v140, v151, v62 op_sel:[0,1,0]
	;; [unrolled: 1-line block ×3, first 2 shown]
	v_pk_fma_f16 v72, v118, v112, v72 op_sel_hi:[1,0,1]
	v_pk_fma_f16 v65, v119, v112, v65 op_sel_hi:[1,0,1]
	v_pk_fma_f16 v8, v119, v112, v8 op_sel:[0,1,0]
	v_pk_fma_f16 v9, v119, v113, v9 op_sel_hi:[1,0,1]
	v_pk_fma_f16 v66, v120, v112, v66 op_sel_hi:[1,0,1]
	;; [unrolled: 1-line block ×3, first 2 shown]
	v_pk_fma_f16 v4, v121, v112, v4 op_sel:[0,1,0]
	v_pk_fma_f16 v6, v121, v113, v6 op_sel_hi:[1,0,1]
	v_pk_fma_f16 v5, v121, v113, v5 op_sel:[0,1,0]
	v_pk_fma_f16 v79, v94, v108, v79 op_sel:[0,1,0]
	v_pk_fma_f16 v80, v94, v109, v80 op_sel_hi:[1,0,1]
	v_pk_fma_f16 v73, v120, v112, v73 op_sel:[0,1,0]
	v_pk_fma_f16 v74, v120, v113, v74 op_sel_hi:[1,0,1]
	v_pk_fma_f16 v7, v122, v146, v7 op_sel_hi:[1,0,1]
	v_pk_fma_f16 v10, v122, v146, v10 op_sel:[0,1,0]
	v_pk_fma_f16 v11, v122, v147, v11 op_sel_hi:[1,0,1]
	v_pk_fma_f16 v68, v123, v146, v68 op_sel:[0,1,0]
	v_pk_fma_f16 v69, v123, v147, v69 op_sel_hi:[1,0,1]
	v_pk_fma_f16 v70, v124, v146, v70 op_sel_hi:[1,0,1]
	v_pk_fma_f16 v75, v124, v146, v75 op_sel:[0,1,0]
	v_pk_fma_f16 v76, v124, v147, v76 op_sel_hi:[1,0,1]
	;; [unrolled: 3-line block ×3, first 2 shown]
	v_pk_fma_f16 v85, v142, v151, v56 op_sel:[0,1,0]
	v_pk_fma_f16 v86, v143, v151, v57 op_sel:[0,1,0]
	;; [unrolled: 1-line block ×4, first 2 shown]
	v_pk_fma_f16 v92, v155, v152, v60 op_sel_hi:[1,0,1]
	v_pk_fma_f16 v96, v155, v153, v61 op_sel:[0,1,0]
	v_pk_fma_f16 v98, v156, v153, v62 op_sel:[0,1,0]
	v_pk_fma_f16 v100, v157, v153, v63 op_sel:[0,1,0]
	s_waitcnt vmcnt(3)
	ds_store_b128 v43, v[162:165]
	s_waitcnt vmcnt(2)
	ds_store_b128 v44, v[166:169]
	s_waitcnt vmcnt(1)
	ds_store_b128 v45, v[170:173]
	s_waitcnt vmcnt(0)
	ds_store_b128 v46, v[174:177]
	s_waitcnt lgkmcnt(0)
	s_barrier
	buffer_gl0_inv
	ds_load_2addr_b64 v[56:59], v64 offset1:32
	ds_load_b128 v[60:63], v41 offset:128
	v_pk_fma_f16 v72, v126, v146, v72 op_sel_hi:[1,0,1]
	v_pk_fma_f16 v65, v127, v146, v65 op_sel_hi:[1,0,1]
	v_pk_fma_f16 v8, v127, v146, v8 op_sel:[0,1,0]
	v_pk_fma_f16 v9, v127, v147, v9 op_sel_hi:[1,0,1]
	v_pk_fma_f16 v66, v128, v146, v66 op_sel_hi:[1,0,1]
	v_pk_fma_f16 v67, v129, v146, v67 op_sel_hi:[1,0,1]
	v_pk_fma_f16 v4, v129, v146, v4 op_sel:[0,1,0]
	v_pk_fma_f16 v6, v129, v147, v6 op_sel_hi:[1,0,1]
	v_pk_fma_f16 v5, v129, v147, v5 op_sel:[0,1,0]
	v_pk_fma_f16 v79, v102, v110, v79 op_sel:[0,1,0]
	v_pk_fma_f16 v80, v102, v111, v80 op_sel_hi:[1,0,1]
	v_pk_fma_f16 v73, v128, v146, v73 op_sel:[0,1,0]
	v_pk_fma_f16 v74, v128, v147, v74 op_sel_hi:[1,0,1]
	v_pk_fma_f16 v7, v130, v148, v7 op_sel_hi:[1,0,1]
	v_pk_fma_f16 v10, v130, v148, v10 op_sel:[0,1,0]
	v_pk_fma_f16 v11, v130, v149, v11 op_sel_hi:[1,0,1]
	v_pk_fma_f16 v68, v131, v148, v68 op_sel:[0,1,0]
	v_pk_fma_f16 v69, v131, v149, v69 op_sel_hi:[1,0,1]
	v_pk_fma_f16 v70, v132, v148, v70 op_sel_hi:[1,0,1]
	v_pk_fma_f16 v75, v132, v148, v75 op_sel:[0,1,0]
	v_pk_fma_f16 v76, v132, v149, v76 op_sel_hi:[1,0,1]
	v_pk_fma_f16 v71, v133, v148, v71 op_sel_hi:[1,0,1]
	v_pk_fma_f16 v77, v133, v148, v77 op_sel:[0,1,0]
	v_pk_fma_f16 v78, v133, v149, v78 op_sel_hi:[1,0,1]
	v_pk_fma_f16 v72, v134, v148, v72 op_sel_hi:[1,0,1]
	v_pk_fma_f16 v65, v135, v148, v65 op_sel_hi:[1,0,1]
	v_pk_fma_f16 v8, v135, v148, v8 op_sel:[0,1,0]
	v_pk_fma_f16 v9, v135, v149, v9 op_sel_hi:[1,0,1]
	v_pk_fma_f16 v66, v136, v148, v66 op_sel_hi:[1,0,1]
	v_pk_fma_f16 v67, v137, v148, v67 op_sel_hi:[1,0,1]
	v_pk_fma_f16 v4, v137, v148, v4 op_sel:[0,1,0]
	v_pk_fma_f16 v6, v137, v149, v6 op_sel_hi:[1,0,1]
	v_pk_fma_f16 v5, v137, v149, v5 op_sel:[0,1,0]
	v_pk_fma_f16 v79, v118, v112, v79 op_sel:[0,1,0]
	v_pk_fma_f16 v80, v118, v113, v80 op_sel_hi:[1,0,1]
	v_pk_fma_f16 v73, v136, v148, v73 op_sel:[0,1,0]
	v_pk_fma_f16 v74, v136, v149, v74 op_sel_hi:[1,0,1]
	v_pk_fma_f16 v7, v138, v150, v7 op_sel_hi:[1,0,1]
	v_pk_fma_f16 v10, v138, v150, v10 op_sel:[0,1,0]
	v_pk_fma_f16 v11, v138, v151, v11 op_sel_hi:[1,0,1]
	v_pk_fma_f16 v68, v139, v150, v68 op_sel:[0,1,0]
	v_pk_fma_f16 v69, v139, v151, v69 op_sel_hi:[1,0,1]
	v_pk_fma_f16 v70, v140, v150, v70 op_sel_hi:[1,0,1]
	v_pk_fma_f16 v75, v140, v150, v75 op_sel:[0,1,0]
	v_pk_fma_f16 v76, v140, v151, v76 op_sel_hi:[1,0,1]
	v_pk_fma_f16 v71, v141, v150, v71 op_sel_hi:[1,0,1]
	v_pk_fma_f16 v77, v141, v150, v77 op_sel:[0,1,0]
	v_pk_fma_f16 v78, v141, v151, v78 op_sel_hi:[1,0,1]
	;; [unrolled: 24-line block ×3, first 2 shown]
	v_pk_fma_f16 v101, v158, v152, v72 op_sel_hi:[1,0,1]
	v_pk_fma_f16 v102, v159, v152, v65 op_sel_hi:[1,0,1]
	v_pk_fma_f16 v103, v159, v152, v8 op_sel:[0,1,0]
	v_pk_fma_f16 v104, v159, v153, v9 op_sel_hi:[1,0,1]
	v_pk_fma_f16 v105, v160, v152, v66 op_sel_hi:[1,0,1]
	;; [unrolled: 1-line block ×3, first 2 shown]
	v_pk_fma_f16 v109, v161, v152, v4 op_sel:[0,1,0]
	v_pk_fma_f16 v110, v161, v153, v6 op_sel_hi:[1,0,1]
	v_pk_fma_f16 v111, v161, v153, v5 op_sel:[0,1,0]
	ds_load_2addr_b64 v[65:68], v64 offset0:64 offset1:96
	ds_load_b128 v[69:72], v41 offset:144
	ds_load_b128 v[8:11], v41 offset:160
	;; [unrolled: 1-line block ×3, first 2 shown]
	v_pk_fma_f16 v79, v134, v148, v79 op_sel:[0,1,0]
	v_pk_fma_f16 v80, v134, v149, v80 op_sel_hi:[1,0,1]
	v_pk_fma_f16 v106, v160, v152, v73 op_sel:[0,1,0]
	v_pk_fma_f16 v107, v160, v153, v74 op_sel_hi:[1,0,1]
	s_waitcnt lgkmcnt(4)
	v_pk_fma_f16 v88, v56, v60, v88 op_sel_hi:[1,0,1]
	v_pk_fma_f16 v89, v56, v60, v89 op_sel:[0,1,0]
	v_pk_fma_f16 v90, v56, v61, v90 op_sel_hi:[1,0,1]
	v_pk_fma_f16 v91, v56, v61, v91 op_sel:[0,1,0]
	v_pk_fma_f16 v92, v57, v60, v92 op_sel_hi:[1,0,1]
	v_pk_fma_f16 v94, v57, v60, v94 op_sel:[0,1,0]
	v_pk_fma_f16 v95, v57, v61, v95 op_sel_hi:[1,0,1]
	v_pk_fma_f16 v96, v57, v61, v96 op_sel:[0,1,0]
	v_pk_fma_f16 v97, v58, v60, v97 op_sel_hi:[1,0,1]
	v_pk_fma_f16 v112, v58, v60, v75 op_sel:[0,1,0]
	v_pk_fma_f16 v113, v58, v61, v76 op_sel_hi:[1,0,1]
	v_pk_fma_f16 v98, v58, v61, v98 op_sel:[0,1,0]
	v_pk_fma_f16 v99, v59, v60, v99 op_sel_hi:[1,0,1]
	v_pk_fma_f16 v77, v59, v60, v77 op_sel:[0,1,0]
	ds_load_2addr_b64 v[73:76], v64 offset0:128 offset1:160
	v_pk_fma_f16 v78, v59, v61, v78 op_sel_hi:[1,0,1]
	v_pk_fma_f16 v100, v59, v61, v100 op_sel:[0,1,0]
	ds_load_2addr_b64 v[56:59], v64 offset0:192 offset1:224
	v_pk_fma_f16 v79, v142, v150, v79 op_sel:[0,1,0]
	v_pk_fma_f16 v80, v142, v151, v80 op_sel_hi:[1,0,1]
	v_pk_fma_f16 v85, v158, v153, v85 op_sel:[0,1,0]
	v_pk_fma_f16 v86, v159, v153, v86 op_sel:[0,1,0]
	;; [unrolled: 1-line block ×4, first 2 shown]
	v_pk_fma_f16 v80, v158, v153, v80 op_sel_hi:[1,0,1]
	s_waitcnt lgkmcnt(5)
	v_pk_fma_f16 v101, v65, v60, v101 op_sel_hi:[1,0,1]
	v_pk_fma_f16 v85, v65, v61, v85 op_sel:[0,1,0]
	v_pk_fma_f16 v102, v66, v60, v102 op_sel_hi:[1,0,1]
	v_pk_fma_f16 v79, v65, v60, v79 op_sel:[0,1,0]
	v_pk_fma_f16 v80, v65, v61, v80 op_sel_hi:[1,0,1]
	v_pk_fma_f16 v103, v66, v60, v103 op_sel:[0,1,0]
	v_pk_fma_f16 v104, v66, v61, v104 op_sel_hi:[1,0,1]
	v_pk_fma_f16 v86, v66, v61, v86 op_sel:[0,1,0]
	v_pk_fma_f16 v105, v67, v60, v105 op_sel_hi:[1,0,1]
	v_pk_fma_f16 v106, v67, v60, v106 op_sel:[0,1,0]
	v_pk_fma_f16 v107, v67, v61, v107 op_sel_hi:[1,0,1]
	v_pk_fma_f16 v87, v67, v61, v87 op_sel:[0,1,0]
	v_pk_fma_f16 v108, v68, v60, v108 op_sel_hi:[1,0,1]
	v_pk_fma_f16 v60, v68, v60, v109 op_sel:[0,1,0]
	v_pk_fma_f16 v109, v68, v61, v110 op_sel_hi:[1,0,1]
	v_pk_fma_f16 v61, v68, v61, v111 op_sel:[0,1,0]
	ds_load_2addr_b64 v[65:68], v53 offset1:32
	s_waitcnt lgkmcnt(2)
	v_pk_fma_f16 v88, v73, v62, v88 op_sel_hi:[1,0,1]
	v_pk_fma_f16 v89, v73, v62, v89 op_sel:[0,1,0]
	v_pk_fma_f16 v90, v73, v63, v90 op_sel_hi:[1,0,1]
	v_pk_fma_f16 v91, v73, v63, v91 op_sel:[0,1,0]
	;; [unrolled: 2-line block ×8, first 2 shown]
	s_waitcnt lgkmcnt(1)
	v_pk_fma_f16 v101, v56, v62, v101 op_sel_hi:[1,0,1]
	v_pk_fma_f16 v79, v56, v62, v79 op_sel:[0,1,0]
	v_pk_fma_f16 v80, v56, v63, v80 op_sel_hi:[1,0,1]
	v_pk_fma_f16 v85, v56, v63, v85 op_sel:[0,1,0]
	;; [unrolled: 2-line block ×7, first 2 shown]
	ds_load_2addr_b64 v[73:76], v53 offset0:64 offset1:96
	v_pk_fma_f16 v109, v59, v63, v109 op_sel_hi:[1,0,1]
	v_pk_fma_f16 v112, v59, v63, v61 op_sel:[0,1,0]
	ds_load_2addr_b64 v[56:59], v53 offset0:128 offset1:160
	s_waitcnt lgkmcnt(2)
	v_pk_fma_f16 v88, v65, v69, v88 op_sel_hi:[1,0,1]
	v_pk_fma_f16 v89, v65, v69, v89 op_sel:[0,1,0]
	v_pk_fma_f16 v90, v65, v70, v90 op_sel_hi:[1,0,1]
	v_pk_fma_f16 v65, v65, v70, v91 op_sel:[0,1,0]
	;; [unrolled: 2-line block ×8, first 2 shown]
	s_waitcnt lgkmcnt(1)
	v_pk_fma_f16 v100, v73, v69, v101 op_sel_hi:[1,0,1]
	v_pk_fma_f16 v79, v73, v69, v79 op_sel:[0,1,0]
	v_pk_fma_f16 v80, v73, v70, v80 op_sel_hi:[1,0,1]
	v_pk_fma_f16 v73, v73, v70, v85 op_sel:[0,1,0]
	v_pk_fma_f16 v85, v74, v69, v102 op_sel_hi:[1,0,1]
	v_pk_fma_f16 v101, v74, v69, v103 op_sel:[0,1,0]
	v_pk_fma_f16 v102, v74, v70, v104 op_sel_hi:[1,0,1]
	v_pk_fma_f16 v74, v74, v70, v86 op_sel:[0,1,0]
	v_pk_fma_f16 v86, v75, v69, v105 op_sel_hi:[1,0,1]
	v_pk_fma_f16 v103, v75, v69, v106 op_sel:[0,1,0]
	v_pk_fma_f16 v104, v75, v70, v107 op_sel_hi:[1,0,1]
	v_pk_fma_f16 v75, v75, v70, v87 op_sel:[0,1,0]
	v_pk_fma_f16 v87, v76, v69, v108 op_sel_hi:[1,0,1]
	v_pk_fma_f16 v69, v76, v69, v60 op_sel:[0,1,0]
	ds_load_2addr_b64 v[60:63], v53 offset0:192 offset1:224
	v_pk_fma_f16 v105, v76, v70, v109 op_sel_hi:[1,0,1]
	v_pk_fma_f16 v70, v76, v70, v112 op_sel:[0,1,0]
	s_waitcnt lgkmcnt(1)
	v_pk_fma_f16 v76, v56, v71, v88 op_sel_hi:[1,0,1]
	v_pk_fma_f16 v88, v56, v71, v89 op_sel:[0,1,0]
	v_pk_fma_f16 v89, v56, v72, v90 op_sel_hi:[1,0,1]
	v_pk_fma_f16 v90, v56, v72, v65 op_sel:[0,1,0]
	v_pk_fma_f16 v106, v57, v72, v66 op_sel:[0,1,0]
	;; [unrolled: 1-line block ×3, first 2 shown]
	ds_load_2addr_b64 v[65:68], v54 offset1:32
	v_pk_fma_f16 v91, v57, v71, v91 op_sel_hi:[1,0,1]
	v_pk_fma_f16 v92, v57, v71, v92 op_sel:[0,1,0]
	v_pk_fma_f16 v94, v57, v72, v94 op_sel_hi:[1,0,1]
	v_pk_fma_f16 v95, v58, v71, v95 op_sel_hi:[1,0,1]
	v_pk_fma_f16 v96, v58, v71, v96 op_sel:[0,1,0]
	v_pk_fma_f16 v97, v58, v72, v97 op_sel_hi:[1,0,1]
	;; [unrolled: 3-line block ×3, first 2 shown]
	v_pk_fma_f16 v99, v59, v72, v99 op_sel:[0,1,0]
	ds_load_2addr_b64 v[56:59], v54 offset0:64 offset1:96
	s_or_b32 s4, s13, 32
	s_waitcnt lgkmcnt(2)
	v_pk_fma_f16 v100, v60, v71, v100 op_sel_hi:[1,0,1]
	v_pk_fma_f16 v79, v60, v71, v79 op_sel:[0,1,0]
	v_pk_fma_f16 v80, v60, v72, v80 op_sel_hi:[1,0,1]
	v_pk_fma_f16 v73, v60, v72, v73 op_sel:[0,1,0]
	;; [unrolled: 2-line block ×8, first 2 shown]
	s_waitcnt lgkmcnt(1)
	v_pk_fma_f16 v72, v65, v8, v76 op_sel_hi:[1,0,1]
	v_pk_fma_f16 v76, v65, v8, v88 op_sel:[0,1,0]
	v_pk_fma_f16 v88, v65, v9, v89 op_sel_hi:[1,0,1]
	v_pk_fma_f16 v89, v65, v9, v90 op_sel:[0,1,0]
	;; [unrolled: 2-line block ×7, first 2 shown]
	ds_load_2addr_b64 v[60:63], v54 offset0:128 offset1:160
	v_pk_fma_f16 v78, v68, v9, v78 op_sel_hi:[1,0,1]
	v_pk_fma_f16 v99, v68, v9, v99 op_sel:[0,1,0]
	ds_load_2addr_b64 v[65:68], v54 offset0:192 offset1:224
	s_mul_hi_i32 s21, s4, s10
	s_mul_i32 s20, s4, s10
	s_waitcnt lgkmcnt(2)
	v_pk_fma_f16 v100, v56, v8, v100 op_sel_hi:[1,0,1]
	s_lshl_b64 s[20:21], s[20:21], 2
	v_pk_fma_f16 v79, v56, v8, v79 op_sel:[0,1,0]
	s_add_u32 s4, s11, s20
	v_pk_fma_f16 v80, v56, v9, v80 op_sel_hi:[1,0,1]
	v_pk_fma_f16 v56, v56, v9, v73 op_sel:[0,1,0]
	v_pk_fma_f16 v73, v57, v8, v85 op_sel_hi:[1,0,1]
	v_pk_fma_f16 v178, v57, v8, v101 op_sel:[0,1,0]
	;; [unrolled: 2-line block ×4, first 2 shown]
	s_addc_u32 s19, s16, s21
	v_add_co_u32 v8, vcc_lo, s4, v27
	v_pk_fma_f16 v179, v57, v9, v102 op_sel_hi:[1,0,1]
	v_pk_fma_f16 v180, v57, v9, v74 op_sel:[0,1,0]
	v_pk_fma_f16 v183, v58, v9, v104 op_sel_hi:[1,0,1]
	v_pk_fma_f16 v184, v58, v9, v75 op_sel:[0,1,0]
	;; [unrolled: 2-line block ×3, first 2 shown]
	v_add_co_ci_u32_e32 v9, vcc_lo, s19, v28, vcc_lo
	v_add_co_u32 v162, vcc_lo, s4, v29
	v_add_co_ci_u32_e32 v163, vcc_lo, s19, v30, vcc_lo
	v_add_co_u32 v8, vcc_lo, v8, v93
	s_delay_alu instid0(VALU_DEP_4) | instskip(NEXT) | instid1(VALU_DEP_4)
	v_add_co_ci_u32_e32 v9, vcc_lo, 0, v9, vcc_lo
	v_add_co_u32 v174, vcc_lo, v162, v93
	s_delay_alu instid0(VALU_DEP_4)
	v_add_co_ci_u32_e32 v175, vcc_lo, 0, v163, vcc_lo
	s_waitcnt lgkmcnt(1)
	v_pk_fma_f16 v189, v60, v10, v72 op_sel_hi:[1,0,1]
	v_pk_fma_f16 v190, v60, v10, v76 op_sel:[0,1,0]
	v_pk_fma_f16 v191, v60, v11, v88 op_sel_hi:[1,0,1]
	v_pk_fma_f16 v192, v60, v11, v89 op_sel:[0,1,0]
	;; [unrolled: 2-line block ×8, first 2 shown]
	s_waitcnt lgkmcnt(0)
	v_pk_fma_f16 v205, v65, v10, v100 op_sel_hi:[1,0,1]
	v_pk_fma_f16 v206, v65, v10, v79 op_sel:[0,1,0]
	v_pk_fma_f16 v207, v65, v11, v80 op_sel_hi:[1,0,1]
	v_pk_fma_f16 v65, v65, v11, v56 op_sel:[0,1,0]
	v_pk_fma_f16 v208, v66, v10, v73 op_sel_hi:[1,0,1]
	ds_load_2addr_b64 v[56:59], v55 offset1:32
	ds_load_2addr_b64 v[60:63], v55 offset0:64 offset1:96
	ds_load_2addr_b64 v[69:72], v55 offset0:128 offset1:160
	;; [unrolled: 1-line block ×3, first 2 shown]
	ds_load_2addr_b64 v[77:80], v52 offset1:32
	ds_load_2addr_b64 v[85:88], v52 offset0:64 offset1:96
	ds_load_2addr_b64 v[89:92], v52 offset0:128 offset1:160
	;; [unrolled: 1-line block ×3, first 2 shown]
	ds_load_2addr_b64 v[98:101], v51 offset1:32
	ds_load_2addr_b64 v[102:105], v51 offset0:64 offset1:96
	ds_load_b128 v[106:109], v41 offset:192
	ds_load_b128 v[110:113], v41 offset:208
	ds_load_2addr_b64 v[114:117], v51 offset0:128 offset1:160
	ds_load_2addr_b64 v[118:121], v51 offset0:192 offset1:224
	ds_load_2addr_b64 v[122:125], v50 offset1:32
	ds_load_2addr_b64 v[126:129], v50 offset0:64 offset1:96
	ds_load_2addr_b64 v[130:133], v50 offset0:128 offset1:160
	;; [unrolled: 1-line block ×3, first 2 shown]
	ds_load_2addr_b64 v[138:141], v49 offset1:32
	ds_load_2addr_b64 v[142:145], v49 offset0:64 offset1:96
	ds_load_b128 v[146:149], v41 offset:224
	ds_load_b128 v[150:153], v41 offset:240
	ds_load_2addr_b64 v[154:157], v49 offset0:128 offset1:160
	ds_load_2addr_b64 v[158:161], v49 offset0:192 offset1:224
	s_waitcnt lgkmcnt(0)
	s_barrier
	buffer_gl0_inv
	s_clause 0x3
	global_load_b128 v[162:165], v[8:9], off
	global_load_b128 v[166:169], v[8:9], off offset:512
	global_load_b128 v[170:173], v[174:175], off
	global_load_b128 v[174:177], v[174:175], off offset:512
	v_pk_fma_f16 v8, v66, v10, v178 op_sel:[0,1,0]
	v_pk_fma_f16 v9, v66, v11, v179 op_sel_hi:[1,0,1]
	v_pk_fma_f16 v66, v66, v11, v180 op_sel:[0,1,0]
	v_pk_fma_f16 v178, v67, v10, v181 op_sel_hi:[1,0,1]
	;; [unrolled: 2-line block ×24, first 2 shown]
	v_pk_fma_f16 v57, v70, v7, v57 op_sel:[0,1,0]
	v_pk_fma_f16 v58, v71, v7, v58 op_sel:[0,1,0]
	;; [unrolled: 1-line block ×4, first 2 shown]
	v_pk_fma_f16 v181, v70, v7, v187 op_sel_hi:[1,0,1]
	v_pk_fma_f16 v70, v71, v6, v188 op_sel_hi:[1,0,1]
	v_pk_fma_f16 v182, v71, v6, v189 op_sel:[0,1,0]
	v_pk_fma_f16 v183, v71, v7, v190 op_sel_hi:[1,0,1]
	v_pk_fma_f16 v71, v72, v6, v191 op_sel_hi:[1,0,1]
	v_pk_fma_f16 v184, v72, v6, v192 op_sel:[0,1,0]
	;; [unrolled: 3-line block ×3, first 2 shown]
	v_pk_fma_f16 v187, v73, v7, v196 op_sel_hi:[1,0,1]
	v_pk_fma_f16 v60, v73, v7, v60 op_sel:[0,1,0]
	v_pk_fma_f16 v65, v74, v6, v65 op_sel_hi:[1,0,1]
	v_pk_fma_f16 v8, v74, v6, v8 op_sel:[0,1,0]
	v_pk_fma_f16 v61, v74, v7, v61 op_sel:[0,1,0]
	v_pk_fma_f16 v66, v75, v6, v66 op_sel_hi:[1,0,1]
	v_pk_fma_f16 v73, v75, v6, v178 op_sel:[0,1,0]
	;; [unrolled: 3-line block ×3, first 2 shown]
	v_pk_fma_f16 v6, v76, v7, v10 op_sel_hi:[1,0,1]
	v_pk_fma_f16 v10, v77, v106, v63 op_sel:[0,1,0]
	v_pk_fma_f16 v56, v77, v107, v56 op_sel:[0,1,0]
	v_pk_fma_f16 v63, v78, v106, v69 op_sel_hi:[1,0,1]
	v_pk_fma_f16 v57, v78, v107, v57 op_sel:[0,1,0]
	v_pk_fma_f16 v58, v79, v107, v58 op_sel:[0,1,0]
	;; [unrolled: 1-line block ×7, first 2 shown]
	v_pk_fma_f16 v63, v90, v108, v63 op_sel_hi:[1,0,1]
	v_pk_fma_f16 v57, v90, v109, v57 op_sel:[0,1,0]
	v_pk_fma_f16 v58, v91, v109, v58 op_sel:[0,1,0]
	;; [unrolled: 1-line block ×7, first 2 shown]
	v_pk_fma_f16 v63, v99, v110, v63 op_sel_hi:[1,0,1]
	v_pk_fma_f16 v57, v99, v111, v57 op_sel:[0,1,0]
	v_pk_fma_f16 v58, v100, v111, v58 op_sel:[0,1,0]
	;; [unrolled: 1-line block ×3, first 2 shown]
	v_pk_fma_f16 v9, v74, v7, v9 op_sel_hi:[1,0,1]
	v_pk_fma_f16 v5, v76, v7, v5 op_sel:[0,1,0]
	v_pk_fma_f16 v74, v75, v7, v179 op_sel_hi:[1,0,1]
	v_pk_fma_f16 v7, v77, v106, v11 op_sel_hi:[1,0,1]
	;; [unrolled: 1-line block ×3, first 2 shown]
	v_pk_fma_f16 v68, v78, v106, v180 op_sel:[0,1,0]
	v_pk_fma_f16 v69, v78, v107, v181 op_sel_hi:[1,0,1]
	v_pk_fma_f16 v70, v79, v106, v70 op_sel_hi:[1,0,1]
	v_pk_fma_f16 v75, v79, v106, v182 op_sel:[0,1,0]
	v_pk_fma_f16 v76, v79, v107, v183 op_sel_hi:[1,0,1]
	v_pk_fma_f16 v71, v80, v106, v71 op_sel_hi:[1,0,1]
	v_pk_fma_f16 v77, v80, v106, v184 op_sel:[0,1,0]
	v_pk_fma_f16 v78, v80, v107, v185 op_sel_hi:[1,0,1]
	v_pk_fma_f16 v60, v102, v111, v60 op_sel:[0,1,0]
	v_pk_fma_f16 v61, v103, v111, v61 op_sel:[0,1,0]
	;; [unrolled: 1-line block ×4, first 2 shown]
	v_pk_fma_f16 v63, v115, v112, v63 op_sel_hi:[1,0,1]
	v_pk_fma_f16 v57, v115, v113, v57 op_sel:[0,1,0]
	v_pk_fma_f16 v58, v116, v113, v58 op_sel:[0,1,0]
	;; [unrolled: 1-line block ×3, first 2 shown]
	v_pk_fma_f16 v72, v85, v106, v72 op_sel_hi:[1,0,1]
	v_pk_fma_f16 v65, v86, v106, v65 op_sel_hi:[1,0,1]
	v_pk_fma_f16 v8, v86, v106, v8 op_sel:[0,1,0]
	v_pk_fma_f16 v9, v86, v107, v9 op_sel_hi:[1,0,1]
	v_pk_fma_f16 v66, v87, v106, v66 op_sel_hi:[1,0,1]
	;; [unrolled: 1-line block ×3, first 2 shown]
	v_pk_fma_f16 v4, v88, v106, v4 op_sel:[0,1,0]
	v_pk_fma_f16 v6, v88, v107, v6 op_sel_hi:[1,0,1]
	v_pk_fma_f16 v5, v88, v107, v5 op_sel:[0,1,0]
	v_pk_fma_f16 v73, v87, v106, v73 op_sel:[0,1,0]
	v_pk_fma_f16 v74, v87, v107, v74 op_sel_hi:[1,0,1]
	v_pk_fma_f16 v7, v89, v108, v7 op_sel_hi:[1,0,1]
	v_pk_fma_f16 v10, v89, v108, v10 op_sel:[0,1,0]
	v_pk_fma_f16 v11, v89, v109, v11 op_sel_hi:[1,0,1]
	v_pk_fma_f16 v68, v90, v108, v68 op_sel:[0,1,0]
	v_pk_fma_f16 v69, v90, v109, v69 op_sel_hi:[1,0,1]
	v_pk_fma_f16 v70, v91, v108, v70 op_sel_hi:[1,0,1]
	v_pk_fma_f16 v75, v91, v108, v75 op_sel:[0,1,0]
	v_pk_fma_f16 v76, v91, v109, v76 op_sel_hi:[1,0,1]
	;; [unrolled: 3-line block ×3, first 2 shown]
	v_pk_fma_f16 v60, v118, v113, v60 op_sel:[0,1,0]
	v_pk_fma_f16 v61, v119, v113, v61 op_sel:[0,1,0]
	;; [unrolled: 1-line block ×4, first 2 shown]
	v_pk_fma_f16 v63, v123, v146, v63 op_sel_hi:[1,0,1]
	v_pk_fma_f16 v57, v123, v147, v57 op_sel:[0,1,0]
	v_pk_fma_f16 v58, v124, v147, v58 op_sel:[0,1,0]
	;; [unrolled: 1-line block ×3, first 2 shown]
	v_pk_fma_f16 v72, v94, v108, v72 op_sel_hi:[1,0,1]
	v_pk_fma_f16 v65, v95, v108, v65 op_sel_hi:[1,0,1]
	v_pk_fma_f16 v8, v95, v108, v8 op_sel:[0,1,0]
	v_pk_fma_f16 v9, v95, v109, v9 op_sel_hi:[1,0,1]
	v_pk_fma_f16 v66, v96, v108, v66 op_sel_hi:[1,0,1]
	;; [unrolled: 1-line block ×3, first 2 shown]
	v_pk_fma_f16 v4, v97, v108, v4 op_sel:[0,1,0]
	v_pk_fma_f16 v6, v97, v109, v6 op_sel_hi:[1,0,1]
	v_pk_fma_f16 v5, v97, v109, v5 op_sel:[0,1,0]
	v_pk_fma_f16 v73, v96, v108, v73 op_sel:[0,1,0]
	v_pk_fma_f16 v74, v96, v109, v74 op_sel_hi:[1,0,1]
	v_pk_fma_f16 v7, v98, v110, v7 op_sel_hi:[1,0,1]
	v_pk_fma_f16 v10, v98, v110, v10 op_sel:[0,1,0]
	v_pk_fma_f16 v11, v98, v111, v11 op_sel_hi:[1,0,1]
	v_pk_fma_f16 v68, v99, v110, v68 op_sel:[0,1,0]
	v_pk_fma_f16 v69, v99, v111, v69 op_sel_hi:[1,0,1]
	v_pk_fma_f16 v70, v100, v110, v70 op_sel_hi:[1,0,1]
	v_pk_fma_f16 v75, v100, v110, v75 op_sel:[0,1,0]
	v_pk_fma_f16 v76, v100, v111, v76 op_sel_hi:[1,0,1]
	;; [unrolled: 3-line block ×3, first 2 shown]
	v_pk_fma_f16 v60, v126, v147, v60 op_sel:[0,1,0]
	v_pk_fma_f16 v61, v127, v147, v61 op_sel:[0,1,0]
	;; [unrolled: 1-line block ×4, first 2 shown]
	v_pk_fma_f16 v63, v131, v148, v63 op_sel_hi:[1,0,1]
	v_pk_fma_f16 v57, v131, v149, v57 op_sel:[0,1,0]
	v_pk_fma_f16 v58, v132, v149, v58 op_sel:[0,1,0]
	;; [unrolled: 1-line block ×3, first 2 shown]
	v_pk_fma_f16 v72, v102, v110, v72 op_sel_hi:[1,0,1]
	v_pk_fma_f16 v65, v103, v110, v65 op_sel_hi:[1,0,1]
	v_pk_fma_f16 v8, v103, v110, v8 op_sel:[0,1,0]
	v_pk_fma_f16 v9, v103, v111, v9 op_sel_hi:[1,0,1]
	v_pk_fma_f16 v66, v104, v110, v66 op_sel_hi:[1,0,1]
	;; [unrolled: 1-line block ×3, first 2 shown]
	v_pk_fma_f16 v4, v105, v110, v4 op_sel:[0,1,0]
	v_pk_fma_f16 v6, v105, v111, v6 op_sel_hi:[1,0,1]
	v_pk_fma_f16 v5, v105, v111, v5 op_sel:[0,1,0]
	v_pk_fma_f16 v79, v85, v106, v186 op_sel:[0,1,0]
	v_pk_fma_f16 v80, v85, v107, v187 op_sel_hi:[1,0,1]
	v_pk_fma_f16 v73, v104, v110, v73 op_sel:[0,1,0]
	v_pk_fma_f16 v74, v104, v111, v74 op_sel_hi:[1,0,1]
	v_pk_fma_f16 v7, v114, v112, v7 op_sel_hi:[1,0,1]
	v_pk_fma_f16 v10, v114, v112, v10 op_sel:[0,1,0]
	v_pk_fma_f16 v11, v114, v113, v11 op_sel_hi:[1,0,1]
	v_pk_fma_f16 v68, v115, v112, v68 op_sel:[0,1,0]
	v_pk_fma_f16 v69, v115, v113, v69 op_sel_hi:[1,0,1]
	v_pk_fma_f16 v70, v116, v112, v70 op_sel_hi:[1,0,1]
	v_pk_fma_f16 v75, v116, v112, v75 op_sel:[0,1,0]
	v_pk_fma_f16 v76, v116, v113, v76 op_sel_hi:[1,0,1]
	;; [unrolled: 3-line block ×3, first 2 shown]
	v_pk_fma_f16 v60, v134, v149, v60 op_sel:[0,1,0]
	v_pk_fma_f16 v61, v135, v149, v61 op_sel:[0,1,0]
	;; [unrolled: 1-line block ×4, first 2 shown]
	v_pk_fma_f16 v63, v139, v150, v63 op_sel_hi:[1,0,1]
	v_pk_fma_f16 v57, v139, v151, v57 op_sel:[0,1,0]
	v_pk_fma_f16 v58, v140, v151, v58 op_sel:[0,1,0]
	;; [unrolled: 1-line block ×3, first 2 shown]
	v_pk_fma_f16 v72, v118, v112, v72 op_sel_hi:[1,0,1]
	v_pk_fma_f16 v65, v119, v112, v65 op_sel_hi:[1,0,1]
	v_pk_fma_f16 v8, v119, v112, v8 op_sel:[0,1,0]
	v_pk_fma_f16 v9, v119, v113, v9 op_sel_hi:[1,0,1]
	v_pk_fma_f16 v66, v120, v112, v66 op_sel_hi:[1,0,1]
	;; [unrolled: 1-line block ×3, first 2 shown]
	v_pk_fma_f16 v4, v121, v112, v4 op_sel:[0,1,0]
	v_pk_fma_f16 v6, v121, v113, v6 op_sel_hi:[1,0,1]
	v_pk_fma_f16 v5, v121, v113, v5 op_sel:[0,1,0]
	v_pk_fma_f16 v79, v94, v108, v79 op_sel:[0,1,0]
	v_pk_fma_f16 v80, v94, v109, v80 op_sel_hi:[1,0,1]
	v_pk_fma_f16 v73, v120, v112, v73 op_sel:[0,1,0]
	v_pk_fma_f16 v74, v120, v113, v74 op_sel_hi:[1,0,1]
	v_pk_fma_f16 v7, v122, v146, v7 op_sel_hi:[1,0,1]
	v_pk_fma_f16 v10, v122, v146, v10 op_sel:[0,1,0]
	v_pk_fma_f16 v11, v122, v147, v11 op_sel_hi:[1,0,1]
	v_pk_fma_f16 v68, v123, v146, v68 op_sel:[0,1,0]
	v_pk_fma_f16 v69, v123, v147, v69 op_sel_hi:[1,0,1]
	v_pk_fma_f16 v70, v124, v146, v70 op_sel_hi:[1,0,1]
	v_pk_fma_f16 v75, v124, v146, v75 op_sel:[0,1,0]
	v_pk_fma_f16 v76, v124, v147, v76 op_sel_hi:[1,0,1]
	;; [unrolled: 3-line block ×3, first 2 shown]
	v_pk_fma_f16 v85, v142, v151, v60 op_sel:[0,1,0]
	v_pk_fma_f16 v86, v143, v151, v61 op_sel:[0,1,0]
	;; [unrolled: 1-line block ×4, first 2 shown]
	v_pk_fma_f16 v92, v155, v152, v63 op_sel_hi:[1,0,1]
	v_pk_fma_f16 v96, v155, v153, v57 op_sel:[0,1,0]
	v_pk_fma_f16 v98, v156, v153, v58 op_sel:[0,1,0]
	;; [unrolled: 1-line block ×3, first 2 shown]
	s_waitcnt vmcnt(3)
	ds_store_b128 v43, v[162:165]
	s_waitcnt vmcnt(2)
	ds_store_b128 v44, v[166:169]
	;; [unrolled: 2-line block ×4, first 2 shown]
	s_waitcnt lgkmcnt(0)
	s_barrier
	buffer_gl0_inv
	ds_load_2addr_b64 v[56:59], v64 offset1:32
	ds_load_b128 v[60:63], v41 offset:256
	v_pk_fma_f16 v72, v126, v146, v72 op_sel_hi:[1,0,1]
	v_pk_fma_f16 v65, v127, v146, v65 op_sel_hi:[1,0,1]
	v_pk_fma_f16 v8, v127, v146, v8 op_sel:[0,1,0]
	v_pk_fma_f16 v9, v127, v147, v9 op_sel_hi:[1,0,1]
	v_pk_fma_f16 v66, v128, v146, v66 op_sel_hi:[1,0,1]
	v_pk_fma_f16 v67, v129, v146, v67 op_sel_hi:[1,0,1]
	v_pk_fma_f16 v4, v129, v146, v4 op_sel:[0,1,0]
	v_pk_fma_f16 v6, v129, v147, v6 op_sel_hi:[1,0,1]
	v_pk_fma_f16 v5, v129, v147, v5 op_sel:[0,1,0]
	v_pk_fma_f16 v79, v102, v110, v79 op_sel:[0,1,0]
	v_pk_fma_f16 v80, v102, v111, v80 op_sel_hi:[1,0,1]
	v_pk_fma_f16 v73, v128, v146, v73 op_sel:[0,1,0]
	v_pk_fma_f16 v74, v128, v147, v74 op_sel_hi:[1,0,1]
	v_pk_fma_f16 v7, v130, v148, v7 op_sel_hi:[1,0,1]
	v_pk_fma_f16 v10, v130, v148, v10 op_sel:[0,1,0]
	v_pk_fma_f16 v11, v130, v149, v11 op_sel_hi:[1,0,1]
	v_pk_fma_f16 v68, v131, v148, v68 op_sel:[0,1,0]
	v_pk_fma_f16 v69, v131, v149, v69 op_sel_hi:[1,0,1]
	v_pk_fma_f16 v70, v132, v148, v70 op_sel_hi:[1,0,1]
	v_pk_fma_f16 v75, v132, v148, v75 op_sel:[0,1,0]
	v_pk_fma_f16 v76, v132, v149, v76 op_sel_hi:[1,0,1]
	v_pk_fma_f16 v71, v133, v148, v71 op_sel_hi:[1,0,1]
	v_pk_fma_f16 v77, v133, v148, v77 op_sel:[0,1,0]
	v_pk_fma_f16 v78, v133, v149, v78 op_sel_hi:[1,0,1]
	v_pk_fma_f16 v72, v134, v148, v72 op_sel_hi:[1,0,1]
	v_pk_fma_f16 v65, v135, v148, v65 op_sel_hi:[1,0,1]
	v_pk_fma_f16 v8, v135, v148, v8 op_sel:[0,1,0]
	v_pk_fma_f16 v9, v135, v149, v9 op_sel_hi:[1,0,1]
	v_pk_fma_f16 v66, v136, v148, v66 op_sel_hi:[1,0,1]
	v_pk_fma_f16 v67, v137, v148, v67 op_sel_hi:[1,0,1]
	v_pk_fma_f16 v4, v137, v148, v4 op_sel:[0,1,0]
	v_pk_fma_f16 v6, v137, v149, v6 op_sel_hi:[1,0,1]
	v_pk_fma_f16 v5, v137, v149, v5 op_sel:[0,1,0]
	v_pk_fma_f16 v79, v118, v112, v79 op_sel:[0,1,0]
	v_pk_fma_f16 v80, v118, v113, v80 op_sel_hi:[1,0,1]
	v_pk_fma_f16 v73, v136, v148, v73 op_sel:[0,1,0]
	v_pk_fma_f16 v74, v136, v149, v74 op_sel_hi:[1,0,1]
	v_pk_fma_f16 v7, v138, v150, v7 op_sel_hi:[1,0,1]
	v_pk_fma_f16 v10, v138, v150, v10 op_sel:[0,1,0]
	v_pk_fma_f16 v11, v138, v151, v11 op_sel_hi:[1,0,1]
	v_pk_fma_f16 v68, v139, v150, v68 op_sel:[0,1,0]
	v_pk_fma_f16 v69, v139, v151, v69 op_sel_hi:[1,0,1]
	v_pk_fma_f16 v70, v140, v150, v70 op_sel_hi:[1,0,1]
	v_pk_fma_f16 v75, v140, v150, v75 op_sel:[0,1,0]
	v_pk_fma_f16 v76, v140, v151, v76 op_sel_hi:[1,0,1]
	v_pk_fma_f16 v71, v141, v150, v71 op_sel_hi:[1,0,1]
	v_pk_fma_f16 v77, v141, v150, v77 op_sel:[0,1,0]
	v_pk_fma_f16 v78, v141, v151, v78 op_sel_hi:[1,0,1]
	;; [unrolled: 24-line block ×3, first 2 shown]
	v_pk_fma_f16 v101, v158, v152, v72 op_sel_hi:[1,0,1]
	v_pk_fma_f16 v102, v159, v152, v65 op_sel_hi:[1,0,1]
	v_pk_fma_f16 v103, v159, v152, v8 op_sel:[0,1,0]
	v_pk_fma_f16 v104, v159, v153, v9 op_sel_hi:[1,0,1]
	v_pk_fma_f16 v105, v160, v152, v66 op_sel_hi:[1,0,1]
	;; [unrolled: 1-line block ×3, first 2 shown]
	v_pk_fma_f16 v109, v161, v152, v4 op_sel:[0,1,0]
	v_pk_fma_f16 v110, v161, v153, v6 op_sel_hi:[1,0,1]
	v_pk_fma_f16 v111, v161, v153, v5 op_sel:[0,1,0]
	ds_load_2addr_b64 v[65:68], v64 offset0:64 offset1:96
	ds_load_b128 v[69:72], v41 offset:272
	ds_load_b128 v[8:11], v41 offset:288
	;; [unrolled: 1-line block ×3, first 2 shown]
	v_pk_fma_f16 v79, v134, v148, v79 op_sel:[0,1,0]
	v_pk_fma_f16 v80, v134, v149, v80 op_sel_hi:[1,0,1]
	v_pk_fma_f16 v106, v160, v152, v73 op_sel:[0,1,0]
	v_pk_fma_f16 v107, v160, v153, v74 op_sel_hi:[1,0,1]
	s_waitcnt lgkmcnt(4)
	v_pk_fma_f16 v88, v56, v60, v88 op_sel_hi:[1,0,1]
	v_pk_fma_f16 v89, v56, v60, v89 op_sel:[0,1,0]
	v_pk_fma_f16 v90, v56, v61, v90 op_sel_hi:[1,0,1]
	v_pk_fma_f16 v91, v56, v61, v91 op_sel:[0,1,0]
	;; [unrolled: 2-line block ×7, first 2 shown]
	ds_load_2addr_b64 v[73:76], v64 offset0:128 offset1:160
	v_pk_fma_f16 v78, v59, v61, v78 op_sel_hi:[1,0,1]
	v_pk_fma_f16 v100, v59, v61, v100 op_sel:[0,1,0]
	ds_load_2addr_b64 v[56:59], v64 offset0:192 offset1:224
	v_pk_fma_f16 v79, v142, v150, v79 op_sel:[0,1,0]
	v_pk_fma_f16 v80, v142, v151, v80 op_sel_hi:[1,0,1]
	v_pk_fma_f16 v85, v158, v153, v85 op_sel:[0,1,0]
	v_pk_fma_f16 v86, v159, v153, v86 op_sel:[0,1,0]
	;; [unrolled: 1-line block ×4, first 2 shown]
	v_pk_fma_f16 v80, v158, v153, v80 op_sel_hi:[1,0,1]
	s_waitcnt lgkmcnt(5)
	v_pk_fma_f16 v101, v65, v60, v101 op_sel_hi:[1,0,1]
	v_pk_fma_f16 v85, v65, v61, v85 op_sel:[0,1,0]
	v_pk_fma_f16 v102, v66, v60, v102 op_sel_hi:[1,0,1]
	v_pk_fma_f16 v79, v65, v60, v79 op_sel:[0,1,0]
	v_pk_fma_f16 v80, v65, v61, v80 op_sel_hi:[1,0,1]
	v_pk_fma_f16 v103, v66, v60, v103 op_sel:[0,1,0]
	v_pk_fma_f16 v104, v66, v61, v104 op_sel_hi:[1,0,1]
	v_pk_fma_f16 v86, v66, v61, v86 op_sel:[0,1,0]
	v_pk_fma_f16 v105, v67, v60, v105 op_sel_hi:[1,0,1]
	v_pk_fma_f16 v106, v67, v60, v106 op_sel:[0,1,0]
	v_pk_fma_f16 v107, v67, v61, v107 op_sel_hi:[1,0,1]
	v_pk_fma_f16 v87, v67, v61, v87 op_sel:[0,1,0]
	v_pk_fma_f16 v108, v68, v60, v108 op_sel_hi:[1,0,1]
	v_pk_fma_f16 v60, v68, v60, v109 op_sel:[0,1,0]
	v_pk_fma_f16 v109, v68, v61, v110 op_sel_hi:[1,0,1]
	v_pk_fma_f16 v61, v68, v61, v111 op_sel:[0,1,0]
	ds_load_2addr_b64 v[65:68], v53 offset1:32
	s_waitcnt lgkmcnt(2)
	v_pk_fma_f16 v88, v73, v62, v88 op_sel_hi:[1,0,1]
	v_pk_fma_f16 v89, v73, v62, v89 op_sel:[0,1,0]
	v_pk_fma_f16 v90, v73, v63, v90 op_sel_hi:[1,0,1]
	v_pk_fma_f16 v91, v73, v63, v91 op_sel:[0,1,0]
	;; [unrolled: 2-line block ×8, first 2 shown]
	s_waitcnt lgkmcnt(1)
	v_pk_fma_f16 v101, v56, v62, v101 op_sel_hi:[1,0,1]
	v_pk_fma_f16 v79, v56, v62, v79 op_sel:[0,1,0]
	v_pk_fma_f16 v80, v56, v63, v80 op_sel_hi:[1,0,1]
	v_pk_fma_f16 v85, v56, v63, v85 op_sel:[0,1,0]
	;; [unrolled: 2-line block ×7, first 2 shown]
	ds_load_2addr_b64 v[73:76], v53 offset0:64 offset1:96
	v_pk_fma_f16 v109, v59, v63, v109 op_sel_hi:[1,0,1]
	v_pk_fma_f16 v112, v59, v63, v61 op_sel:[0,1,0]
	ds_load_2addr_b64 v[56:59], v53 offset0:128 offset1:160
	s_waitcnt lgkmcnt(2)
	v_pk_fma_f16 v88, v65, v69, v88 op_sel_hi:[1,0,1]
	v_pk_fma_f16 v89, v65, v69, v89 op_sel:[0,1,0]
	v_pk_fma_f16 v90, v65, v70, v90 op_sel_hi:[1,0,1]
	v_pk_fma_f16 v65, v65, v70, v91 op_sel:[0,1,0]
	;; [unrolled: 2-line block ×8, first 2 shown]
	s_waitcnt lgkmcnt(1)
	v_pk_fma_f16 v100, v73, v69, v101 op_sel_hi:[1,0,1]
	v_pk_fma_f16 v79, v73, v69, v79 op_sel:[0,1,0]
	v_pk_fma_f16 v80, v73, v70, v80 op_sel_hi:[1,0,1]
	v_pk_fma_f16 v73, v73, v70, v85 op_sel:[0,1,0]
	;; [unrolled: 2-line block ×7, first 2 shown]
	ds_load_2addr_b64 v[60:63], v53 offset0:192 offset1:224
	v_pk_fma_f16 v105, v76, v70, v109 op_sel_hi:[1,0,1]
	v_pk_fma_f16 v70, v76, v70, v112 op_sel:[0,1,0]
	s_waitcnt lgkmcnt(1)
	v_pk_fma_f16 v76, v56, v71, v88 op_sel_hi:[1,0,1]
	v_pk_fma_f16 v88, v56, v71, v89 op_sel:[0,1,0]
	v_pk_fma_f16 v89, v56, v72, v90 op_sel_hi:[1,0,1]
	v_pk_fma_f16 v90, v56, v72, v65 op_sel:[0,1,0]
	v_pk_fma_f16 v106, v57, v72, v66 op_sel:[0,1,0]
	v_pk_fma_f16 v107, v58, v72, v67 op_sel:[0,1,0]
	ds_load_2addr_b64 v[65:68], v54 offset1:32
	v_pk_fma_f16 v91, v57, v71, v91 op_sel_hi:[1,0,1]
	v_pk_fma_f16 v92, v57, v71, v92 op_sel:[0,1,0]
	v_pk_fma_f16 v94, v57, v72, v94 op_sel_hi:[1,0,1]
	v_pk_fma_f16 v95, v58, v71, v95 op_sel_hi:[1,0,1]
	v_pk_fma_f16 v96, v58, v71, v96 op_sel:[0,1,0]
	v_pk_fma_f16 v97, v58, v72, v97 op_sel_hi:[1,0,1]
	;; [unrolled: 3-line block ×3, first 2 shown]
	v_pk_fma_f16 v99, v59, v72, v99 op_sel:[0,1,0]
	ds_load_2addr_b64 v[56:59], v54 offset0:64 offset1:96
	s_or_b32 s4, s13, 48
	s_waitcnt lgkmcnt(2)
	v_pk_fma_f16 v100, v60, v71, v100 op_sel_hi:[1,0,1]
	v_pk_fma_f16 v79, v60, v71, v79 op_sel:[0,1,0]
	v_pk_fma_f16 v80, v60, v72, v80 op_sel_hi:[1,0,1]
	v_pk_fma_f16 v73, v60, v72, v73 op_sel:[0,1,0]
	v_pk_fma_f16 v85, v61, v71, v85 op_sel_hi:[1,0,1]
	v_pk_fma_f16 v101, v61, v71, v101 op_sel:[0,1,0]
	v_pk_fma_f16 v102, v61, v72, v102 op_sel_hi:[1,0,1]
	v_pk_fma_f16 v74, v61, v72, v74 op_sel:[0,1,0]
	v_pk_fma_f16 v86, v62, v71, v86 op_sel_hi:[1,0,1]
	v_pk_fma_f16 v103, v62, v71, v103 op_sel:[0,1,0]
	v_pk_fma_f16 v104, v62, v72, v104 op_sel_hi:[1,0,1]
	v_pk_fma_f16 v75, v62, v72, v75 op_sel:[0,1,0]
	v_pk_fma_f16 v87, v63, v71, v87 op_sel_hi:[1,0,1]
	v_pk_fma_f16 v69, v63, v71, v69 op_sel:[0,1,0]
	v_pk_fma_f16 v71, v63, v72, v105 op_sel_hi:[1,0,1]
	v_pk_fma_f16 v70, v63, v72, v70 op_sel:[0,1,0]
	s_waitcnt lgkmcnt(1)
	v_pk_fma_f16 v72, v65, v8, v76 op_sel_hi:[1,0,1]
	v_pk_fma_f16 v76, v65, v8, v88 op_sel:[0,1,0]
	v_pk_fma_f16 v88, v65, v9, v89 op_sel_hi:[1,0,1]
	v_pk_fma_f16 v89, v65, v9, v90 op_sel:[0,1,0]
	;; [unrolled: 2-line block ×7, first 2 shown]
	ds_load_2addr_b64 v[60:63], v54 offset0:128 offset1:160
	v_pk_fma_f16 v78, v68, v9, v78 op_sel_hi:[1,0,1]
	v_pk_fma_f16 v99, v68, v9, v99 op_sel:[0,1,0]
	ds_load_2addr_b64 v[65:68], v54 offset0:192 offset1:224
	s_mul_hi_i32 s21, s4, s10
	s_mul_i32 s20, s4, s10
	s_waitcnt lgkmcnt(2)
	v_pk_fma_f16 v100, v56, v8, v100 op_sel_hi:[1,0,1]
	s_lshl_b64 s[20:21], s[20:21], 2
	v_pk_fma_f16 v79, v56, v8, v79 op_sel:[0,1,0]
	s_add_u32 s4, s11, s20
	v_pk_fma_f16 v80, v56, v9, v80 op_sel_hi:[1,0,1]
	v_pk_fma_f16 v56, v56, v9, v73 op_sel:[0,1,0]
	v_pk_fma_f16 v73, v57, v8, v85 op_sel_hi:[1,0,1]
	v_pk_fma_f16 v178, v57, v8, v101 op_sel:[0,1,0]
	;; [unrolled: 2-line block ×4, first 2 shown]
	s_addc_u32 s19, s16, s21
	v_add_co_u32 v8, vcc_lo, s4, v27
	v_pk_fma_f16 v179, v57, v9, v102 op_sel_hi:[1,0,1]
	v_pk_fma_f16 v180, v57, v9, v74 op_sel:[0,1,0]
	v_pk_fma_f16 v183, v58, v9, v104 op_sel_hi:[1,0,1]
	v_pk_fma_f16 v184, v58, v9, v75 op_sel:[0,1,0]
	;; [unrolled: 2-line block ×3, first 2 shown]
	v_add_co_ci_u32_e32 v9, vcc_lo, s19, v28, vcc_lo
	v_add_co_u32 v162, vcc_lo, s4, v29
	v_add_co_ci_u32_e32 v163, vcc_lo, s19, v30, vcc_lo
	v_add_co_u32 v8, vcc_lo, v8, v93
	s_delay_alu instid0(VALU_DEP_4) | instskip(NEXT) | instid1(VALU_DEP_4)
	v_add_co_ci_u32_e32 v9, vcc_lo, 0, v9, vcc_lo
	v_add_co_u32 v174, vcc_lo, v162, v93
	s_delay_alu instid0(VALU_DEP_4)
	v_add_co_ci_u32_e32 v175, vcc_lo, 0, v163, vcc_lo
	s_waitcnt lgkmcnt(1)
	v_pk_fma_f16 v189, v60, v10, v72 op_sel_hi:[1,0,1]
	v_pk_fma_f16 v190, v60, v10, v76 op_sel:[0,1,0]
	v_pk_fma_f16 v191, v60, v11, v88 op_sel_hi:[1,0,1]
	v_pk_fma_f16 v192, v60, v11, v89 op_sel:[0,1,0]
	;; [unrolled: 2-line block ×8, first 2 shown]
	s_waitcnt lgkmcnt(0)
	v_pk_fma_f16 v205, v65, v10, v100 op_sel_hi:[1,0,1]
	v_pk_fma_f16 v206, v65, v10, v79 op_sel:[0,1,0]
	v_pk_fma_f16 v207, v65, v11, v80 op_sel_hi:[1,0,1]
	v_pk_fma_f16 v65, v65, v11, v56 op_sel:[0,1,0]
	v_pk_fma_f16 v208, v66, v10, v73 op_sel_hi:[1,0,1]
	ds_load_2addr_b64 v[56:59], v55 offset1:32
	ds_load_2addr_b64 v[60:63], v55 offset0:64 offset1:96
	ds_load_2addr_b64 v[69:72], v55 offset0:128 offset1:160
	;; [unrolled: 1-line block ×3, first 2 shown]
	ds_load_2addr_b64 v[77:80], v52 offset1:32
	ds_load_2addr_b64 v[85:88], v52 offset0:64 offset1:96
	ds_load_2addr_b64 v[89:92], v52 offset0:128 offset1:160
	;; [unrolled: 1-line block ×3, first 2 shown]
	ds_load_2addr_b64 v[98:101], v51 offset1:32
	ds_load_2addr_b64 v[102:105], v51 offset0:64 offset1:96
	ds_load_b128 v[106:109], v41 offset:320
	ds_load_b128 v[110:113], v41 offset:336
	ds_load_2addr_b64 v[114:117], v51 offset0:128 offset1:160
	ds_load_2addr_b64 v[118:121], v51 offset0:192 offset1:224
	ds_load_2addr_b64 v[122:125], v50 offset1:32
	ds_load_2addr_b64 v[126:129], v50 offset0:64 offset1:96
	ds_load_2addr_b64 v[130:133], v50 offset0:128 offset1:160
	;; [unrolled: 1-line block ×3, first 2 shown]
	ds_load_2addr_b64 v[138:141], v49 offset1:32
	ds_load_2addr_b64 v[142:145], v49 offset0:64 offset1:96
	ds_load_b128 v[146:149], v41 offset:352
	ds_load_b128 v[150:153], v41 offset:368
	ds_load_2addr_b64 v[154:157], v49 offset0:128 offset1:160
	ds_load_2addr_b64 v[158:161], v49 offset0:192 offset1:224
	s_waitcnt lgkmcnt(0)
	s_barrier
	buffer_gl0_inv
	s_clause 0x3
	global_load_b128 v[162:165], v[8:9], off
	global_load_b128 v[166:169], v[8:9], off offset:512
	global_load_b128 v[170:173], v[174:175], off
	global_load_b128 v[174:177], v[174:175], off offset:512
	v_pk_fma_f16 v8, v66, v10, v178 op_sel:[0,1,0]
	v_pk_fma_f16 v9, v66, v11, v179 op_sel_hi:[1,0,1]
	v_pk_fma_f16 v66, v66, v11, v180 op_sel:[0,1,0]
	v_pk_fma_f16 v178, v67, v10, v181 op_sel_hi:[1,0,1]
	;; [unrolled: 2-line block ×24, first 2 shown]
	v_pk_fma_f16 v57, v70, v7, v57 op_sel:[0,1,0]
	v_pk_fma_f16 v58, v71, v7, v58 op_sel:[0,1,0]
	;; [unrolled: 1-line block ×4, first 2 shown]
	v_pk_fma_f16 v181, v70, v7, v187 op_sel_hi:[1,0,1]
	v_pk_fma_f16 v70, v71, v6, v188 op_sel_hi:[1,0,1]
	v_pk_fma_f16 v182, v71, v6, v189 op_sel:[0,1,0]
	v_pk_fma_f16 v183, v71, v7, v190 op_sel_hi:[1,0,1]
	v_pk_fma_f16 v71, v72, v6, v191 op_sel_hi:[1,0,1]
	v_pk_fma_f16 v184, v72, v6, v192 op_sel:[0,1,0]
	;; [unrolled: 3-line block ×3, first 2 shown]
	v_pk_fma_f16 v187, v73, v7, v196 op_sel_hi:[1,0,1]
	v_pk_fma_f16 v60, v73, v7, v60 op_sel:[0,1,0]
	v_pk_fma_f16 v65, v74, v6, v65 op_sel_hi:[1,0,1]
	v_pk_fma_f16 v8, v74, v6, v8 op_sel:[0,1,0]
	v_pk_fma_f16 v61, v74, v7, v61 op_sel:[0,1,0]
	v_pk_fma_f16 v66, v75, v6, v66 op_sel_hi:[1,0,1]
	v_pk_fma_f16 v73, v75, v6, v178 op_sel:[0,1,0]
	;; [unrolled: 3-line block ×3, first 2 shown]
	v_pk_fma_f16 v6, v76, v7, v10 op_sel_hi:[1,0,1]
	v_pk_fma_f16 v10, v77, v106, v63 op_sel:[0,1,0]
	v_pk_fma_f16 v56, v77, v107, v56 op_sel:[0,1,0]
	v_pk_fma_f16 v63, v78, v106, v69 op_sel_hi:[1,0,1]
	v_pk_fma_f16 v57, v78, v107, v57 op_sel:[0,1,0]
	v_pk_fma_f16 v58, v79, v107, v58 op_sel:[0,1,0]
	;; [unrolled: 1-line block ×7, first 2 shown]
	v_pk_fma_f16 v63, v90, v108, v63 op_sel_hi:[1,0,1]
	v_pk_fma_f16 v57, v90, v109, v57 op_sel:[0,1,0]
	v_pk_fma_f16 v58, v91, v109, v58 op_sel:[0,1,0]
	;; [unrolled: 1-line block ×7, first 2 shown]
	v_pk_fma_f16 v63, v99, v110, v63 op_sel_hi:[1,0,1]
	v_pk_fma_f16 v57, v99, v111, v57 op_sel:[0,1,0]
	v_pk_fma_f16 v58, v100, v111, v58 op_sel:[0,1,0]
	;; [unrolled: 1-line block ×3, first 2 shown]
	v_pk_fma_f16 v9, v74, v7, v9 op_sel_hi:[1,0,1]
	v_pk_fma_f16 v5, v76, v7, v5 op_sel:[0,1,0]
	v_pk_fma_f16 v74, v75, v7, v179 op_sel_hi:[1,0,1]
	v_pk_fma_f16 v7, v77, v106, v11 op_sel_hi:[1,0,1]
	;; [unrolled: 1-line block ×3, first 2 shown]
	v_pk_fma_f16 v68, v78, v106, v180 op_sel:[0,1,0]
	v_pk_fma_f16 v69, v78, v107, v181 op_sel_hi:[1,0,1]
	v_pk_fma_f16 v70, v79, v106, v70 op_sel_hi:[1,0,1]
	v_pk_fma_f16 v75, v79, v106, v182 op_sel:[0,1,0]
	v_pk_fma_f16 v76, v79, v107, v183 op_sel_hi:[1,0,1]
	v_pk_fma_f16 v71, v80, v106, v71 op_sel_hi:[1,0,1]
	v_pk_fma_f16 v77, v80, v106, v184 op_sel:[0,1,0]
	v_pk_fma_f16 v78, v80, v107, v185 op_sel_hi:[1,0,1]
	v_pk_fma_f16 v60, v102, v111, v60 op_sel:[0,1,0]
	v_pk_fma_f16 v61, v103, v111, v61 op_sel:[0,1,0]
	;; [unrolled: 1-line block ×4, first 2 shown]
	v_pk_fma_f16 v63, v115, v112, v63 op_sel_hi:[1,0,1]
	v_pk_fma_f16 v57, v115, v113, v57 op_sel:[0,1,0]
	v_pk_fma_f16 v58, v116, v113, v58 op_sel:[0,1,0]
	;; [unrolled: 1-line block ×3, first 2 shown]
	v_pk_fma_f16 v72, v85, v106, v72 op_sel_hi:[1,0,1]
	v_pk_fma_f16 v65, v86, v106, v65 op_sel_hi:[1,0,1]
	v_pk_fma_f16 v8, v86, v106, v8 op_sel:[0,1,0]
	v_pk_fma_f16 v9, v86, v107, v9 op_sel_hi:[1,0,1]
	v_pk_fma_f16 v66, v87, v106, v66 op_sel_hi:[1,0,1]
	v_pk_fma_f16 v67, v88, v106, v67 op_sel_hi:[1,0,1]
	v_pk_fma_f16 v4, v88, v106, v4 op_sel:[0,1,0]
	v_pk_fma_f16 v6, v88, v107, v6 op_sel_hi:[1,0,1]
	v_pk_fma_f16 v5, v88, v107, v5 op_sel:[0,1,0]
	v_pk_fma_f16 v73, v87, v106, v73 op_sel:[0,1,0]
	v_pk_fma_f16 v74, v87, v107, v74 op_sel_hi:[1,0,1]
	v_pk_fma_f16 v7, v89, v108, v7 op_sel_hi:[1,0,1]
	v_pk_fma_f16 v10, v89, v108, v10 op_sel:[0,1,0]
	v_pk_fma_f16 v11, v89, v109, v11 op_sel_hi:[1,0,1]
	v_pk_fma_f16 v68, v90, v108, v68 op_sel:[0,1,0]
	v_pk_fma_f16 v69, v90, v109, v69 op_sel_hi:[1,0,1]
	v_pk_fma_f16 v70, v91, v108, v70 op_sel_hi:[1,0,1]
	v_pk_fma_f16 v75, v91, v108, v75 op_sel:[0,1,0]
	v_pk_fma_f16 v76, v91, v109, v76 op_sel_hi:[1,0,1]
	;; [unrolled: 3-line block ×3, first 2 shown]
	v_pk_fma_f16 v60, v118, v113, v60 op_sel:[0,1,0]
	v_pk_fma_f16 v61, v119, v113, v61 op_sel:[0,1,0]
	;; [unrolled: 1-line block ×4, first 2 shown]
	v_pk_fma_f16 v63, v123, v146, v63 op_sel_hi:[1,0,1]
	v_pk_fma_f16 v57, v123, v147, v57 op_sel:[0,1,0]
	v_pk_fma_f16 v58, v124, v147, v58 op_sel:[0,1,0]
	v_pk_fma_f16 v59, v125, v147, v59 op_sel:[0,1,0]
	v_pk_fma_f16 v72, v94, v108, v72 op_sel_hi:[1,0,1]
	v_pk_fma_f16 v65, v95, v108, v65 op_sel_hi:[1,0,1]
	v_pk_fma_f16 v8, v95, v108, v8 op_sel:[0,1,0]
	v_pk_fma_f16 v9, v95, v109, v9 op_sel_hi:[1,0,1]
	v_pk_fma_f16 v66, v96, v108, v66 op_sel_hi:[1,0,1]
	;; [unrolled: 1-line block ×3, first 2 shown]
	v_pk_fma_f16 v4, v97, v108, v4 op_sel:[0,1,0]
	v_pk_fma_f16 v6, v97, v109, v6 op_sel_hi:[1,0,1]
	v_pk_fma_f16 v5, v97, v109, v5 op_sel:[0,1,0]
	v_pk_fma_f16 v73, v96, v108, v73 op_sel:[0,1,0]
	v_pk_fma_f16 v74, v96, v109, v74 op_sel_hi:[1,0,1]
	v_pk_fma_f16 v7, v98, v110, v7 op_sel_hi:[1,0,1]
	v_pk_fma_f16 v10, v98, v110, v10 op_sel:[0,1,0]
	v_pk_fma_f16 v11, v98, v111, v11 op_sel_hi:[1,0,1]
	v_pk_fma_f16 v68, v99, v110, v68 op_sel:[0,1,0]
	v_pk_fma_f16 v69, v99, v111, v69 op_sel_hi:[1,0,1]
	v_pk_fma_f16 v70, v100, v110, v70 op_sel_hi:[1,0,1]
	v_pk_fma_f16 v75, v100, v110, v75 op_sel:[0,1,0]
	v_pk_fma_f16 v76, v100, v111, v76 op_sel_hi:[1,0,1]
	;; [unrolled: 3-line block ×3, first 2 shown]
	v_pk_fma_f16 v60, v126, v147, v60 op_sel:[0,1,0]
	v_pk_fma_f16 v61, v127, v147, v61 op_sel:[0,1,0]
	;; [unrolled: 1-line block ×4, first 2 shown]
	v_pk_fma_f16 v63, v131, v148, v63 op_sel_hi:[1,0,1]
	v_pk_fma_f16 v57, v131, v149, v57 op_sel:[0,1,0]
	v_pk_fma_f16 v58, v132, v149, v58 op_sel:[0,1,0]
	;; [unrolled: 1-line block ×3, first 2 shown]
	v_pk_fma_f16 v72, v102, v110, v72 op_sel_hi:[1,0,1]
	v_pk_fma_f16 v65, v103, v110, v65 op_sel_hi:[1,0,1]
	v_pk_fma_f16 v8, v103, v110, v8 op_sel:[0,1,0]
	v_pk_fma_f16 v9, v103, v111, v9 op_sel_hi:[1,0,1]
	v_pk_fma_f16 v66, v104, v110, v66 op_sel_hi:[1,0,1]
	;; [unrolled: 1-line block ×3, first 2 shown]
	v_pk_fma_f16 v4, v105, v110, v4 op_sel:[0,1,0]
	v_pk_fma_f16 v6, v105, v111, v6 op_sel_hi:[1,0,1]
	v_pk_fma_f16 v5, v105, v111, v5 op_sel:[0,1,0]
	v_pk_fma_f16 v79, v85, v106, v186 op_sel:[0,1,0]
	v_pk_fma_f16 v80, v85, v107, v187 op_sel_hi:[1,0,1]
	v_pk_fma_f16 v73, v104, v110, v73 op_sel:[0,1,0]
	v_pk_fma_f16 v74, v104, v111, v74 op_sel_hi:[1,0,1]
	v_pk_fma_f16 v7, v114, v112, v7 op_sel_hi:[1,0,1]
	v_pk_fma_f16 v10, v114, v112, v10 op_sel:[0,1,0]
	v_pk_fma_f16 v11, v114, v113, v11 op_sel_hi:[1,0,1]
	v_pk_fma_f16 v68, v115, v112, v68 op_sel:[0,1,0]
	v_pk_fma_f16 v69, v115, v113, v69 op_sel_hi:[1,0,1]
	v_pk_fma_f16 v70, v116, v112, v70 op_sel_hi:[1,0,1]
	v_pk_fma_f16 v75, v116, v112, v75 op_sel:[0,1,0]
	v_pk_fma_f16 v76, v116, v113, v76 op_sel_hi:[1,0,1]
	;; [unrolled: 3-line block ×3, first 2 shown]
	v_pk_fma_f16 v60, v134, v149, v60 op_sel:[0,1,0]
	v_pk_fma_f16 v61, v135, v149, v61 op_sel:[0,1,0]
	;; [unrolled: 1-line block ×4, first 2 shown]
	v_pk_fma_f16 v63, v139, v150, v63 op_sel_hi:[1,0,1]
	v_pk_fma_f16 v57, v139, v151, v57 op_sel:[0,1,0]
	v_pk_fma_f16 v58, v140, v151, v58 op_sel:[0,1,0]
	;; [unrolled: 1-line block ×3, first 2 shown]
	v_pk_fma_f16 v72, v118, v112, v72 op_sel_hi:[1,0,1]
	v_pk_fma_f16 v65, v119, v112, v65 op_sel_hi:[1,0,1]
	v_pk_fma_f16 v8, v119, v112, v8 op_sel:[0,1,0]
	v_pk_fma_f16 v9, v119, v113, v9 op_sel_hi:[1,0,1]
	v_pk_fma_f16 v66, v120, v112, v66 op_sel_hi:[1,0,1]
	;; [unrolled: 1-line block ×3, first 2 shown]
	v_pk_fma_f16 v4, v121, v112, v4 op_sel:[0,1,0]
	v_pk_fma_f16 v6, v121, v113, v6 op_sel_hi:[1,0,1]
	v_pk_fma_f16 v5, v121, v113, v5 op_sel:[0,1,0]
	v_pk_fma_f16 v79, v94, v108, v79 op_sel:[0,1,0]
	v_pk_fma_f16 v80, v94, v109, v80 op_sel_hi:[1,0,1]
	v_pk_fma_f16 v73, v120, v112, v73 op_sel:[0,1,0]
	v_pk_fma_f16 v74, v120, v113, v74 op_sel_hi:[1,0,1]
	v_pk_fma_f16 v7, v122, v146, v7 op_sel_hi:[1,0,1]
	v_pk_fma_f16 v10, v122, v146, v10 op_sel:[0,1,0]
	v_pk_fma_f16 v11, v122, v147, v11 op_sel_hi:[1,0,1]
	v_pk_fma_f16 v68, v123, v146, v68 op_sel:[0,1,0]
	v_pk_fma_f16 v69, v123, v147, v69 op_sel_hi:[1,0,1]
	v_pk_fma_f16 v70, v124, v146, v70 op_sel_hi:[1,0,1]
	v_pk_fma_f16 v75, v124, v146, v75 op_sel:[0,1,0]
	v_pk_fma_f16 v76, v124, v147, v76 op_sel_hi:[1,0,1]
	;; [unrolled: 3-line block ×3, first 2 shown]
	v_pk_fma_f16 v85, v142, v151, v60 op_sel:[0,1,0]
	v_pk_fma_f16 v86, v143, v151, v61 op_sel:[0,1,0]
	;; [unrolled: 1-line block ×4, first 2 shown]
	v_pk_fma_f16 v92, v155, v152, v63 op_sel_hi:[1,0,1]
	v_pk_fma_f16 v96, v155, v153, v57 op_sel:[0,1,0]
	v_pk_fma_f16 v98, v156, v153, v58 op_sel:[0,1,0]
	;; [unrolled: 1-line block ×3, first 2 shown]
	s_waitcnt vmcnt(3)
	ds_store_b128 v43, v[162:165]
	s_waitcnt vmcnt(2)
	ds_store_b128 v44, v[166:169]
	;; [unrolled: 2-line block ×4, first 2 shown]
	s_waitcnt lgkmcnt(0)
	s_barrier
	buffer_gl0_inv
	ds_load_2addr_b64 v[56:59], v64 offset1:32
	ds_load_b128 v[60:63], v41 offset:384
	v_pk_fma_f16 v72, v126, v146, v72 op_sel_hi:[1,0,1]
	v_pk_fma_f16 v65, v127, v146, v65 op_sel_hi:[1,0,1]
	v_pk_fma_f16 v8, v127, v146, v8 op_sel:[0,1,0]
	v_pk_fma_f16 v9, v127, v147, v9 op_sel_hi:[1,0,1]
	v_pk_fma_f16 v66, v128, v146, v66 op_sel_hi:[1,0,1]
	v_pk_fma_f16 v67, v129, v146, v67 op_sel_hi:[1,0,1]
	v_pk_fma_f16 v4, v129, v146, v4 op_sel:[0,1,0]
	v_pk_fma_f16 v6, v129, v147, v6 op_sel_hi:[1,0,1]
	v_pk_fma_f16 v5, v129, v147, v5 op_sel:[0,1,0]
	v_pk_fma_f16 v79, v102, v110, v79 op_sel:[0,1,0]
	v_pk_fma_f16 v80, v102, v111, v80 op_sel_hi:[1,0,1]
	v_pk_fma_f16 v73, v128, v146, v73 op_sel:[0,1,0]
	v_pk_fma_f16 v74, v128, v147, v74 op_sel_hi:[1,0,1]
	v_pk_fma_f16 v7, v130, v148, v7 op_sel_hi:[1,0,1]
	v_pk_fma_f16 v10, v130, v148, v10 op_sel:[0,1,0]
	v_pk_fma_f16 v11, v130, v149, v11 op_sel_hi:[1,0,1]
	v_pk_fma_f16 v68, v131, v148, v68 op_sel:[0,1,0]
	v_pk_fma_f16 v69, v131, v149, v69 op_sel_hi:[1,0,1]
	v_pk_fma_f16 v70, v132, v148, v70 op_sel_hi:[1,0,1]
	v_pk_fma_f16 v75, v132, v148, v75 op_sel:[0,1,0]
	v_pk_fma_f16 v76, v132, v149, v76 op_sel_hi:[1,0,1]
	v_pk_fma_f16 v71, v133, v148, v71 op_sel_hi:[1,0,1]
	v_pk_fma_f16 v77, v133, v148, v77 op_sel:[0,1,0]
	v_pk_fma_f16 v78, v133, v149, v78 op_sel_hi:[1,0,1]
	v_pk_fma_f16 v72, v134, v148, v72 op_sel_hi:[1,0,1]
	v_pk_fma_f16 v65, v135, v148, v65 op_sel_hi:[1,0,1]
	v_pk_fma_f16 v8, v135, v148, v8 op_sel:[0,1,0]
	v_pk_fma_f16 v9, v135, v149, v9 op_sel_hi:[1,0,1]
	v_pk_fma_f16 v66, v136, v148, v66 op_sel_hi:[1,0,1]
	v_pk_fma_f16 v67, v137, v148, v67 op_sel_hi:[1,0,1]
	v_pk_fma_f16 v4, v137, v148, v4 op_sel:[0,1,0]
	v_pk_fma_f16 v6, v137, v149, v6 op_sel_hi:[1,0,1]
	v_pk_fma_f16 v5, v137, v149, v5 op_sel:[0,1,0]
	v_pk_fma_f16 v79, v118, v112, v79 op_sel:[0,1,0]
	v_pk_fma_f16 v80, v118, v113, v80 op_sel_hi:[1,0,1]
	v_pk_fma_f16 v73, v136, v148, v73 op_sel:[0,1,0]
	v_pk_fma_f16 v74, v136, v149, v74 op_sel_hi:[1,0,1]
	v_pk_fma_f16 v7, v138, v150, v7 op_sel_hi:[1,0,1]
	v_pk_fma_f16 v10, v138, v150, v10 op_sel:[0,1,0]
	v_pk_fma_f16 v11, v138, v151, v11 op_sel_hi:[1,0,1]
	v_pk_fma_f16 v68, v139, v150, v68 op_sel:[0,1,0]
	v_pk_fma_f16 v69, v139, v151, v69 op_sel_hi:[1,0,1]
	v_pk_fma_f16 v70, v140, v150, v70 op_sel_hi:[1,0,1]
	v_pk_fma_f16 v75, v140, v150, v75 op_sel:[0,1,0]
	v_pk_fma_f16 v76, v140, v151, v76 op_sel_hi:[1,0,1]
	v_pk_fma_f16 v71, v141, v150, v71 op_sel_hi:[1,0,1]
	v_pk_fma_f16 v77, v141, v150, v77 op_sel:[0,1,0]
	v_pk_fma_f16 v78, v141, v151, v78 op_sel_hi:[1,0,1]
	;; [unrolled: 24-line block ×3, first 2 shown]
	v_pk_fma_f16 v101, v158, v152, v72 op_sel_hi:[1,0,1]
	v_pk_fma_f16 v102, v159, v152, v65 op_sel_hi:[1,0,1]
	v_pk_fma_f16 v103, v159, v152, v8 op_sel:[0,1,0]
	v_pk_fma_f16 v104, v159, v153, v9 op_sel_hi:[1,0,1]
	v_pk_fma_f16 v105, v160, v152, v66 op_sel_hi:[1,0,1]
	;; [unrolled: 1-line block ×3, first 2 shown]
	v_pk_fma_f16 v109, v161, v152, v4 op_sel:[0,1,0]
	v_pk_fma_f16 v110, v161, v153, v6 op_sel_hi:[1,0,1]
	v_pk_fma_f16 v111, v161, v153, v5 op_sel:[0,1,0]
	ds_load_2addr_b64 v[65:68], v64 offset0:64 offset1:96
	ds_load_b128 v[69:72], v41 offset:400
	ds_load_b128 v[8:11], v41 offset:416
	ds_load_b128 v[4:7], v41 offset:432
	v_pk_fma_f16 v79, v134, v148, v79 op_sel:[0,1,0]
	v_pk_fma_f16 v80, v134, v149, v80 op_sel_hi:[1,0,1]
	v_pk_fma_f16 v106, v160, v152, v73 op_sel:[0,1,0]
	v_pk_fma_f16 v107, v160, v153, v74 op_sel_hi:[1,0,1]
	s_waitcnt lgkmcnt(4)
	v_pk_fma_f16 v88, v56, v60, v88 op_sel_hi:[1,0,1]
	v_pk_fma_f16 v89, v56, v60, v89 op_sel:[0,1,0]
	v_pk_fma_f16 v90, v56, v61, v90 op_sel_hi:[1,0,1]
	v_pk_fma_f16 v91, v56, v61, v91 op_sel:[0,1,0]
	v_pk_fma_f16 v92, v57, v60, v92 op_sel_hi:[1,0,1]
	v_pk_fma_f16 v94, v57, v60, v94 op_sel:[0,1,0]
	v_pk_fma_f16 v95, v57, v61, v95 op_sel_hi:[1,0,1]
	v_pk_fma_f16 v96, v57, v61, v96 op_sel:[0,1,0]
	v_pk_fma_f16 v97, v58, v60, v97 op_sel_hi:[1,0,1]
	v_pk_fma_f16 v112, v58, v60, v75 op_sel:[0,1,0]
	v_pk_fma_f16 v113, v58, v61, v76 op_sel_hi:[1,0,1]
	v_pk_fma_f16 v98, v58, v61, v98 op_sel:[0,1,0]
	v_pk_fma_f16 v99, v59, v60, v99 op_sel_hi:[1,0,1]
	v_pk_fma_f16 v77, v59, v60, v77 op_sel:[0,1,0]
	ds_load_2addr_b64 v[73:76], v64 offset0:128 offset1:160
	v_pk_fma_f16 v78, v59, v61, v78 op_sel_hi:[1,0,1]
	v_pk_fma_f16 v100, v59, v61, v100 op_sel:[0,1,0]
	ds_load_2addr_b64 v[56:59], v64 offset0:192 offset1:224
	v_pk_fma_f16 v79, v142, v150, v79 op_sel:[0,1,0]
	v_pk_fma_f16 v80, v142, v151, v80 op_sel_hi:[1,0,1]
	v_pk_fma_f16 v85, v158, v153, v85 op_sel:[0,1,0]
	v_pk_fma_f16 v86, v159, v153, v86 op_sel:[0,1,0]
	;; [unrolled: 1-line block ×4, first 2 shown]
	v_pk_fma_f16 v80, v158, v153, v80 op_sel_hi:[1,0,1]
	s_waitcnt lgkmcnt(5)
	v_pk_fma_f16 v101, v65, v60, v101 op_sel_hi:[1,0,1]
	v_pk_fma_f16 v85, v65, v61, v85 op_sel:[0,1,0]
	v_pk_fma_f16 v102, v66, v60, v102 op_sel_hi:[1,0,1]
	v_pk_fma_f16 v79, v65, v60, v79 op_sel:[0,1,0]
	;; [unrolled: 2-line block ×8, first 2 shown]
	ds_load_2addr_b64 v[65:68], v53 offset1:32
	s_waitcnt lgkmcnt(2)
	v_pk_fma_f16 v88, v73, v62, v88 op_sel_hi:[1,0,1]
	v_pk_fma_f16 v89, v73, v62, v89 op_sel:[0,1,0]
	v_pk_fma_f16 v90, v73, v63, v90 op_sel_hi:[1,0,1]
	v_pk_fma_f16 v91, v73, v63, v91 op_sel:[0,1,0]
	;; [unrolled: 2-line block ×8, first 2 shown]
	s_waitcnt lgkmcnt(1)
	v_pk_fma_f16 v101, v56, v62, v101 op_sel_hi:[1,0,1]
	v_pk_fma_f16 v79, v56, v62, v79 op_sel:[0,1,0]
	v_pk_fma_f16 v80, v56, v63, v80 op_sel_hi:[1,0,1]
	v_pk_fma_f16 v85, v56, v63, v85 op_sel:[0,1,0]
	;; [unrolled: 2-line block ×7, first 2 shown]
	ds_load_2addr_b64 v[73:76], v53 offset0:64 offset1:96
	v_pk_fma_f16 v109, v59, v63, v109 op_sel_hi:[1,0,1]
	v_pk_fma_f16 v112, v59, v63, v61 op_sel:[0,1,0]
	ds_load_2addr_b64 v[56:59], v53 offset0:128 offset1:160
	s_waitcnt lgkmcnt(2)
	v_pk_fma_f16 v88, v65, v69, v88 op_sel_hi:[1,0,1]
	v_pk_fma_f16 v89, v65, v69, v89 op_sel:[0,1,0]
	v_pk_fma_f16 v90, v65, v70, v90 op_sel_hi:[1,0,1]
	v_pk_fma_f16 v65, v65, v70, v91 op_sel:[0,1,0]
	v_pk_fma_f16 v91, v66, v69, v92 op_sel_hi:[1,0,1]
	v_pk_fma_f16 v92, v66, v69, v94 op_sel:[0,1,0]
	v_pk_fma_f16 v94, v66, v70, v95 op_sel_hi:[1,0,1]
	v_pk_fma_f16 v66, v66, v70, v96 op_sel:[0,1,0]
	v_pk_fma_f16 v95, v67, v69, v97 op_sel_hi:[1,0,1]
	v_pk_fma_f16 v96, v67, v69, v110 op_sel:[0,1,0]
	v_pk_fma_f16 v97, v67, v70, v111 op_sel_hi:[1,0,1]
	v_pk_fma_f16 v67, v67, v70, v98 op_sel:[0,1,0]
	v_pk_fma_f16 v98, v68, v69, v99 op_sel_hi:[1,0,1]
	v_pk_fma_f16 v77, v68, v69, v77 op_sel:[0,1,0]
	v_pk_fma_f16 v78, v68, v70, v78 op_sel_hi:[1,0,1]
	v_pk_fma_f16 v99, v68, v70, v100 op_sel:[0,1,0]
	s_waitcnt lgkmcnt(1)
	v_pk_fma_f16 v100, v73, v69, v101 op_sel_hi:[1,0,1]
	v_pk_fma_f16 v79, v73, v69, v79 op_sel:[0,1,0]
	v_pk_fma_f16 v80, v73, v70, v80 op_sel_hi:[1,0,1]
	v_pk_fma_f16 v73, v73, v70, v85 op_sel:[0,1,0]
	;; [unrolled: 2-line block ×7, first 2 shown]
	ds_load_2addr_b64 v[60:63], v53 offset0:192 offset1:224
	v_pk_fma_f16 v105, v76, v70, v109 op_sel_hi:[1,0,1]
	v_pk_fma_f16 v70, v76, v70, v112 op_sel:[0,1,0]
	s_waitcnt lgkmcnt(1)
	v_pk_fma_f16 v76, v56, v71, v88 op_sel_hi:[1,0,1]
	v_pk_fma_f16 v88, v56, v71, v89 op_sel:[0,1,0]
	v_pk_fma_f16 v89, v56, v72, v90 op_sel_hi:[1,0,1]
	v_pk_fma_f16 v90, v56, v72, v65 op_sel:[0,1,0]
	v_pk_fma_f16 v106, v57, v72, v66 op_sel:[0,1,0]
	;; [unrolled: 1-line block ×3, first 2 shown]
	ds_load_2addr_b64 v[65:68], v54 offset1:32
	v_pk_fma_f16 v91, v57, v71, v91 op_sel_hi:[1,0,1]
	v_pk_fma_f16 v92, v57, v71, v92 op_sel:[0,1,0]
	v_pk_fma_f16 v94, v57, v72, v94 op_sel_hi:[1,0,1]
	v_pk_fma_f16 v95, v58, v71, v95 op_sel_hi:[1,0,1]
	v_pk_fma_f16 v96, v58, v71, v96 op_sel:[0,1,0]
	v_pk_fma_f16 v97, v58, v72, v97 op_sel_hi:[1,0,1]
	;; [unrolled: 3-line block ×3, first 2 shown]
	v_pk_fma_f16 v99, v59, v72, v99 op_sel:[0,1,0]
	ds_load_2addr_b64 v[56:59], v54 offset0:64 offset1:96
	s_or_b32 s4, s13, 64
	s_waitcnt lgkmcnt(2)
	v_pk_fma_f16 v100, v60, v71, v100 op_sel_hi:[1,0,1]
	v_pk_fma_f16 v79, v60, v71, v79 op_sel:[0,1,0]
	v_pk_fma_f16 v80, v60, v72, v80 op_sel_hi:[1,0,1]
	v_pk_fma_f16 v73, v60, v72, v73 op_sel:[0,1,0]
	;; [unrolled: 2-line block ×8, first 2 shown]
	s_waitcnt lgkmcnt(1)
	v_pk_fma_f16 v72, v65, v8, v76 op_sel_hi:[1,0,1]
	v_pk_fma_f16 v76, v65, v8, v88 op_sel:[0,1,0]
	v_pk_fma_f16 v88, v65, v9, v89 op_sel_hi:[1,0,1]
	v_pk_fma_f16 v89, v65, v9, v90 op_sel:[0,1,0]
	;; [unrolled: 2-line block ×7, first 2 shown]
	ds_load_2addr_b64 v[60:63], v54 offset0:128 offset1:160
	v_pk_fma_f16 v78, v68, v9, v78 op_sel_hi:[1,0,1]
	v_pk_fma_f16 v99, v68, v9, v99 op_sel:[0,1,0]
	ds_load_2addr_b64 v[65:68], v54 offset0:192 offset1:224
	s_mul_hi_i32 s21, s4, s10
	s_mul_i32 s20, s4, s10
	s_waitcnt lgkmcnt(2)
	v_pk_fma_f16 v100, v56, v8, v100 op_sel_hi:[1,0,1]
	s_lshl_b64 s[20:21], s[20:21], 2
	v_pk_fma_f16 v79, v56, v8, v79 op_sel:[0,1,0]
	s_add_u32 s4, s11, s20
	v_pk_fma_f16 v80, v56, v9, v80 op_sel_hi:[1,0,1]
	v_pk_fma_f16 v56, v56, v9, v73 op_sel:[0,1,0]
	v_pk_fma_f16 v73, v57, v8, v85 op_sel_hi:[1,0,1]
	v_pk_fma_f16 v178, v57, v8, v101 op_sel:[0,1,0]
	;; [unrolled: 2-line block ×4, first 2 shown]
	s_addc_u32 s19, s16, s21
	v_add_co_u32 v8, vcc_lo, s4, v27
	v_pk_fma_f16 v179, v57, v9, v102 op_sel_hi:[1,0,1]
	v_pk_fma_f16 v180, v57, v9, v74 op_sel:[0,1,0]
	v_pk_fma_f16 v183, v58, v9, v104 op_sel_hi:[1,0,1]
	v_pk_fma_f16 v184, v58, v9, v75 op_sel:[0,1,0]
	;; [unrolled: 2-line block ×3, first 2 shown]
	v_add_co_ci_u32_e32 v9, vcc_lo, s19, v28, vcc_lo
	v_add_co_u32 v162, vcc_lo, s4, v29
	v_add_co_ci_u32_e32 v163, vcc_lo, s19, v30, vcc_lo
	v_add_co_u32 v8, vcc_lo, v8, v93
	s_delay_alu instid0(VALU_DEP_4) | instskip(NEXT) | instid1(VALU_DEP_4)
	v_add_co_ci_u32_e32 v9, vcc_lo, 0, v9, vcc_lo
	v_add_co_u32 v174, vcc_lo, v162, v93
	s_delay_alu instid0(VALU_DEP_4)
	v_add_co_ci_u32_e32 v175, vcc_lo, 0, v163, vcc_lo
	s_waitcnt lgkmcnt(1)
	v_pk_fma_f16 v189, v60, v10, v72 op_sel_hi:[1,0,1]
	v_pk_fma_f16 v190, v60, v10, v76 op_sel:[0,1,0]
	v_pk_fma_f16 v191, v60, v11, v88 op_sel_hi:[1,0,1]
	v_pk_fma_f16 v192, v60, v11, v89 op_sel:[0,1,0]
	;; [unrolled: 2-line block ×8, first 2 shown]
	s_waitcnt lgkmcnt(0)
	v_pk_fma_f16 v205, v65, v10, v100 op_sel_hi:[1,0,1]
	v_pk_fma_f16 v206, v65, v10, v79 op_sel:[0,1,0]
	v_pk_fma_f16 v207, v65, v11, v80 op_sel_hi:[1,0,1]
	v_pk_fma_f16 v65, v65, v11, v56 op_sel:[0,1,0]
	v_pk_fma_f16 v208, v66, v10, v73 op_sel_hi:[1,0,1]
	ds_load_2addr_b64 v[56:59], v55 offset1:32
	ds_load_2addr_b64 v[60:63], v55 offset0:64 offset1:96
	ds_load_2addr_b64 v[69:72], v55 offset0:128 offset1:160
	;; [unrolled: 1-line block ×3, first 2 shown]
	ds_load_2addr_b64 v[77:80], v52 offset1:32
	ds_load_2addr_b64 v[85:88], v52 offset0:64 offset1:96
	ds_load_2addr_b64 v[89:92], v52 offset0:128 offset1:160
	;; [unrolled: 1-line block ×3, first 2 shown]
	ds_load_2addr_b64 v[98:101], v51 offset1:32
	ds_load_2addr_b64 v[102:105], v51 offset0:64 offset1:96
	ds_load_b128 v[106:109], v41 offset:448
	ds_load_b128 v[110:113], v41 offset:464
	ds_load_2addr_b64 v[114:117], v51 offset0:128 offset1:160
	ds_load_2addr_b64 v[118:121], v51 offset0:192 offset1:224
	ds_load_2addr_b64 v[122:125], v50 offset1:32
	ds_load_2addr_b64 v[126:129], v50 offset0:64 offset1:96
	ds_load_2addr_b64 v[130:133], v50 offset0:128 offset1:160
	ds_load_2addr_b64 v[134:137], v50 offset0:192 offset1:224
	ds_load_2addr_b64 v[138:141], v49 offset1:32
	ds_load_2addr_b64 v[142:145], v49 offset0:64 offset1:96
	ds_load_b128 v[146:149], v41 offset:480
	ds_load_b128 v[150:153], v41 offset:496
	ds_load_2addr_b64 v[154:157], v49 offset0:128 offset1:160
	ds_load_2addr_b64 v[158:161], v49 offset0:192 offset1:224
	s_waitcnt lgkmcnt(0)
	s_barrier
	buffer_gl0_inv
	s_clause 0x3
	global_load_b128 v[162:165], v[8:9], off
	global_load_b128 v[166:169], v[8:9], off offset:512
	global_load_b128 v[170:173], v[174:175], off
	global_load_b128 v[174:177], v[174:175], off offset:512
	v_pk_fma_f16 v8, v66, v10, v178 op_sel:[0,1,0]
	v_pk_fma_f16 v9, v66, v11, v179 op_sel_hi:[1,0,1]
	v_pk_fma_f16 v66, v66, v11, v180 op_sel:[0,1,0]
	v_pk_fma_f16 v178, v67, v10, v181 op_sel_hi:[1,0,1]
	;; [unrolled: 2-line block ×24, first 2 shown]
	v_pk_fma_f16 v57, v70, v7, v57 op_sel:[0,1,0]
	v_pk_fma_f16 v58, v71, v7, v58 op_sel:[0,1,0]
	;; [unrolled: 1-line block ×4, first 2 shown]
	v_pk_fma_f16 v181, v70, v7, v187 op_sel_hi:[1,0,1]
	v_pk_fma_f16 v70, v71, v6, v188 op_sel_hi:[1,0,1]
	v_pk_fma_f16 v182, v71, v6, v189 op_sel:[0,1,0]
	v_pk_fma_f16 v183, v71, v7, v190 op_sel_hi:[1,0,1]
	v_pk_fma_f16 v71, v72, v6, v191 op_sel_hi:[1,0,1]
	v_pk_fma_f16 v184, v72, v6, v192 op_sel:[0,1,0]
	;; [unrolled: 3-line block ×3, first 2 shown]
	v_pk_fma_f16 v187, v73, v7, v196 op_sel_hi:[1,0,1]
	v_pk_fma_f16 v60, v73, v7, v60 op_sel:[0,1,0]
	v_pk_fma_f16 v65, v74, v6, v65 op_sel_hi:[1,0,1]
	v_pk_fma_f16 v8, v74, v6, v8 op_sel:[0,1,0]
	v_pk_fma_f16 v61, v74, v7, v61 op_sel:[0,1,0]
	v_pk_fma_f16 v66, v75, v6, v66 op_sel_hi:[1,0,1]
	v_pk_fma_f16 v73, v75, v6, v178 op_sel:[0,1,0]
	;; [unrolled: 3-line block ×3, first 2 shown]
	v_pk_fma_f16 v6, v76, v7, v10 op_sel_hi:[1,0,1]
	v_pk_fma_f16 v10, v77, v106, v63 op_sel:[0,1,0]
	v_pk_fma_f16 v56, v77, v107, v56 op_sel:[0,1,0]
	v_pk_fma_f16 v63, v78, v106, v69 op_sel_hi:[1,0,1]
	v_pk_fma_f16 v57, v78, v107, v57 op_sel:[0,1,0]
	v_pk_fma_f16 v58, v79, v107, v58 op_sel:[0,1,0]
	;; [unrolled: 1-line block ×7, first 2 shown]
	v_pk_fma_f16 v63, v90, v108, v63 op_sel_hi:[1,0,1]
	v_pk_fma_f16 v57, v90, v109, v57 op_sel:[0,1,0]
	v_pk_fma_f16 v58, v91, v109, v58 op_sel:[0,1,0]
	;; [unrolled: 1-line block ×7, first 2 shown]
	v_pk_fma_f16 v63, v99, v110, v63 op_sel_hi:[1,0,1]
	v_pk_fma_f16 v57, v99, v111, v57 op_sel:[0,1,0]
	v_pk_fma_f16 v58, v100, v111, v58 op_sel:[0,1,0]
	;; [unrolled: 1-line block ×3, first 2 shown]
	v_pk_fma_f16 v9, v74, v7, v9 op_sel_hi:[1,0,1]
	v_pk_fma_f16 v5, v76, v7, v5 op_sel:[0,1,0]
	v_pk_fma_f16 v74, v75, v7, v179 op_sel_hi:[1,0,1]
	v_pk_fma_f16 v7, v77, v106, v11 op_sel_hi:[1,0,1]
	v_pk_fma_f16 v11, v77, v107, v68 op_sel_hi:[1,0,1]
	v_pk_fma_f16 v68, v78, v106, v180 op_sel:[0,1,0]
	v_pk_fma_f16 v69, v78, v107, v181 op_sel_hi:[1,0,1]
	v_pk_fma_f16 v70, v79, v106, v70 op_sel_hi:[1,0,1]
	v_pk_fma_f16 v75, v79, v106, v182 op_sel:[0,1,0]
	v_pk_fma_f16 v76, v79, v107, v183 op_sel_hi:[1,0,1]
	v_pk_fma_f16 v71, v80, v106, v71 op_sel_hi:[1,0,1]
	v_pk_fma_f16 v77, v80, v106, v184 op_sel:[0,1,0]
	v_pk_fma_f16 v78, v80, v107, v185 op_sel_hi:[1,0,1]
	v_pk_fma_f16 v60, v102, v111, v60 op_sel:[0,1,0]
	v_pk_fma_f16 v61, v103, v111, v61 op_sel:[0,1,0]
	;; [unrolled: 1-line block ×4, first 2 shown]
	v_pk_fma_f16 v63, v115, v112, v63 op_sel_hi:[1,0,1]
	v_pk_fma_f16 v57, v115, v113, v57 op_sel:[0,1,0]
	v_pk_fma_f16 v58, v116, v113, v58 op_sel:[0,1,0]
	v_pk_fma_f16 v59, v117, v113, v59 op_sel:[0,1,0]
	v_pk_fma_f16 v72, v85, v106, v72 op_sel_hi:[1,0,1]
	v_pk_fma_f16 v65, v86, v106, v65 op_sel_hi:[1,0,1]
	v_pk_fma_f16 v8, v86, v106, v8 op_sel:[0,1,0]
	v_pk_fma_f16 v9, v86, v107, v9 op_sel_hi:[1,0,1]
	v_pk_fma_f16 v66, v87, v106, v66 op_sel_hi:[1,0,1]
	;; [unrolled: 1-line block ×3, first 2 shown]
	v_pk_fma_f16 v4, v88, v106, v4 op_sel:[0,1,0]
	v_pk_fma_f16 v6, v88, v107, v6 op_sel_hi:[1,0,1]
	v_pk_fma_f16 v5, v88, v107, v5 op_sel:[0,1,0]
	v_pk_fma_f16 v73, v87, v106, v73 op_sel:[0,1,0]
	v_pk_fma_f16 v74, v87, v107, v74 op_sel_hi:[1,0,1]
	v_pk_fma_f16 v7, v89, v108, v7 op_sel_hi:[1,0,1]
	v_pk_fma_f16 v10, v89, v108, v10 op_sel:[0,1,0]
	v_pk_fma_f16 v11, v89, v109, v11 op_sel_hi:[1,0,1]
	v_pk_fma_f16 v68, v90, v108, v68 op_sel:[0,1,0]
	v_pk_fma_f16 v69, v90, v109, v69 op_sel_hi:[1,0,1]
	v_pk_fma_f16 v70, v91, v108, v70 op_sel_hi:[1,0,1]
	v_pk_fma_f16 v75, v91, v108, v75 op_sel:[0,1,0]
	v_pk_fma_f16 v76, v91, v109, v76 op_sel_hi:[1,0,1]
	;; [unrolled: 3-line block ×3, first 2 shown]
	v_pk_fma_f16 v60, v118, v113, v60 op_sel:[0,1,0]
	v_pk_fma_f16 v61, v119, v113, v61 op_sel:[0,1,0]
	;; [unrolled: 1-line block ×4, first 2 shown]
	v_pk_fma_f16 v63, v123, v146, v63 op_sel_hi:[1,0,1]
	v_pk_fma_f16 v57, v123, v147, v57 op_sel:[0,1,0]
	v_pk_fma_f16 v58, v124, v147, v58 op_sel:[0,1,0]
	;; [unrolled: 1-line block ×3, first 2 shown]
	v_pk_fma_f16 v72, v94, v108, v72 op_sel_hi:[1,0,1]
	v_pk_fma_f16 v65, v95, v108, v65 op_sel_hi:[1,0,1]
	v_pk_fma_f16 v8, v95, v108, v8 op_sel:[0,1,0]
	v_pk_fma_f16 v9, v95, v109, v9 op_sel_hi:[1,0,1]
	v_pk_fma_f16 v66, v96, v108, v66 op_sel_hi:[1,0,1]
	;; [unrolled: 1-line block ×3, first 2 shown]
	v_pk_fma_f16 v4, v97, v108, v4 op_sel:[0,1,0]
	v_pk_fma_f16 v6, v97, v109, v6 op_sel_hi:[1,0,1]
	v_pk_fma_f16 v5, v97, v109, v5 op_sel:[0,1,0]
	v_pk_fma_f16 v73, v96, v108, v73 op_sel:[0,1,0]
	v_pk_fma_f16 v74, v96, v109, v74 op_sel_hi:[1,0,1]
	v_pk_fma_f16 v7, v98, v110, v7 op_sel_hi:[1,0,1]
	v_pk_fma_f16 v10, v98, v110, v10 op_sel:[0,1,0]
	v_pk_fma_f16 v11, v98, v111, v11 op_sel_hi:[1,0,1]
	v_pk_fma_f16 v68, v99, v110, v68 op_sel:[0,1,0]
	v_pk_fma_f16 v69, v99, v111, v69 op_sel_hi:[1,0,1]
	v_pk_fma_f16 v70, v100, v110, v70 op_sel_hi:[1,0,1]
	v_pk_fma_f16 v75, v100, v110, v75 op_sel:[0,1,0]
	v_pk_fma_f16 v76, v100, v111, v76 op_sel_hi:[1,0,1]
	;; [unrolled: 3-line block ×3, first 2 shown]
	v_pk_fma_f16 v60, v126, v147, v60 op_sel:[0,1,0]
	v_pk_fma_f16 v61, v127, v147, v61 op_sel:[0,1,0]
	;; [unrolled: 1-line block ×4, first 2 shown]
	v_pk_fma_f16 v63, v131, v148, v63 op_sel_hi:[1,0,1]
	v_pk_fma_f16 v57, v131, v149, v57 op_sel:[0,1,0]
	v_pk_fma_f16 v58, v132, v149, v58 op_sel:[0,1,0]
	v_pk_fma_f16 v59, v133, v149, v59 op_sel:[0,1,0]
	v_pk_fma_f16 v72, v102, v110, v72 op_sel_hi:[1,0,1]
	v_pk_fma_f16 v65, v103, v110, v65 op_sel_hi:[1,0,1]
	v_pk_fma_f16 v8, v103, v110, v8 op_sel:[0,1,0]
	v_pk_fma_f16 v9, v103, v111, v9 op_sel_hi:[1,0,1]
	v_pk_fma_f16 v66, v104, v110, v66 op_sel_hi:[1,0,1]
	;; [unrolled: 1-line block ×3, first 2 shown]
	v_pk_fma_f16 v4, v105, v110, v4 op_sel:[0,1,0]
	v_pk_fma_f16 v6, v105, v111, v6 op_sel_hi:[1,0,1]
	v_pk_fma_f16 v5, v105, v111, v5 op_sel:[0,1,0]
	v_pk_fma_f16 v79, v85, v106, v186 op_sel:[0,1,0]
	v_pk_fma_f16 v80, v85, v107, v187 op_sel_hi:[1,0,1]
	v_pk_fma_f16 v73, v104, v110, v73 op_sel:[0,1,0]
	v_pk_fma_f16 v74, v104, v111, v74 op_sel_hi:[1,0,1]
	v_pk_fma_f16 v7, v114, v112, v7 op_sel_hi:[1,0,1]
	v_pk_fma_f16 v10, v114, v112, v10 op_sel:[0,1,0]
	v_pk_fma_f16 v11, v114, v113, v11 op_sel_hi:[1,0,1]
	v_pk_fma_f16 v68, v115, v112, v68 op_sel:[0,1,0]
	v_pk_fma_f16 v69, v115, v113, v69 op_sel_hi:[1,0,1]
	v_pk_fma_f16 v70, v116, v112, v70 op_sel_hi:[1,0,1]
	v_pk_fma_f16 v75, v116, v112, v75 op_sel:[0,1,0]
	v_pk_fma_f16 v76, v116, v113, v76 op_sel_hi:[1,0,1]
	;; [unrolled: 3-line block ×3, first 2 shown]
	v_pk_fma_f16 v60, v134, v149, v60 op_sel:[0,1,0]
	v_pk_fma_f16 v61, v135, v149, v61 op_sel:[0,1,0]
	;; [unrolled: 1-line block ×4, first 2 shown]
	v_pk_fma_f16 v63, v139, v150, v63 op_sel_hi:[1,0,1]
	v_pk_fma_f16 v57, v139, v151, v57 op_sel:[0,1,0]
	v_pk_fma_f16 v58, v140, v151, v58 op_sel:[0,1,0]
	;; [unrolled: 1-line block ×3, first 2 shown]
	v_pk_fma_f16 v72, v118, v112, v72 op_sel_hi:[1,0,1]
	v_pk_fma_f16 v65, v119, v112, v65 op_sel_hi:[1,0,1]
	v_pk_fma_f16 v8, v119, v112, v8 op_sel:[0,1,0]
	v_pk_fma_f16 v9, v119, v113, v9 op_sel_hi:[1,0,1]
	v_pk_fma_f16 v66, v120, v112, v66 op_sel_hi:[1,0,1]
	;; [unrolled: 1-line block ×3, first 2 shown]
	v_pk_fma_f16 v4, v121, v112, v4 op_sel:[0,1,0]
	v_pk_fma_f16 v6, v121, v113, v6 op_sel_hi:[1,0,1]
	v_pk_fma_f16 v5, v121, v113, v5 op_sel:[0,1,0]
	v_pk_fma_f16 v79, v94, v108, v79 op_sel:[0,1,0]
	v_pk_fma_f16 v80, v94, v109, v80 op_sel_hi:[1,0,1]
	v_pk_fma_f16 v73, v120, v112, v73 op_sel:[0,1,0]
	v_pk_fma_f16 v74, v120, v113, v74 op_sel_hi:[1,0,1]
	v_pk_fma_f16 v7, v122, v146, v7 op_sel_hi:[1,0,1]
	v_pk_fma_f16 v10, v122, v146, v10 op_sel:[0,1,0]
	v_pk_fma_f16 v11, v122, v147, v11 op_sel_hi:[1,0,1]
	v_pk_fma_f16 v68, v123, v146, v68 op_sel:[0,1,0]
	v_pk_fma_f16 v69, v123, v147, v69 op_sel_hi:[1,0,1]
	v_pk_fma_f16 v70, v124, v146, v70 op_sel_hi:[1,0,1]
	v_pk_fma_f16 v75, v124, v146, v75 op_sel:[0,1,0]
	v_pk_fma_f16 v76, v124, v147, v76 op_sel_hi:[1,0,1]
	;; [unrolled: 3-line block ×3, first 2 shown]
	v_pk_fma_f16 v85, v142, v151, v60 op_sel:[0,1,0]
	v_pk_fma_f16 v86, v143, v151, v61 op_sel:[0,1,0]
	;; [unrolled: 1-line block ×4, first 2 shown]
	v_pk_fma_f16 v92, v155, v152, v63 op_sel_hi:[1,0,1]
	v_pk_fma_f16 v96, v155, v153, v57 op_sel:[0,1,0]
	v_pk_fma_f16 v98, v156, v153, v58 op_sel:[0,1,0]
	;; [unrolled: 1-line block ×3, first 2 shown]
	s_waitcnt vmcnt(3)
	ds_store_b128 v43, v[162:165]
	s_waitcnt vmcnt(2)
	ds_store_b128 v44, v[166:169]
	;; [unrolled: 2-line block ×4, first 2 shown]
	s_waitcnt lgkmcnt(0)
	s_barrier
	buffer_gl0_inv
	ds_load_2addr_b64 v[56:59], v64 offset1:32
	ds_load_b128 v[60:63], v41 offset:512
	v_pk_fma_f16 v72, v126, v146, v72 op_sel_hi:[1,0,1]
	v_pk_fma_f16 v65, v127, v146, v65 op_sel_hi:[1,0,1]
	v_pk_fma_f16 v8, v127, v146, v8 op_sel:[0,1,0]
	v_pk_fma_f16 v9, v127, v147, v9 op_sel_hi:[1,0,1]
	v_pk_fma_f16 v66, v128, v146, v66 op_sel_hi:[1,0,1]
	v_pk_fma_f16 v67, v129, v146, v67 op_sel_hi:[1,0,1]
	v_pk_fma_f16 v4, v129, v146, v4 op_sel:[0,1,0]
	v_pk_fma_f16 v6, v129, v147, v6 op_sel_hi:[1,0,1]
	v_pk_fma_f16 v5, v129, v147, v5 op_sel:[0,1,0]
	v_pk_fma_f16 v79, v102, v110, v79 op_sel:[0,1,0]
	v_pk_fma_f16 v80, v102, v111, v80 op_sel_hi:[1,0,1]
	v_pk_fma_f16 v73, v128, v146, v73 op_sel:[0,1,0]
	v_pk_fma_f16 v74, v128, v147, v74 op_sel_hi:[1,0,1]
	v_pk_fma_f16 v7, v130, v148, v7 op_sel_hi:[1,0,1]
	v_pk_fma_f16 v10, v130, v148, v10 op_sel:[0,1,0]
	v_pk_fma_f16 v11, v130, v149, v11 op_sel_hi:[1,0,1]
	v_pk_fma_f16 v68, v131, v148, v68 op_sel:[0,1,0]
	v_pk_fma_f16 v69, v131, v149, v69 op_sel_hi:[1,0,1]
	v_pk_fma_f16 v70, v132, v148, v70 op_sel_hi:[1,0,1]
	v_pk_fma_f16 v75, v132, v148, v75 op_sel:[0,1,0]
	v_pk_fma_f16 v76, v132, v149, v76 op_sel_hi:[1,0,1]
	v_pk_fma_f16 v71, v133, v148, v71 op_sel_hi:[1,0,1]
	v_pk_fma_f16 v77, v133, v148, v77 op_sel:[0,1,0]
	v_pk_fma_f16 v78, v133, v149, v78 op_sel_hi:[1,0,1]
	v_pk_fma_f16 v72, v134, v148, v72 op_sel_hi:[1,0,1]
	v_pk_fma_f16 v65, v135, v148, v65 op_sel_hi:[1,0,1]
	v_pk_fma_f16 v8, v135, v148, v8 op_sel:[0,1,0]
	v_pk_fma_f16 v9, v135, v149, v9 op_sel_hi:[1,0,1]
	v_pk_fma_f16 v66, v136, v148, v66 op_sel_hi:[1,0,1]
	v_pk_fma_f16 v67, v137, v148, v67 op_sel_hi:[1,0,1]
	v_pk_fma_f16 v4, v137, v148, v4 op_sel:[0,1,0]
	v_pk_fma_f16 v6, v137, v149, v6 op_sel_hi:[1,0,1]
	v_pk_fma_f16 v5, v137, v149, v5 op_sel:[0,1,0]
	v_pk_fma_f16 v79, v118, v112, v79 op_sel:[0,1,0]
	v_pk_fma_f16 v80, v118, v113, v80 op_sel_hi:[1,0,1]
	v_pk_fma_f16 v73, v136, v148, v73 op_sel:[0,1,0]
	v_pk_fma_f16 v74, v136, v149, v74 op_sel_hi:[1,0,1]
	v_pk_fma_f16 v7, v138, v150, v7 op_sel_hi:[1,0,1]
	v_pk_fma_f16 v10, v138, v150, v10 op_sel:[0,1,0]
	v_pk_fma_f16 v11, v138, v151, v11 op_sel_hi:[1,0,1]
	v_pk_fma_f16 v68, v139, v150, v68 op_sel:[0,1,0]
	v_pk_fma_f16 v69, v139, v151, v69 op_sel_hi:[1,0,1]
	v_pk_fma_f16 v70, v140, v150, v70 op_sel_hi:[1,0,1]
	v_pk_fma_f16 v75, v140, v150, v75 op_sel:[0,1,0]
	v_pk_fma_f16 v76, v140, v151, v76 op_sel_hi:[1,0,1]
	v_pk_fma_f16 v71, v141, v150, v71 op_sel_hi:[1,0,1]
	v_pk_fma_f16 v77, v141, v150, v77 op_sel:[0,1,0]
	v_pk_fma_f16 v78, v141, v151, v78 op_sel_hi:[1,0,1]
	;; [unrolled: 24-line block ×3, first 2 shown]
	v_pk_fma_f16 v101, v158, v152, v72 op_sel_hi:[1,0,1]
	v_pk_fma_f16 v102, v159, v152, v65 op_sel_hi:[1,0,1]
	v_pk_fma_f16 v103, v159, v152, v8 op_sel:[0,1,0]
	v_pk_fma_f16 v104, v159, v153, v9 op_sel_hi:[1,0,1]
	v_pk_fma_f16 v105, v160, v152, v66 op_sel_hi:[1,0,1]
	;; [unrolled: 1-line block ×3, first 2 shown]
	v_pk_fma_f16 v109, v161, v152, v4 op_sel:[0,1,0]
	v_pk_fma_f16 v110, v161, v153, v6 op_sel_hi:[1,0,1]
	v_pk_fma_f16 v111, v161, v153, v5 op_sel:[0,1,0]
	ds_load_2addr_b64 v[65:68], v64 offset0:64 offset1:96
	ds_load_b128 v[69:72], v41 offset:528
	ds_load_b128 v[8:11], v41 offset:544
	;; [unrolled: 1-line block ×3, first 2 shown]
	v_pk_fma_f16 v79, v134, v148, v79 op_sel:[0,1,0]
	v_pk_fma_f16 v80, v134, v149, v80 op_sel_hi:[1,0,1]
	v_pk_fma_f16 v106, v160, v152, v73 op_sel:[0,1,0]
	v_pk_fma_f16 v107, v160, v153, v74 op_sel_hi:[1,0,1]
	s_waitcnt lgkmcnt(4)
	v_pk_fma_f16 v88, v56, v60, v88 op_sel_hi:[1,0,1]
	v_pk_fma_f16 v89, v56, v60, v89 op_sel:[0,1,0]
	v_pk_fma_f16 v90, v56, v61, v90 op_sel_hi:[1,0,1]
	v_pk_fma_f16 v91, v56, v61, v91 op_sel:[0,1,0]
	;; [unrolled: 2-line block ×7, first 2 shown]
	ds_load_2addr_b64 v[73:76], v64 offset0:128 offset1:160
	v_pk_fma_f16 v78, v59, v61, v78 op_sel_hi:[1,0,1]
	v_pk_fma_f16 v100, v59, v61, v100 op_sel:[0,1,0]
	ds_load_2addr_b64 v[56:59], v64 offset0:192 offset1:224
	v_pk_fma_f16 v79, v142, v150, v79 op_sel:[0,1,0]
	v_pk_fma_f16 v80, v142, v151, v80 op_sel_hi:[1,0,1]
	v_pk_fma_f16 v85, v158, v153, v85 op_sel:[0,1,0]
	v_pk_fma_f16 v86, v159, v153, v86 op_sel:[0,1,0]
	;; [unrolled: 1-line block ×4, first 2 shown]
	v_pk_fma_f16 v80, v158, v153, v80 op_sel_hi:[1,0,1]
	s_waitcnt lgkmcnt(5)
	v_pk_fma_f16 v101, v65, v60, v101 op_sel_hi:[1,0,1]
	v_pk_fma_f16 v85, v65, v61, v85 op_sel:[0,1,0]
	v_pk_fma_f16 v102, v66, v60, v102 op_sel_hi:[1,0,1]
	v_pk_fma_f16 v79, v65, v60, v79 op_sel:[0,1,0]
	;; [unrolled: 2-line block ×8, first 2 shown]
	ds_load_2addr_b64 v[65:68], v53 offset1:32
	s_waitcnt lgkmcnt(2)
	v_pk_fma_f16 v88, v73, v62, v88 op_sel_hi:[1,0,1]
	v_pk_fma_f16 v89, v73, v62, v89 op_sel:[0,1,0]
	v_pk_fma_f16 v90, v73, v63, v90 op_sel_hi:[1,0,1]
	v_pk_fma_f16 v91, v73, v63, v91 op_sel:[0,1,0]
	;; [unrolled: 2-line block ×8, first 2 shown]
	s_waitcnt lgkmcnt(1)
	v_pk_fma_f16 v101, v56, v62, v101 op_sel_hi:[1,0,1]
	v_pk_fma_f16 v79, v56, v62, v79 op_sel:[0,1,0]
	v_pk_fma_f16 v80, v56, v63, v80 op_sel_hi:[1,0,1]
	v_pk_fma_f16 v85, v56, v63, v85 op_sel:[0,1,0]
	;; [unrolled: 2-line block ×7, first 2 shown]
	ds_load_2addr_b64 v[73:76], v53 offset0:64 offset1:96
	v_pk_fma_f16 v109, v59, v63, v109 op_sel_hi:[1,0,1]
	v_pk_fma_f16 v112, v59, v63, v61 op_sel:[0,1,0]
	ds_load_2addr_b64 v[56:59], v53 offset0:128 offset1:160
	s_waitcnt lgkmcnt(2)
	v_pk_fma_f16 v88, v65, v69, v88 op_sel_hi:[1,0,1]
	v_pk_fma_f16 v89, v65, v69, v89 op_sel:[0,1,0]
	v_pk_fma_f16 v90, v65, v70, v90 op_sel_hi:[1,0,1]
	v_pk_fma_f16 v65, v65, v70, v91 op_sel:[0,1,0]
	;; [unrolled: 2-line block ×8, first 2 shown]
	s_waitcnt lgkmcnt(1)
	v_pk_fma_f16 v100, v73, v69, v101 op_sel_hi:[1,0,1]
	v_pk_fma_f16 v79, v73, v69, v79 op_sel:[0,1,0]
	v_pk_fma_f16 v80, v73, v70, v80 op_sel_hi:[1,0,1]
	v_pk_fma_f16 v73, v73, v70, v85 op_sel:[0,1,0]
	;; [unrolled: 2-line block ×7, first 2 shown]
	ds_load_2addr_b64 v[60:63], v53 offset0:192 offset1:224
	v_pk_fma_f16 v105, v76, v70, v109 op_sel_hi:[1,0,1]
	v_pk_fma_f16 v70, v76, v70, v112 op_sel:[0,1,0]
	s_waitcnt lgkmcnt(1)
	v_pk_fma_f16 v76, v56, v71, v88 op_sel_hi:[1,0,1]
	v_pk_fma_f16 v88, v56, v71, v89 op_sel:[0,1,0]
	v_pk_fma_f16 v89, v56, v72, v90 op_sel_hi:[1,0,1]
	v_pk_fma_f16 v90, v56, v72, v65 op_sel:[0,1,0]
	v_pk_fma_f16 v106, v57, v72, v66 op_sel:[0,1,0]
	;; [unrolled: 1-line block ×3, first 2 shown]
	ds_load_2addr_b64 v[65:68], v54 offset1:32
	v_pk_fma_f16 v91, v57, v71, v91 op_sel_hi:[1,0,1]
	v_pk_fma_f16 v92, v57, v71, v92 op_sel:[0,1,0]
	v_pk_fma_f16 v94, v57, v72, v94 op_sel_hi:[1,0,1]
	v_pk_fma_f16 v95, v58, v71, v95 op_sel_hi:[1,0,1]
	v_pk_fma_f16 v96, v58, v71, v96 op_sel:[0,1,0]
	v_pk_fma_f16 v97, v58, v72, v97 op_sel_hi:[1,0,1]
	;; [unrolled: 3-line block ×3, first 2 shown]
	v_pk_fma_f16 v99, v59, v72, v99 op_sel:[0,1,0]
	ds_load_2addr_b64 v[56:59], v54 offset0:64 offset1:96
	s_or_b32 s4, s13, 0x50
	s_waitcnt lgkmcnt(2)
	v_pk_fma_f16 v100, v60, v71, v100 op_sel_hi:[1,0,1]
	v_pk_fma_f16 v79, v60, v71, v79 op_sel:[0,1,0]
	v_pk_fma_f16 v80, v60, v72, v80 op_sel_hi:[1,0,1]
	v_pk_fma_f16 v73, v60, v72, v73 op_sel:[0,1,0]
	;; [unrolled: 2-line block ×8, first 2 shown]
	s_waitcnt lgkmcnt(1)
	v_pk_fma_f16 v72, v65, v8, v76 op_sel_hi:[1,0,1]
	v_pk_fma_f16 v76, v65, v8, v88 op_sel:[0,1,0]
	v_pk_fma_f16 v88, v65, v9, v89 op_sel_hi:[1,0,1]
	v_pk_fma_f16 v89, v65, v9, v90 op_sel:[0,1,0]
	;; [unrolled: 2-line block ×7, first 2 shown]
	ds_load_2addr_b64 v[60:63], v54 offset0:128 offset1:160
	v_pk_fma_f16 v78, v68, v9, v78 op_sel_hi:[1,0,1]
	v_pk_fma_f16 v99, v68, v9, v99 op_sel:[0,1,0]
	ds_load_2addr_b64 v[65:68], v54 offset0:192 offset1:224
	s_mul_hi_i32 s21, s4, s10
	s_mul_i32 s20, s4, s10
	s_waitcnt lgkmcnt(2)
	v_pk_fma_f16 v100, v56, v8, v100 op_sel_hi:[1,0,1]
	s_lshl_b64 s[20:21], s[20:21], 2
	v_pk_fma_f16 v79, v56, v8, v79 op_sel:[0,1,0]
	s_add_u32 s4, s11, s20
	v_pk_fma_f16 v80, v56, v9, v80 op_sel_hi:[1,0,1]
	v_pk_fma_f16 v56, v56, v9, v73 op_sel:[0,1,0]
	v_pk_fma_f16 v73, v57, v8, v85 op_sel_hi:[1,0,1]
	v_pk_fma_f16 v178, v57, v8, v101 op_sel:[0,1,0]
	;; [unrolled: 2-line block ×4, first 2 shown]
	s_addc_u32 s19, s16, s21
	v_add_co_u32 v8, vcc_lo, s4, v27
	v_pk_fma_f16 v179, v57, v9, v102 op_sel_hi:[1,0,1]
	v_pk_fma_f16 v180, v57, v9, v74 op_sel:[0,1,0]
	v_pk_fma_f16 v183, v58, v9, v104 op_sel_hi:[1,0,1]
	v_pk_fma_f16 v184, v58, v9, v75 op_sel:[0,1,0]
	;; [unrolled: 2-line block ×3, first 2 shown]
	v_add_co_ci_u32_e32 v9, vcc_lo, s19, v28, vcc_lo
	v_add_co_u32 v162, vcc_lo, s4, v29
	v_add_co_ci_u32_e32 v163, vcc_lo, s19, v30, vcc_lo
	v_add_co_u32 v8, vcc_lo, v8, v93
	s_delay_alu instid0(VALU_DEP_4) | instskip(NEXT) | instid1(VALU_DEP_4)
	v_add_co_ci_u32_e32 v9, vcc_lo, 0, v9, vcc_lo
	v_add_co_u32 v174, vcc_lo, v162, v93
	s_delay_alu instid0(VALU_DEP_4)
	v_add_co_ci_u32_e32 v175, vcc_lo, 0, v163, vcc_lo
	s_waitcnt lgkmcnt(1)
	v_pk_fma_f16 v189, v60, v10, v72 op_sel_hi:[1,0,1]
	v_pk_fma_f16 v190, v60, v10, v76 op_sel:[0,1,0]
	v_pk_fma_f16 v191, v60, v11, v88 op_sel_hi:[1,0,1]
	v_pk_fma_f16 v192, v60, v11, v89 op_sel:[0,1,0]
	;; [unrolled: 2-line block ×8, first 2 shown]
	s_waitcnt lgkmcnt(0)
	v_pk_fma_f16 v205, v65, v10, v100 op_sel_hi:[1,0,1]
	v_pk_fma_f16 v206, v65, v10, v79 op_sel:[0,1,0]
	v_pk_fma_f16 v207, v65, v11, v80 op_sel_hi:[1,0,1]
	v_pk_fma_f16 v65, v65, v11, v56 op_sel:[0,1,0]
	v_pk_fma_f16 v208, v66, v10, v73 op_sel_hi:[1,0,1]
	ds_load_2addr_b64 v[56:59], v55 offset1:32
	ds_load_2addr_b64 v[60:63], v55 offset0:64 offset1:96
	ds_load_2addr_b64 v[69:72], v55 offset0:128 offset1:160
	;; [unrolled: 1-line block ×3, first 2 shown]
	ds_load_2addr_b64 v[77:80], v52 offset1:32
	ds_load_2addr_b64 v[85:88], v52 offset0:64 offset1:96
	ds_load_2addr_b64 v[89:92], v52 offset0:128 offset1:160
	;; [unrolled: 1-line block ×3, first 2 shown]
	ds_load_2addr_b64 v[98:101], v51 offset1:32
	ds_load_2addr_b64 v[102:105], v51 offset0:64 offset1:96
	ds_load_b128 v[106:109], v41 offset:576
	ds_load_b128 v[110:113], v41 offset:592
	ds_load_2addr_b64 v[114:117], v51 offset0:128 offset1:160
	ds_load_2addr_b64 v[118:121], v51 offset0:192 offset1:224
	ds_load_2addr_b64 v[122:125], v50 offset1:32
	ds_load_2addr_b64 v[126:129], v50 offset0:64 offset1:96
	ds_load_2addr_b64 v[130:133], v50 offset0:128 offset1:160
	;; [unrolled: 1-line block ×3, first 2 shown]
	ds_load_2addr_b64 v[138:141], v49 offset1:32
	ds_load_2addr_b64 v[142:145], v49 offset0:64 offset1:96
	ds_load_b128 v[146:149], v41 offset:608
	ds_load_b128 v[150:153], v41 offset:624
	ds_load_2addr_b64 v[154:157], v49 offset0:128 offset1:160
	ds_load_2addr_b64 v[158:161], v49 offset0:192 offset1:224
	s_waitcnt lgkmcnt(0)
	s_barrier
	buffer_gl0_inv
	s_clause 0x3
	global_load_b128 v[162:165], v[8:9], off
	global_load_b128 v[166:169], v[8:9], off offset:512
	global_load_b128 v[170:173], v[174:175], off
	global_load_b128 v[174:177], v[174:175], off offset:512
	v_pk_fma_f16 v8, v66, v10, v178 op_sel:[0,1,0]
	v_pk_fma_f16 v9, v66, v11, v179 op_sel_hi:[1,0,1]
	v_pk_fma_f16 v66, v66, v11, v180 op_sel:[0,1,0]
	v_pk_fma_f16 v178, v67, v10, v181 op_sel_hi:[1,0,1]
	v_pk_fma_f16 v179, v67, v10, v182 op_sel:[0,1,0]
	v_pk_fma_f16 v180, v67, v11, v183 op_sel_hi:[1,0,1]
	v_pk_fma_f16 v67, v67, v11, v184 op_sel:[0,1,0]
	v_pk_fma_f16 v181, v68, v10, v185 op_sel_hi:[1,0,1]
	v_pk_fma_f16 v10, v68, v10, v186 op_sel:[0,1,0]
	v_pk_fma_f16 v182, v68, v11, v187 op_sel_hi:[1,0,1]
	v_pk_fma_f16 v11, v68, v11, v188 op_sel:[0,1,0]
	v_pk_fma_f16 v68, v56, v4, v189 op_sel_hi:[1,0,1]
	v_pk_fma_f16 v183, v56, v4, v190 op_sel:[0,1,0]
	v_pk_fma_f16 v184, v56, v5, v191 op_sel_hi:[1,0,1]
	v_pk_fma_f16 v56, v56, v5, v192 op_sel:[0,1,0]
	v_pk_fma_f16 v185, v57, v4, v193 op_sel_hi:[1,0,1]
	v_pk_fma_f16 v186, v57, v4, v194 op_sel:[0,1,0]
	v_pk_fma_f16 v187, v57, v5, v195 op_sel_hi:[1,0,1]
	v_pk_fma_f16 v57, v57, v5, v196 op_sel:[0,1,0]
	v_pk_fma_f16 v188, v58, v4, v197 op_sel_hi:[1,0,1]
	v_pk_fma_f16 v189, v58, v4, v198 op_sel:[0,1,0]
	v_pk_fma_f16 v190, v58, v5, v199 op_sel_hi:[1,0,1]
	v_pk_fma_f16 v58, v58, v5, v200 op_sel:[0,1,0]
	v_pk_fma_f16 v191, v59, v4, v201 op_sel_hi:[1,0,1]
	v_pk_fma_f16 v192, v59, v4, v202 op_sel:[0,1,0]
	v_pk_fma_f16 v193, v59, v5, v203 op_sel_hi:[1,0,1]
	v_pk_fma_f16 v59, v59, v5, v204 op_sel:[0,1,0]
	v_pk_fma_f16 v194, v60, v4, v205 op_sel_hi:[1,0,1]
	v_pk_fma_f16 v195, v60, v4, v206 op_sel:[0,1,0]
	v_pk_fma_f16 v196, v60, v5, v207 op_sel_hi:[1,0,1]
	v_pk_fma_f16 v60, v60, v5, v65 op_sel:[0,1,0]
	v_pk_fma_f16 v65, v61, v4, v208 op_sel_hi:[1,0,1]
	v_pk_fma_f16 v8, v61, v4, v8 op_sel:[0,1,0]
	v_pk_fma_f16 v9, v61, v5, v9 op_sel_hi:[1,0,1]
	v_pk_fma_f16 v61, v61, v5, v66 op_sel:[0,1,0]
	v_pk_fma_f16 v66, v62, v4, v178 op_sel_hi:[1,0,1]
	v_pk_fma_f16 v178, v62, v4, v179 op_sel:[0,1,0]
	v_pk_fma_f16 v179, v62, v5, v180 op_sel_hi:[1,0,1]
	v_pk_fma_f16 v62, v62, v5, v67 op_sel:[0,1,0]
	v_pk_fma_f16 v67, v63, v4, v181 op_sel_hi:[1,0,1]
	v_pk_fma_f16 v4, v63, v4, v10 op_sel:[0,1,0]
	v_pk_fma_f16 v10, v63, v5, v182 op_sel_hi:[1,0,1]
	v_pk_fma_f16 v5, v63, v5, v11 op_sel:[0,1,0]
	v_pk_fma_f16 v11, v69, v6, v68 op_sel_hi:[1,0,1]
	v_pk_fma_f16 v63, v69, v6, v183 op_sel:[0,1,0]
	v_pk_fma_f16 v68, v69, v7, v184 op_sel_hi:[1,0,1]
	v_pk_fma_f16 v56, v69, v7, v56 op_sel:[0,1,0]
	v_pk_fma_f16 v69, v70, v6, v185 op_sel_hi:[1,0,1]
	v_pk_fma_f16 v57, v70, v7, v57 op_sel:[0,1,0]
	v_pk_fma_f16 v58, v71, v7, v58 op_sel:[0,1,0]
	;; [unrolled: 1-line block ×4, first 2 shown]
	v_pk_fma_f16 v181, v70, v7, v187 op_sel_hi:[1,0,1]
	v_pk_fma_f16 v70, v71, v6, v188 op_sel_hi:[1,0,1]
	v_pk_fma_f16 v182, v71, v6, v189 op_sel:[0,1,0]
	v_pk_fma_f16 v183, v71, v7, v190 op_sel_hi:[1,0,1]
	v_pk_fma_f16 v71, v72, v6, v191 op_sel_hi:[1,0,1]
	v_pk_fma_f16 v184, v72, v6, v192 op_sel:[0,1,0]
	;; [unrolled: 3-line block ×3, first 2 shown]
	v_pk_fma_f16 v187, v73, v7, v196 op_sel_hi:[1,0,1]
	v_pk_fma_f16 v60, v73, v7, v60 op_sel:[0,1,0]
	v_pk_fma_f16 v65, v74, v6, v65 op_sel_hi:[1,0,1]
	v_pk_fma_f16 v8, v74, v6, v8 op_sel:[0,1,0]
	v_pk_fma_f16 v61, v74, v7, v61 op_sel:[0,1,0]
	v_pk_fma_f16 v66, v75, v6, v66 op_sel_hi:[1,0,1]
	v_pk_fma_f16 v73, v75, v6, v178 op_sel:[0,1,0]
	;; [unrolled: 3-line block ×3, first 2 shown]
	v_pk_fma_f16 v6, v76, v7, v10 op_sel_hi:[1,0,1]
	v_pk_fma_f16 v10, v77, v106, v63 op_sel:[0,1,0]
	v_pk_fma_f16 v56, v77, v107, v56 op_sel:[0,1,0]
	v_pk_fma_f16 v63, v78, v106, v69 op_sel_hi:[1,0,1]
	v_pk_fma_f16 v57, v78, v107, v57 op_sel:[0,1,0]
	v_pk_fma_f16 v58, v79, v107, v58 op_sel:[0,1,0]
	;; [unrolled: 1-line block ×7, first 2 shown]
	v_pk_fma_f16 v63, v90, v108, v63 op_sel_hi:[1,0,1]
	v_pk_fma_f16 v57, v90, v109, v57 op_sel:[0,1,0]
	v_pk_fma_f16 v58, v91, v109, v58 op_sel:[0,1,0]
	;; [unrolled: 1-line block ×7, first 2 shown]
	v_pk_fma_f16 v63, v99, v110, v63 op_sel_hi:[1,0,1]
	v_pk_fma_f16 v57, v99, v111, v57 op_sel:[0,1,0]
	v_pk_fma_f16 v58, v100, v111, v58 op_sel:[0,1,0]
	;; [unrolled: 1-line block ×3, first 2 shown]
	v_pk_fma_f16 v9, v74, v7, v9 op_sel_hi:[1,0,1]
	v_pk_fma_f16 v5, v76, v7, v5 op_sel:[0,1,0]
	v_pk_fma_f16 v74, v75, v7, v179 op_sel_hi:[1,0,1]
	v_pk_fma_f16 v7, v77, v106, v11 op_sel_hi:[1,0,1]
	;; [unrolled: 1-line block ×3, first 2 shown]
	v_pk_fma_f16 v68, v78, v106, v180 op_sel:[0,1,0]
	v_pk_fma_f16 v69, v78, v107, v181 op_sel_hi:[1,0,1]
	v_pk_fma_f16 v70, v79, v106, v70 op_sel_hi:[1,0,1]
	v_pk_fma_f16 v75, v79, v106, v182 op_sel:[0,1,0]
	v_pk_fma_f16 v76, v79, v107, v183 op_sel_hi:[1,0,1]
	v_pk_fma_f16 v71, v80, v106, v71 op_sel_hi:[1,0,1]
	v_pk_fma_f16 v77, v80, v106, v184 op_sel:[0,1,0]
	v_pk_fma_f16 v78, v80, v107, v185 op_sel_hi:[1,0,1]
	v_pk_fma_f16 v60, v102, v111, v60 op_sel:[0,1,0]
	v_pk_fma_f16 v61, v103, v111, v61 op_sel:[0,1,0]
	v_pk_fma_f16 v62, v104, v111, v62 op_sel:[0,1,0]
	v_pk_fma_f16 v56, v114, v113, v56 op_sel:[0,1,0]
	v_pk_fma_f16 v63, v115, v112, v63 op_sel_hi:[1,0,1]
	v_pk_fma_f16 v57, v115, v113, v57 op_sel:[0,1,0]
	v_pk_fma_f16 v58, v116, v113, v58 op_sel:[0,1,0]
	;; [unrolled: 1-line block ×3, first 2 shown]
	v_pk_fma_f16 v72, v85, v106, v72 op_sel_hi:[1,0,1]
	v_pk_fma_f16 v65, v86, v106, v65 op_sel_hi:[1,0,1]
	v_pk_fma_f16 v8, v86, v106, v8 op_sel:[0,1,0]
	v_pk_fma_f16 v9, v86, v107, v9 op_sel_hi:[1,0,1]
	v_pk_fma_f16 v66, v87, v106, v66 op_sel_hi:[1,0,1]
	;; [unrolled: 1-line block ×3, first 2 shown]
	v_pk_fma_f16 v4, v88, v106, v4 op_sel:[0,1,0]
	v_pk_fma_f16 v6, v88, v107, v6 op_sel_hi:[1,0,1]
	v_pk_fma_f16 v5, v88, v107, v5 op_sel:[0,1,0]
	v_pk_fma_f16 v73, v87, v106, v73 op_sel:[0,1,0]
	v_pk_fma_f16 v74, v87, v107, v74 op_sel_hi:[1,0,1]
	v_pk_fma_f16 v7, v89, v108, v7 op_sel_hi:[1,0,1]
	v_pk_fma_f16 v10, v89, v108, v10 op_sel:[0,1,0]
	v_pk_fma_f16 v11, v89, v109, v11 op_sel_hi:[1,0,1]
	v_pk_fma_f16 v68, v90, v108, v68 op_sel:[0,1,0]
	v_pk_fma_f16 v69, v90, v109, v69 op_sel_hi:[1,0,1]
	v_pk_fma_f16 v70, v91, v108, v70 op_sel_hi:[1,0,1]
	v_pk_fma_f16 v75, v91, v108, v75 op_sel:[0,1,0]
	v_pk_fma_f16 v76, v91, v109, v76 op_sel_hi:[1,0,1]
	;; [unrolled: 3-line block ×3, first 2 shown]
	v_pk_fma_f16 v60, v118, v113, v60 op_sel:[0,1,0]
	v_pk_fma_f16 v61, v119, v113, v61 op_sel:[0,1,0]
	v_pk_fma_f16 v62, v120, v113, v62 op_sel:[0,1,0]
	v_pk_fma_f16 v56, v122, v147, v56 op_sel:[0,1,0]
	v_pk_fma_f16 v63, v123, v146, v63 op_sel_hi:[1,0,1]
	v_pk_fma_f16 v57, v123, v147, v57 op_sel:[0,1,0]
	v_pk_fma_f16 v58, v124, v147, v58 op_sel:[0,1,0]
	;; [unrolled: 1-line block ×3, first 2 shown]
	v_pk_fma_f16 v72, v94, v108, v72 op_sel_hi:[1,0,1]
	v_pk_fma_f16 v65, v95, v108, v65 op_sel_hi:[1,0,1]
	v_pk_fma_f16 v8, v95, v108, v8 op_sel:[0,1,0]
	v_pk_fma_f16 v9, v95, v109, v9 op_sel_hi:[1,0,1]
	v_pk_fma_f16 v66, v96, v108, v66 op_sel_hi:[1,0,1]
	;; [unrolled: 1-line block ×3, first 2 shown]
	v_pk_fma_f16 v4, v97, v108, v4 op_sel:[0,1,0]
	v_pk_fma_f16 v6, v97, v109, v6 op_sel_hi:[1,0,1]
	v_pk_fma_f16 v5, v97, v109, v5 op_sel:[0,1,0]
	v_pk_fma_f16 v73, v96, v108, v73 op_sel:[0,1,0]
	v_pk_fma_f16 v74, v96, v109, v74 op_sel_hi:[1,0,1]
	v_pk_fma_f16 v7, v98, v110, v7 op_sel_hi:[1,0,1]
	v_pk_fma_f16 v10, v98, v110, v10 op_sel:[0,1,0]
	v_pk_fma_f16 v11, v98, v111, v11 op_sel_hi:[1,0,1]
	v_pk_fma_f16 v68, v99, v110, v68 op_sel:[0,1,0]
	v_pk_fma_f16 v69, v99, v111, v69 op_sel_hi:[1,0,1]
	v_pk_fma_f16 v70, v100, v110, v70 op_sel_hi:[1,0,1]
	v_pk_fma_f16 v75, v100, v110, v75 op_sel:[0,1,0]
	v_pk_fma_f16 v76, v100, v111, v76 op_sel_hi:[1,0,1]
	;; [unrolled: 3-line block ×3, first 2 shown]
	v_pk_fma_f16 v60, v126, v147, v60 op_sel:[0,1,0]
	v_pk_fma_f16 v61, v127, v147, v61 op_sel:[0,1,0]
	v_pk_fma_f16 v62, v128, v147, v62 op_sel:[0,1,0]
	v_pk_fma_f16 v56, v130, v149, v56 op_sel:[0,1,0]
	v_pk_fma_f16 v63, v131, v148, v63 op_sel_hi:[1,0,1]
	v_pk_fma_f16 v57, v131, v149, v57 op_sel:[0,1,0]
	v_pk_fma_f16 v58, v132, v149, v58 op_sel:[0,1,0]
	;; [unrolled: 1-line block ×3, first 2 shown]
	v_pk_fma_f16 v72, v102, v110, v72 op_sel_hi:[1,0,1]
	v_pk_fma_f16 v65, v103, v110, v65 op_sel_hi:[1,0,1]
	v_pk_fma_f16 v8, v103, v110, v8 op_sel:[0,1,0]
	v_pk_fma_f16 v9, v103, v111, v9 op_sel_hi:[1,0,1]
	v_pk_fma_f16 v66, v104, v110, v66 op_sel_hi:[1,0,1]
	;; [unrolled: 1-line block ×3, first 2 shown]
	v_pk_fma_f16 v4, v105, v110, v4 op_sel:[0,1,0]
	v_pk_fma_f16 v6, v105, v111, v6 op_sel_hi:[1,0,1]
	v_pk_fma_f16 v5, v105, v111, v5 op_sel:[0,1,0]
	v_pk_fma_f16 v79, v85, v106, v186 op_sel:[0,1,0]
	v_pk_fma_f16 v80, v85, v107, v187 op_sel_hi:[1,0,1]
	v_pk_fma_f16 v73, v104, v110, v73 op_sel:[0,1,0]
	v_pk_fma_f16 v74, v104, v111, v74 op_sel_hi:[1,0,1]
	v_pk_fma_f16 v7, v114, v112, v7 op_sel_hi:[1,0,1]
	v_pk_fma_f16 v10, v114, v112, v10 op_sel:[0,1,0]
	v_pk_fma_f16 v11, v114, v113, v11 op_sel_hi:[1,0,1]
	v_pk_fma_f16 v68, v115, v112, v68 op_sel:[0,1,0]
	v_pk_fma_f16 v69, v115, v113, v69 op_sel_hi:[1,0,1]
	v_pk_fma_f16 v70, v116, v112, v70 op_sel_hi:[1,0,1]
	v_pk_fma_f16 v75, v116, v112, v75 op_sel:[0,1,0]
	v_pk_fma_f16 v76, v116, v113, v76 op_sel_hi:[1,0,1]
	;; [unrolled: 3-line block ×3, first 2 shown]
	v_pk_fma_f16 v60, v134, v149, v60 op_sel:[0,1,0]
	v_pk_fma_f16 v61, v135, v149, v61 op_sel:[0,1,0]
	;; [unrolled: 1-line block ×4, first 2 shown]
	v_pk_fma_f16 v63, v139, v150, v63 op_sel_hi:[1,0,1]
	v_pk_fma_f16 v57, v139, v151, v57 op_sel:[0,1,0]
	v_pk_fma_f16 v58, v140, v151, v58 op_sel:[0,1,0]
	;; [unrolled: 1-line block ×3, first 2 shown]
	v_pk_fma_f16 v72, v118, v112, v72 op_sel_hi:[1,0,1]
	v_pk_fma_f16 v65, v119, v112, v65 op_sel_hi:[1,0,1]
	v_pk_fma_f16 v8, v119, v112, v8 op_sel:[0,1,0]
	v_pk_fma_f16 v9, v119, v113, v9 op_sel_hi:[1,0,1]
	v_pk_fma_f16 v66, v120, v112, v66 op_sel_hi:[1,0,1]
	v_pk_fma_f16 v67, v121, v112, v67 op_sel_hi:[1,0,1]
	v_pk_fma_f16 v4, v121, v112, v4 op_sel:[0,1,0]
	v_pk_fma_f16 v6, v121, v113, v6 op_sel_hi:[1,0,1]
	v_pk_fma_f16 v5, v121, v113, v5 op_sel:[0,1,0]
	v_pk_fma_f16 v79, v94, v108, v79 op_sel:[0,1,0]
	v_pk_fma_f16 v80, v94, v109, v80 op_sel_hi:[1,0,1]
	v_pk_fma_f16 v73, v120, v112, v73 op_sel:[0,1,0]
	v_pk_fma_f16 v74, v120, v113, v74 op_sel_hi:[1,0,1]
	v_pk_fma_f16 v7, v122, v146, v7 op_sel_hi:[1,0,1]
	v_pk_fma_f16 v10, v122, v146, v10 op_sel:[0,1,0]
	v_pk_fma_f16 v11, v122, v147, v11 op_sel_hi:[1,0,1]
	v_pk_fma_f16 v68, v123, v146, v68 op_sel:[0,1,0]
	v_pk_fma_f16 v69, v123, v147, v69 op_sel_hi:[1,0,1]
	v_pk_fma_f16 v70, v124, v146, v70 op_sel_hi:[1,0,1]
	v_pk_fma_f16 v75, v124, v146, v75 op_sel:[0,1,0]
	v_pk_fma_f16 v76, v124, v147, v76 op_sel_hi:[1,0,1]
	;; [unrolled: 3-line block ×3, first 2 shown]
	v_pk_fma_f16 v85, v142, v151, v60 op_sel:[0,1,0]
	v_pk_fma_f16 v86, v143, v151, v61 op_sel:[0,1,0]
	;; [unrolled: 1-line block ×4, first 2 shown]
	v_pk_fma_f16 v92, v155, v152, v63 op_sel_hi:[1,0,1]
	v_pk_fma_f16 v96, v155, v153, v57 op_sel:[0,1,0]
	v_pk_fma_f16 v98, v156, v153, v58 op_sel:[0,1,0]
	;; [unrolled: 1-line block ×3, first 2 shown]
	s_waitcnt vmcnt(3)
	ds_store_b128 v43, v[162:165]
	s_waitcnt vmcnt(2)
	ds_store_b128 v44, v[166:169]
	;; [unrolled: 2-line block ×4, first 2 shown]
	s_waitcnt lgkmcnt(0)
	s_barrier
	buffer_gl0_inv
	ds_load_2addr_b64 v[56:59], v64 offset1:32
	ds_load_b128 v[60:63], v41 offset:640
	v_pk_fma_f16 v72, v126, v146, v72 op_sel_hi:[1,0,1]
	v_pk_fma_f16 v65, v127, v146, v65 op_sel_hi:[1,0,1]
	v_pk_fma_f16 v8, v127, v146, v8 op_sel:[0,1,0]
	v_pk_fma_f16 v9, v127, v147, v9 op_sel_hi:[1,0,1]
	v_pk_fma_f16 v66, v128, v146, v66 op_sel_hi:[1,0,1]
	v_pk_fma_f16 v67, v129, v146, v67 op_sel_hi:[1,0,1]
	v_pk_fma_f16 v4, v129, v146, v4 op_sel:[0,1,0]
	v_pk_fma_f16 v6, v129, v147, v6 op_sel_hi:[1,0,1]
	v_pk_fma_f16 v5, v129, v147, v5 op_sel:[0,1,0]
	v_pk_fma_f16 v79, v102, v110, v79 op_sel:[0,1,0]
	v_pk_fma_f16 v80, v102, v111, v80 op_sel_hi:[1,0,1]
	v_pk_fma_f16 v73, v128, v146, v73 op_sel:[0,1,0]
	v_pk_fma_f16 v74, v128, v147, v74 op_sel_hi:[1,0,1]
	v_pk_fma_f16 v7, v130, v148, v7 op_sel_hi:[1,0,1]
	v_pk_fma_f16 v10, v130, v148, v10 op_sel:[0,1,0]
	v_pk_fma_f16 v11, v130, v149, v11 op_sel_hi:[1,0,1]
	v_pk_fma_f16 v68, v131, v148, v68 op_sel:[0,1,0]
	v_pk_fma_f16 v69, v131, v149, v69 op_sel_hi:[1,0,1]
	v_pk_fma_f16 v70, v132, v148, v70 op_sel_hi:[1,0,1]
	v_pk_fma_f16 v75, v132, v148, v75 op_sel:[0,1,0]
	v_pk_fma_f16 v76, v132, v149, v76 op_sel_hi:[1,0,1]
	v_pk_fma_f16 v71, v133, v148, v71 op_sel_hi:[1,0,1]
	v_pk_fma_f16 v77, v133, v148, v77 op_sel:[0,1,0]
	v_pk_fma_f16 v78, v133, v149, v78 op_sel_hi:[1,0,1]
	v_pk_fma_f16 v72, v134, v148, v72 op_sel_hi:[1,0,1]
	v_pk_fma_f16 v65, v135, v148, v65 op_sel_hi:[1,0,1]
	v_pk_fma_f16 v8, v135, v148, v8 op_sel:[0,1,0]
	v_pk_fma_f16 v9, v135, v149, v9 op_sel_hi:[1,0,1]
	v_pk_fma_f16 v66, v136, v148, v66 op_sel_hi:[1,0,1]
	v_pk_fma_f16 v67, v137, v148, v67 op_sel_hi:[1,0,1]
	v_pk_fma_f16 v4, v137, v148, v4 op_sel:[0,1,0]
	v_pk_fma_f16 v6, v137, v149, v6 op_sel_hi:[1,0,1]
	v_pk_fma_f16 v5, v137, v149, v5 op_sel:[0,1,0]
	v_pk_fma_f16 v79, v118, v112, v79 op_sel:[0,1,0]
	v_pk_fma_f16 v80, v118, v113, v80 op_sel_hi:[1,0,1]
	v_pk_fma_f16 v73, v136, v148, v73 op_sel:[0,1,0]
	v_pk_fma_f16 v74, v136, v149, v74 op_sel_hi:[1,0,1]
	v_pk_fma_f16 v7, v138, v150, v7 op_sel_hi:[1,0,1]
	v_pk_fma_f16 v10, v138, v150, v10 op_sel:[0,1,0]
	v_pk_fma_f16 v11, v138, v151, v11 op_sel_hi:[1,0,1]
	v_pk_fma_f16 v68, v139, v150, v68 op_sel:[0,1,0]
	v_pk_fma_f16 v69, v139, v151, v69 op_sel_hi:[1,0,1]
	v_pk_fma_f16 v70, v140, v150, v70 op_sel_hi:[1,0,1]
	v_pk_fma_f16 v75, v140, v150, v75 op_sel:[0,1,0]
	v_pk_fma_f16 v76, v140, v151, v76 op_sel_hi:[1,0,1]
	v_pk_fma_f16 v71, v141, v150, v71 op_sel_hi:[1,0,1]
	v_pk_fma_f16 v77, v141, v150, v77 op_sel:[0,1,0]
	v_pk_fma_f16 v78, v141, v151, v78 op_sel_hi:[1,0,1]
	;; [unrolled: 24-line block ×3, first 2 shown]
	v_pk_fma_f16 v101, v158, v152, v72 op_sel_hi:[1,0,1]
	v_pk_fma_f16 v102, v159, v152, v65 op_sel_hi:[1,0,1]
	v_pk_fma_f16 v103, v159, v152, v8 op_sel:[0,1,0]
	v_pk_fma_f16 v104, v159, v153, v9 op_sel_hi:[1,0,1]
	v_pk_fma_f16 v105, v160, v152, v66 op_sel_hi:[1,0,1]
	;; [unrolled: 1-line block ×3, first 2 shown]
	v_pk_fma_f16 v109, v161, v152, v4 op_sel:[0,1,0]
	v_pk_fma_f16 v110, v161, v153, v6 op_sel_hi:[1,0,1]
	v_pk_fma_f16 v111, v161, v153, v5 op_sel:[0,1,0]
	ds_load_2addr_b64 v[65:68], v64 offset0:64 offset1:96
	ds_load_b128 v[69:72], v41 offset:656
	ds_load_b128 v[8:11], v41 offset:672
	;; [unrolled: 1-line block ×3, first 2 shown]
	v_pk_fma_f16 v79, v134, v148, v79 op_sel:[0,1,0]
	v_pk_fma_f16 v80, v134, v149, v80 op_sel_hi:[1,0,1]
	v_pk_fma_f16 v106, v160, v152, v73 op_sel:[0,1,0]
	v_pk_fma_f16 v107, v160, v153, v74 op_sel_hi:[1,0,1]
	s_waitcnt lgkmcnt(4)
	v_pk_fma_f16 v88, v56, v60, v88 op_sel_hi:[1,0,1]
	v_pk_fma_f16 v89, v56, v60, v89 op_sel:[0,1,0]
	v_pk_fma_f16 v90, v56, v61, v90 op_sel_hi:[1,0,1]
	v_pk_fma_f16 v91, v56, v61, v91 op_sel:[0,1,0]
	;; [unrolled: 2-line block ×7, first 2 shown]
	ds_load_2addr_b64 v[73:76], v64 offset0:128 offset1:160
	v_pk_fma_f16 v78, v59, v61, v78 op_sel_hi:[1,0,1]
	v_pk_fma_f16 v100, v59, v61, v100 op_sel:[0,1,0]
	ds_load_2addr_b64 v[56:59], v64 offset0:192 offset1:224
	v_pk_fma_f16 v79, v142, v150, v79 op_sel:[0,1,0]
	v_pk_fma_f16 v80, v142, v151, v80 op_sel_hi:[1,0,1]
	v_pk_fma_f16 v85, v158, v153, v85 op_sel:[0,1,0]
	v_pk_fma_f16 v86, v159, v153, v86 op_sel:[0,1,0]
	;; [unrolled: 1-line block ×4, first 2 shown]
	v_pk_fma_f16 v80, v158, v153, v80 op_sel_hi:[1,0,1]
	s_waitcnt lgkmcnt(5)
	v_pk_fma_f16 v101, v65, v60, v101 op_sel_hi:[1,0,1]
	v_pk_fma_f16 v85, v65, v61, v85 op_sel:[0,1,0]
	v_pk_fma_f16 v102, v66, v60, v102 op_sel_hi:[1,0,1]
	v_pk_fma_f16 v79, v65, v60, v79 op_sel:[0,1,0]
	;; [unrolled: 2-line block ×8, first 2 shown]
	ds_load_2addr_b64 v[65:68], v53 offset1:32
	s_waitcnt lgkmcnt(2)
	v_pk_fma_f16 v88, v73, v62, v88 op_sel_hi:[1,0,1]
	v_pk_fma_f16 v89, v73, v62, v89 op_sel:[0,1,0]
	v_pk_fma_f16 v90, v73, v63, v90 op_sel_hi:[1,0,1]
	v_pk_fma_f16 v91, v73, v63, v91 op_sel:[0,1,0]
	;; [unrolled: 2-line block ×8, first 2 shown]
	s_waitcnt lgkmcnt(1)
	v_pk_fma_f16 v101, v56, v62, v101 op_sel_hi:[1,0,1]
	v_pk_fma_f16 v79, v56, v62, v79 op_sel:[0,1,0]
	v_pk_fma_f16 v80, v56, v63, v80 op_sel_hi:[1,0,1]
	v_pk_fma_f16 v85, v56, v63, v85 op_sel:[0,1,0]
	;; [unrolled: 2-line block ×7, first 2 shown]
	ds_load_2addr_b64 v[73:76], v53 offset0:64 offset1:96
	v_pk_fma_f16 v109, v59, v63, v109 op_sel_hi:[1,0,1]
	v_pk_fma_f16 v112, v59, v63, v61 op_sel:[0,1,0]
	ds_load_2addr_b64 v[56:59], v53 offset0:128 offset1:160
	s_waitcnt lgkmcnt(2)
	v_pk_fma_f16 v88, v65, v69, v88 op_sel_hi:[1,0,1]
	v_pk_fma_f16 v89, v65, v69, v89 op_sel:[0,1,0]
	v_pk_fma_f16 v90, v65, v70, v90 op_sel_hi:[1,0,1]
	v_pk_fma_f16 v65, v65, v70, v91 op_sel:[0,1,0]
	;; [unrolled: 2-line block ×8, first 2 shown]
	s_waitcnt lgkmcnt(1)
	v_pk_fma_f16 v100, v73, v69, v101 op_sel_hi:[1,0,1]
	v_pk_fma_f16 v79, v73, v69, v79 op_sel:[0,1,0]
	v_pk_fma_f16 v80, v73, v70, v80 op_sel_hi:[1,0,1]
	v_pk_fma_f16 v73, v73, v70, v85 op_sel:[0,1,0]
	;; [unrolled: 2-line block ×7, first 2 shown]
	ds_load_2addr_b64 v[60:63], v53 offset0:192 offset1:224
	v_pk_fma_f16 v105, v76, v70, v109 op_sel_hi:[1,0,1]
	v_pk_fma_f16 v70, v76, v70, v112 op_sel:[0,1,0]
	s_waitcnt lgkmcnt(1)
	v_pk_fma_f16 v76, v56, v71, v88 op_sel_hi:[1,0,1]
	v_pk_fma_f16 v88, v56, v71, v89 op_sel:[0,1,0]
	v_pk_fma_f16 v89, v56, v72, v90 op_sel_hi:[1,0,1]
	v_pk_fma_f16 v90, v56, v72, v65 op_sel:[0,1,0]
	v_pk_fma_f16 v106, v57, v72, v66 op_sel:[0,1,0]
	;; [unrolled: 1-line block ×3, first 2 shown]
	ds_load_2addr_b64 v[65:68], v54 offset1:32
	v_pk_fma_f16 v91, v57, v71, v91 op_sel_hi:[1,0,1]
	v_pk_fma_f16 v92, v57, v71, v92 op_sel:[0,1,0]
	v_pk_fma_f16 v94, v57, v72, v94 op_sel_hi:[1,0,1]
	v_pk_fma_f16 v95, v58, v71, v95 op_sel_hi:[1,0,1]
	v_pk_fma_f16 v96, v58, v71, v96 op_sel:[0,1,0]
	v_pk_fma_f16 v97, v58, v72, v97 op_sel_hi:[1,0,1]
	;; [unrolled: 3-line block ×3, first 2 shown]
	v_pk_fma_f16 v99, v59, v72, v99 op_sel:[0,1,0]
	ds_load_2addr_b64 v[56:59], v54 offset0:64 offset1:96
	s_or_b32 s4, s13, 0x60
	s_waitcnt lgkmcnt(2)
	v_pk_fma_f16 v100, v60, v71, v100 op_sel_hi:[1,0,1]
	v_pk_fma_f16 v79, v60, v71, v79 op_sel:[0,1,0]
	v_pk_fma_f16 v80, v60, v72, v80 op_sel_hi:[1,0,1]
	v_pk_fma_f16 v73, v60, v72, v73 op_sel:[0,1,0]
	;; [unrolled: 2-line block ×8, first 2 shown]
	s_waitcnt lgkmcnt(1)
	v_pk_fma_f16 v72, v65, v8, v76 op_sel_hi:[1,0,1]
	v_pk_fma_f16 v76, v65, v8, v88 op_sel:[0,1,0]
	v_pk_fma_f16 v88, v65, v9, v89 op_sel_hi:[1,0,1]
	v_pk_fma_f16 v89, v65, v9, v90 op_sel:[0,1,0]
	v_pk_fma_f16 v90, v66, v8, v91 op_sel_hi:[1,0,1]
	v_pk_fma_f16 v91, v66, v8, v92 op_sel:[0,1,0]
	v_pk_fma_f16 v92, v66, v9, v94 op_sel_hi:[1,0,1]
	v_pk_fma_f16 v94, v66, v9, v106 op_sel:[0,1,0]
	v_pk_fma_f16 v95, v67, v8, v95 op_sel_hi:[1,0,1]
	v_pk_fma_f16 v96, v67, v8, v96 op_sel:[0,1,0]
	v_pk_fma_f16 v97, v67, v9, v97 op_sel_hi:[1,0,1]
	v_pk_fma_f16 v105, v67, v9, v107 op_sel:[0,1,0]
	v_pk_fma_f16 v98, v68, v8, v98 op_sel_hi:[1,0,1]
	v_pk_fma_f16 v77, v68, v8, v77 op_sel:[0,1,0]
	ds_load_2addr_b64 v[60:63], v54 offset0:128 offset1:160
	v_pk_fma_f16 v78, v68, v9, v78 op_sel_hi:[1,0,1]
	v_pk_fma_f16 v99, v68, v9, v99 op_sel:[0,1,0]
	ds_load_2addr_b64 v[65:68], v54 offset0:192 offset1:224
	s_mul_hi_i32 s21, s4, s10
	s_mul_i32 s20, s4, s10
	s_waitcnt lgkmcnt(2)
	v_pk_fma_f16 v100, v56, v8, v100 op_sel_hi:[1,0,1]
	s_lshl_b64 s[20:21], s[20:21], 2
	v_pk_fma_f16 v79, v56, v8, v79 op_sel:[0,1,0]
	s_add_u32 s4, s11, s20
	v_pk_fma_f16 v80, v56, v9, v80 op_sel_hi:[1,0,1]
	v_pk_fma_f16 v56, v56, v9, v73 op_sel:[0,1,0]
	v_pk_fma_f16 v73, v57, v8, v85 op_sel_hi:[1,0,1]
	v_pk_fma_f16 v178, v57, v8, v101 op_sel:[0,1,0]
	;; [unrolled: 2-line block ×4, first 2 shown]
	s_addc_u32 s19, s16, s21
	v_add_co_u32 v8, vcc_lo, s4, v27
	v_pk_fma_f16 v179, v57, v9, v102 op_sel_hi:[1,0,1]
	v_pk_fma_f16 v180, v57, v9, v74 op_sel:[0,1,0]
	v_pk_fma_f16 v183, v58, v9, v104 op_sel_hi:[1,0,1]
	v_pk_fma_f16 v184, v58, v9, v75 op_sel:[0,1,0]
	;; [unrolled: 2-line block ×3, first 2 shown]
	v_add_co_ci_u32_e32 v9, vcc_lo, s19, v28, vcc_lo
	v_add_co_u32 v162, vcc_lo, s4, v29
	v_add_co_ci_u32_e32 v163, vcc_lo, s19, v30, vcc_lo
	v_add_co_u32 v8, vcc_lo, v8, v93
	s_delay_alu instid0(VALU_DEP_4) | instskip(NEXT) | instid1(VALU_DEP_4)
	v_add_co_ci_u32_e32 v9, vcc_lo, 0, v9, vcc_lo
	v_add_co_u32 v174, vcc_lo, v162, v93
	s_delay_alu instid0(VALU_DEP_4)
	v_add_co_ci_u32_e32 v175, vcc_lo, 0, v163, vcc_lo
	s_waitcnt lgkmcnt(1)
	v_pk_fma_f16 v189, v60, v10, v72 op_sel_hi:[1,0,1]
	v_pk_fma_f16 v190, v60, v10, v76 op_sel:[0,1,0]
	v_pk_fma_f16 v191, v60, v11, v88 op_sel_hi:[1,0,1]
	v_pk_fma_f16 v192, v60, v11, v89 op_sel:[0,1,0]
	;; [unrolled: 2-line block ×8, first 2 shown]
	s_waitcnt lgkmcnt(0)
	v_pk_fma_f16 v205, v65, v10, v100 op_sel_hi:[1,0,1]
	v_pk_fma_f16 v206, v65, v10, v79 op_sel:[0,1,0]
	v_pk_fma_f16 v207, v65, v11, v80 op_sel_hi:[1,0,1]
	v_pk_fma_f16 v65, v65, v11, v56 op_sel:[0,1,0]
	v_pk_fma_f16 v208, v66, v10, v73 op_sel_hi:[1,0,1]
	ds_load_2addr_b64 v[56:59], v55 offset1:32
	ds_load_2addr_b64 v[60:63], v55 offset0:64 offset1:96
	ds_load_2addr_b64 v[69:72], v55 offset0:128 offset1:160
	;; [unrolled: 1-line block ×3, first 2 shown]
	ds_load_2addr_b64 v[77:80], v52 offset1:32
	ds_load_2addr_b64 v[85:88], v52 offset0:64 offset1:96
	ds_load_2addr_b64 v[89:92], v52 offset0:128 offset1:160
	;; [unrolled: 1-line block ×3, first 2 shown]
	ds_load_2addr_b64 v[98:101], v51 offset1:32
	ds_load_2addr_b64 v[102:105], v51 offset0:64 offset1:96
	ds_load_b128 v[106:109], v41 offset:704
	ds_load_b128 v[110:113], v41 offset:720
	ds_load_2addr_b64 v[114:117], v51 offset0:128 offset1:160
	ds_load_2addr_b64 v[118:121], v51 offset0:192 offset1:224
	ds_load_2addr_b64 v[122:125], v50 offset1:32
	ds_load_2addr_b64 v[126:129], v50 offset0:64 offset1:96
	ds_load_2addr_b64 v[130:133], v50 offset0:128 offset1:160
	;; [unrolled: 1-line block ×3, first 2 shown]
	ds_load_2addr_b64 v[138:141], v49 offset1:32
	ds_load_2addr_b64 v[142:145], v49 offset0:64 offset1:96
	ds_load_b128 v[146:149], v41 offset:736
	ds_load_b128 v[150:153], v41 offset:752
	ds_load_2addr_b64 v[154:157], v49 offset0:128 offset1:160
	ds_load_2addr_b64 v[158:161], v49 offset0:192 offset1:224
	s_waitcnt lgkmcnt(0)
	s_barrier
	buffer_gl0_inv
	s_clause 0x3
	global_load_b128 v[162:165], v[8:9], off
	global_load_b128 v[166:169], v[8:9], off offset:512
	global_load_b128 v[170:173], v[174:175], off
	global_load_b128 v[174:177], v[174:175], off offset:512
	v_pk_fma_f16 v8, v66, v10, v178 op_sel:[0,1,0]
	v_pk_fma_f16 v9, v66, v11, v179 op_sel_hi:[1,0,1]
	v_pk_fma_f16 v66, v66, v11, v180 op_sel:[0,1,0]
	v_pk_fma_f16 v178, v67, v10, v181 op_sel_hi:[1,0,1]
	v_pk_fma_f16 v179, v67, v10, v182 op_sel:[0,1,0]
	v_pk_fma_f16 v180, v67, v11, v183 op_sel_hi:[1,0,1]
	v_pk_fma_f16 v67, v67, v11, v184 op_sel:[0,1,0]
	v_pk_fma_f16 v181, v68, v10, v185 op_sel_hi:[1,0,1]
	v_pk_fma_f16 v10, v68, v10, v186 op_sel:[0,1,0]
	v_pk_fma_f16 v182, v68, v11, v187 op_sel_hi:[1,0,1]
	v_pk_fma_f16 v11, v68, v11, v188 op_sel:[0,1,0]
	v_pk_fma_f16 v68, v56, v4, v189 op_sel_hi:[1,0,1]
	v_pk_fma_f16 v183, v56, v4, v190 op_sel:[0,1,0]
	v_pk_fma_f16 v184, v56, v5, v191 op_sel_hi:[1,0,1]
	v_pk_fma_f16 v56, v56, v5, v192 op_sel:[0,1,0]
	v_pk_fma_f16 v185, v57, v4, v193 op_sel_hi:[1,0,1]
	v_pk_fma_f16 v186, v57, v4, v194 op_sel:[0,1,0]
	v_pk_fma_f16 v187, v57, v5, v195 op_sel_hi:[1,0,1]
	v_pk_fma_f16 v57, v57, v5, v196 op_sel:[0,1,0]
	v_pk_fma_f16 v188, v58, v4, v197 op_sel_hi:[1,0,1]
	v_pk_fma_f16 v189, v58, v4, v198 op_sel:[0,1,0]
	v_pk_fma_f16 v190, v58, v5, v199 op_sel_hi:[1,0,1]
	v_pk_fma_f16 v58, v58, v5, v200 op_sel:[0,1,0]
	v_pk_fma_f16 v191, v59, v4, v201 op_sel_hi:[1,0,1]
	v_pk_fma_f16 v192, v59, v4, v202 op_sel:[0,1,0]
	v_pk_fma_f16 v193, v59, v5, v203 op_sel_hi:[1,0,1]
	v_pk_fma_f16 v59, v59, v5, v204 op_sel:[0,1,0]
	v_pk_fma_f16 v194, v60, v4, v205 op_sel_hi:[1,0,1]
	v_pk_fma_f16 v195, v60, v4, v206 op_sel:[0,1,0]
	v_pk_fma_f16 v196, v60, v5, v207 op_sel_hi:[1,0,1]
	v_pk_fma_f16 v60, v60, v5, v65 op_sel:[0,1,0]
	v_pk_fma_f16 v65, v61, v4, v208 op_sel_hi:[1,0,1]
	v_pk_fma_f16 v8, v61, v4, v8 op_sel:[0,1,0]
	v_pk_fma_f16 v9, v61, v5, v9 op_sel_hi:[1,0,1]
	v_pk_fma_f16 v61, v61, v5, v66 op_sel:[0,1,0]
	v_pk_fma_f16 v66, v62, v4, v178 op_sel_hi:[1,0,1]
	v_pk_fma_f16 v178, v62, v4, v179 op_sel:[0,1,0]
	v_pk_fma_f16 v179, v62, v5, v180 op_sel_hi:[1,0,1]
	v_pk_fma_f16 v62, v62, v5, v67 op_sel:[0,1,0]
	v_pk_fma_f16 v67, v63, v4, v181 op_sel_hi:[1,0,1]
	v_pk_fma_f16 v4, v63, v4, v10 op_sel:[0,1,0]
	v_pk_fma_f16 v10, v63, v5, v182 op_sel_hi:[1,0,1]
	v_pk_fma_f16 v5, v63, v5, v11 op_sel:[0,1,0]
	v_pk_fma_f16 v11, v69, v6, v68 op_sel_hi:[1,0,1]
	v_pk_fma_f16 v63, v69, v6, v183 op_sel:[0,1,0]
	v_pk_fma_f16 v68, v69, v7, v184 op_sel_hi:[1,0,1]
	v_pk_fma_f16 v56, v69, v7, v56 op_sel:[0,1,0]
	v_pk_fma_f16 v69, v70, v6, v185 op_sel_hi:[1,0,1]
	v_pk_fma_f16 v57, v70, v7, v57 op_sel:[0,1,0]
	v_pk_fma_f16 v58, v71, v7, v58 op_sel:[0,1,0]
	;; [unrolled: 1-line block ×4, first 2 shown]
	v_pk_fma_f16 v181, v70, v7, v187 op_sel_hi:[1,0,1]
	v_pk_fma_f16 v70, v71, v6, v188 op_sel_hi:[1,0,1]
	v_pk_fma_f16 v182, v71, v6, v189 op_sel:[0,1,0]
	v_pk_fma_f16 v183, v71, v7, v190 op_sel_hi:[1,0,1]
	v_pk_fma_f16 v71, v72, v6, v191 op_sel_hi:[1,0,1]
	v_pk_fma_f16 v184, v72, v6, v192 op_sel:[0,1,0]
	;; [unrolled: 3-line block ×3, first 2 shown]
	v_pk_fma_f16 v187, v73, v7, v196 op_sel_hi:[1,0,1]
	v_pk_fma_f16 v60, v73, v7, v60 op_sel:[0,1,0]
	v_pk_fma_f16 v65, v74, v6, v65 op_sel_hi:[1,0,1]
	v_pk_fma_f16 v8, v74, v6, v8 op_sel:[0,1,0]
	v_pk_fma_f16 v61, v74, v7, v61 op_sel:[0,1,0]
	v_pk_fma_f16 v66, v75, v6, v66 op_sel_hi:[1,0,1]
	v_pk_fma_f16 v73, v75, v6, v178 op_sel:[0,1,0]
	v_pk_fma_f16 v62, v75, v7, v62 op_sel:[0,1,0]
	v_pk_fma_f16 v67, v76, v6, v67 op_sel_hi:[1,0,1]
	v_pk_fma_f16 v4, v76, v6, v4 op_sel:[0,1,0]
	v_pk_fma_f16 v6, v76, v7, v10 op_sel_hi:[1,0,1]
	v_pk_fma_f16 v10, v77, v106, v63 op_sel:[0,1,0]
	v_pk_fma_f16 v56, v77, v107, v56 op_sel:[0,1,0]
	v_pk_fma_f16 v63, v78, v106, v69 op_sel_hi:[1,0,1]
	v_pk_fma_f16 v57, v78, v107, v57 op_sel:[0,1,0]
	v_pk_fma_f16 v58, v79, v107, v58 op_sel:[0,1,0]
	v_pk_fma_f16 v59, v80, v107, v59 op_sel:[0,1,0]
	v_pk_fma_f16 v60, v85, v107, v60 op_sel:[0,1,0]
	v_pk_fma_f16 v61, v86, v107, v61 op_sel:[0,1,0]
	v_pk_fma_f16 v62, v87, v107, v62 op_sel:[0,1,0]
	v_pk_fma_f16 v56, v89, v109, v56 op_sel:[0,1,0]
	v_pk_fma_f16 v63, v90, v108, v63 op_sel_hi:[1,0,1]
	v_pk_fma_f16 v57, v90, v109, v57 op_sel:[0,1,0]
	v_pk_fma_f16 v58, v91, v109, v58 op_sel:[0,1,0]
	;; [unrolled: 1-line block ×7, first 2 shown]
	v_pk_fma_f16 v63, v99, v110, v63 op_sel_hi:[1,0,1]
	v_pk_fma_f16 v57, v99, v111, v57 op_sel:[0,1,0]
	v_pk_fma_f16 v58, v100, v111, v58 op_sel:[0,1,0]
	;; [unrolled: 1-line block ×3, first 2 shown]
	v_pk_fma_f16 v9, v74, v7, v9 op_sel_hi:[1,0,1]
	v_pk_fma_f16 v5, v76, v7, v5 op_sel:[0,1,0]
	v_pk_fma_f16 v74, v75, v7, v179 op_sel_hi:[1,0,1]
	v_pk_fma_f16 v7, v77, v106, v11 op_sel_hi:[1,0,1]
	;; [unrolled: 1-line block ×3, first 2 shown]
	v_pk_fma_f16 v68, v78, v106, v180 op_sel:[0,1,0]
	v_pk_fma_f16 v69, v78, v107, v181 op_sel_hi:[1,0,1]
	v_pk_fma_f16 v70, v79, v106, v70 op_sel_hi:[1,0,1]
	v_pk_fma_f16 v75, v79, v106, v182 op_sel:[0,1,0]
	v_pk_fma_f16 v76, v79, v107, v183 op_sel_hi:[1,0,1]
	v_pk_fma_f16 v71, v80, v106, v71 op_sel_hi:[1,0,1]
	v_pk_fma_f16 v77, v80, v106, v184 op_sel:[0,1,0]
	v_pk_fma_f16 v78, v80, v107, v185 op_sel_hi:[1,0,1]
	v_pk_fma_f16 v60, v102, v111, v60 op_sel:[0,1,0]
	v_pk_fma_f16 v61, v103, v111, v61 op_sel:[0,1,0]
	;; [unrolled: 1-line block ×4, first 2 shown]
	v_pk_fma_f16 v63, v115, v112, v63 op_sel_hi:[1,0,1]
	v_pk_fma_f16 v57, v115, v113, v57 op_sel:[0,1,0]
	v_pk_fma_f16 v58, v116, v113, v58 op_sel:[0,1,0]
	;; [unrolled: 1-line block ×3, first 2 shown]
	v_pk_fma_f16 v72, v85, v106, v72 op_sel_hi:[1,0,1]
	v_pk_fma_f16 v65, v86, v106, v65 op_sel_hi:[1,0,1]
	v_pk_fma_f16 v8, v86, v106, v8 op_sel:[0,1,0]
	v_pk_fma_f16 v9, v86, v107, v9 op_sel_hi:[1,0,1]
	v_pk_fma_f16 v66, v87, v106, v66 op_sel_hi:[1,0,1]
	;; [unrolled: 1-line block ×3, first 2 shown]
	v_pk_fma_f16 v4, v88, v106, v4 op_sel:[0,1,0]
	v_pk_fma_f16 v6, v88, v107, v6 op_sel_hi:[1,0,1]
	v_pk_fma_f16 v5, v88, v107, v5 op_sel:[0,1,0]
	v_pk_fma_f16 v73, v87, v106, v73 op_sel:[0,1,0]
	v_pk_fma_f16 v74, v87, v107, v74 op_sel_hi:[1,0,1]
	v_pk_fma_f16 v7, v89, v108, v7 op_sel_hi:[1,0,1]
	v_pk_fma_f16 v10, v89, v108, v10 op_sel:[0,1,0]
	v_pk_fma_f16 v11, v89, v109, v11 op_sel_hi:[1,0,1]
	v_pk_fma_f16 v68, v90, v108, v68 op_sel:[0,1,0]
	v_pk_fma_f16 v69, v90, v109, v69 op_sel_hi:[1,0,1]
	v_pk_fma_f16 v70, v91, v108, v70 op_sel_hi:[1,0,1]
	v_pk_fma_f16 v75, v91, v108, v75 op_sel:[0,1,0]
	v_pk_fma_f16 v76, v91, v109, v76 op_sel_hi:[1,0,1]
	;; [unrolled: 3-line block ×3, first 2 shown]
	v_pk_fma_f16 v60, v118, v113, v60 op_sel:[0,1,0]
	v_pk_fma_f16 v61, v119, v113, v61 op_sel:[0,1,0]
	;; [unrolled: 1-line block ×4, first 2 shown]
	v_pk_fma_f16 v63, v123, v146, v63 op_sel_hi:[1,0,1]
	v_pk_fma_f16 v57, v123, v147, v57 op_sel:[0,1,0]
	v_pk_fma_f16 v58, v124, v147, v58 op_sel:[0,1,0]
	;; [unrolled: 1-line block ×3, first 2 shown]
	v_pk_fma_f16 v72, v94, v108, v72 op_sel_hi:[1,0,1]
	v_pk_fma_f16 v65, v95, v108, v65 op_sel_hi:[1,0,1]
	v_pk_fma_f16 v8, v95, v108, v8 op_sel:[0,1,0]
	v_pk_fma_f16 v9, v95, v109, v9 op_sel_hi:[1,0,1]
	v_pk_fma_f16 v66, v96, v108, v66 op_sel_hi:[1,0,1]
	;; [unrolled: 1-line block ×3, first 2 shown]
	v_pk_fma_f16 v4, v97, v108, v4 op_sel:[0,1,0]
	v_pk_fma_f16 v6, v97, v109, v6 op_sel_hi:[1,0,1]
	v_pk_fma_f16 v5, v97, v109, v5 op_sel:[0,1,0]
	v_pk_fma_f16 v73, v96, v108, v73 op_sel:[0,1,0]
	v_pk_fma_f16 v74, v96, v109, v74 op_sel_hi:[1,0,1]
	v_pk_fma_f16 v7, v98, v110, v7 op_sel_hi:[1,0,1]
	v_pk_fma_f16 v10, v98, v110, v10 op_sel:[0,1,0]
	v_pk_fma_f16 v11, v98, v111, v11 op_sel_hi:[1,0,1]
	v_pk_fma_f16 v68, v99, v110, v68 op_sel:[0,1,0]
	v_pk_fma_f16 v69, v99, v111, v69 op_sel_hi:[1,0,1]
	v_pk_fma_f16 v70, v100, v110, v70 op_sel_hi:[1,0,1]
	v_pk_fma_f16 v75, v100, v110, v75 op_sel:[0,1,0]
	v_pk_fma_f16 v76, v100, v111, v76 op_sel_hi:[1,0,1]
	;; [unrolled: 3-line block ×3, first 2 shown]
	v_pk_fma_f16 v60, v126, v147, v60 op_sel:[0,1,0]
	v_pk_fma_f16 v61, v127, v147, v61 op_sel:[0,1,0]
	;; [unrolled: 1-line block ×4, first 2 shown]
	v_pk_fma_f16 v63, v131, v148, v63 op_sel_hi:[1,0,1]
	v_pk_fma_f16 v57, v131, v149, v57 op_sel:[0,1,0]
	v_pk_fma_f16 v58, v132, v149, v58 op_sel:[0,1,0]
	;; [unrolled: 1-line block ×3, first 2 shown]
	v_pk_fma_f16 v72, v102, v110, v72 op_sel_hi:[1,0,1]
	v_pk_fma_f16 v65, v103, v110, v65 op_sel_hi:[1,0,1]
	v_pk_fma_f16 v8, v103, v110, v8 op_sel:[0,1,0]
	v_pk_fma_f16 v9, v103, v111, v9 op_sel_hi:[1,0,1]
	v_pk_fma_f16 v66, v104, v110, v66 op_sel_hi:[1,0,1]
	;; [unrolled: 1-line block ×3, first 2 shown]
	v_pk_fma_f16 v4, v105, v110, v4 op_sel:[0,1,0]
	v_pk_fma_f16 v6, v105, v111, v6 op_sel_hi:[1,0,1]
	v_pk_fma_f16 v5, v105, v111, v5 op_sel:[0,1,0]
	v_pk_fma_f16 v79, v85, v106, v186 op_sel:[0,1,0]
	v_pk_fma_f16 v80, v85, v107, v187 op_sel_hi:[1,0,1]
	v_pk_fma_f16 v73, v104, v110, v73 op_sel:[0,1,0]
	v_pk_fma_f16 v74, v104, v111, v74 op_sel_hi:[1,0,1]
	v_pk_fma_f16 v7, v114, v112, v7 op_sel_hi:[1,0,1]
	v_pk_fma_f16 v10, v114, v112, v10 op_sel:[0,1,0]
	v_pk_fma_f16 v11, v114, v113, v11 op_sel_hi:[1,0,1]
	v_pk_fma_f16 v68, v115, v112, v68 op_sel:[0,1,0]
	v_pk_fma_f16 v69, v115, v113, v69 op_sel_hi:[1,0,1]
	v_pk_fma_f16 v70, v116, v112, v70 op_sel_hi:[1,0,1]
	v_pk_fma_f16 v75, v116, v112, v75 op_sel:[0,1,0]
	v_pk_fma_f16 v76, v116, v113, v76 op_sel_hi:[1,0,1]
	;; [unrolled: 3-line block ×3, first 2 shown]
	v_pk_fma_f16 v60, v134, v149, v60 op_sel:[0,1,0]
	v_pk_fma_f16 v61, v135, v149, v61 op_sel:[0,1,0]
	;; [unrolled: 1-line block ×4, first 2 shown]
	v_pk_fma_f16 v63, v139, v150, v63 op_sel_hi:[1,0,1]
	v_pk_fma_f16 v57, v139, v151, v57 op_sel:[0,1,0]
	v_pk_fma_f16 v58, v140, v151, v58 op_sel:[0,1,0]
	;; [unrolled: 1-line block ×3, first 2 shown]
	v_pk_fma_f16 v72, v118, v112, v72 op_sel_hi:[1,0,1]
	v_pk_fma_f16 v65, v119, v112, v65 op_sel_hi:[1,0,1]
	v_pk_fma_f16 v8, v119, v112, v8 op_sel:[0,1,0]
	v_pk_fma_f16 v9, v119, v113, v9 op_sel_hi:[1,0,1]
	v_pk_fma_f16 v66, v120, v112, v66 op_sel_hi:[1,0,1]
	v_pk_fma_f16 v67, v121, v112, v67 op_sel_hi:[1,0,1]
	v_pk_fma_f16 v4, v121, v112, v4 op_sel:[0,1,0]
	v_pk_fma_f16 v6, v121, v113, v6 op_sel_hi:[1,0,1]
	v_pk_fma_f16 v5, v121, v113, v5 op_sel:[0,1,0]
	v_pk_fma_f16 v79, v94, v108, v79 op_sel:[0,1,0]
	v_pk_fma_f16 v80, v94, v109, v80 op_sel_hi:[1,0,1]
	v_pk_fma_f16 v73, v120, v112, v73 op_sel:[0,1,0]
	v_pk_fma_f16 v74, v120, v113, v74 op_sel_hi:[1,0,1]
	v_pk_fma_f16 v7, v122, v146, v7 op_sel_hi:[1,0,1]
	v_pk_fma_f16 v10, v122, v146, v10 op_sel:[0,1,0]
	v_pk_fma_f16 v11, v122, v147, v11 op_sel_hi:[1,0,1]
	v_pk_fma_f16 v68, v123, v146, v68 op_sel:[0,1,0]
	v_pk_fma_f16 v69, v123, v147, v69 op_sel_hi:[1,0,1]
	v_pk_fma_f16 v70, v124, v146, v70 op_sel_hi:[1,0,1]
	v_pk_fma_f16 v75, v124, v146, v75 op_sel:[0,1,0]
	v_pk_fma_f16 v76, v124, v147, v76 op_sel_hi:[1,0,1]
	;; [unrolled: 3-line block ×3, first 2 shown]
	v_pk_fma_f16 v85, v142, v151, v60 op_sel:[0,1,0]
	v_pk_fma_f16 v86, v143, v151, v61 op_sel:[0,1,0]
	;; [unrolled: 1-line block ×4, first 2 shown]
	v_pk_fma_f16 v92, v155, v152, v63 op_sel_hi:[1,0,1]
	v_pk_fma_f16 v96, v155, v153, v57 op_sel:[0,1,0]
	v_pk_fma_f16 v98, v156, v153, v58 op_sel:[0,1,0]
	v_pk_fma_f16 v100, v157, v153, v59 op_sel:[0,1,0]
	s_waitcnt vmcnt(3)
	ds_store_b128 v43, v[162:165]
	s_waitcnt vmcnt(2)
	ds_store_b128 v44, v[166:169]
	;; [unrolled: 2-line block ×4, first 2 shown]
	s_waitcnt lgkmcnt(0)
	s_barrier
	buffer_gl0_inv
	ds_load_2addr_b64 v[56:59], v64 offset1:32
	ds_load_b128 v[60:63], v41 offset:768
	v_pk_fma_f16 v72, v126, v146, v72 op_sel_hi:[1,0,1]
	v_pk_fma_f16 v65, v127, v146, v65 op_sel_hi:[1,0,1]
	v_pk_fma_f16 v8, v127, v146, v8 op_sel:[0,1,0]
	v_pk_fma_f16 v9, v127, v147, v9 op_sel_hi:[1,0,1]
	v_pk_fma_f16 v66, v128, v146, v66 op_sel_hi:[1,0,1]
	v_pk_fma_f16 v67, v129, v146, v67 op_sel_hi:[1,0,1]
	v_pk_fma_f16 v4, v129, v146, v4 op_sel:[0,1,0]
	v_pk_fma_f16 v6, v129, v147, v6 op_sel_hi:[1,0,1]
	v_pk_fma_f16 v5, v129, v147, v5 op_sel:[0,1,0]
	v_pk_fma_f16 v79, v102, v110, v79 op_sel:[0,1,0]
	v_pk_fma_f16 v80, v102, v111, v80 op_sel_hi:[1,0,1]
	v_pk_fma_f16 v73, v128, v146, v73 op_sel:[0,1,0]
	v_pk_fma_f16 v74, v128, v147, v74 op_sel_hi:[1,0,1]
	v_pk_fma_f16 v7, v130, v148, v7 op_sel_hi:[1,0,1]
	v_pk_fma_f16 v10, v130, v148, v10 op_sel:[0,1,0]
	v_pk_fma_f16 v11, v130, v149, v11 op_sel_hi:[1,0,1]
	v_pk_fma_f16 v68, v131, v148, v68 op_sel:[0,1,0]
	v_pk_fma_f16 v69, v131, v149, v69 op_sel_hi:[1,0,1]
	v_pk_fma_f16 v70, v132, v148, v70 op_sel_hi:[1,0,1]
	v_pk_fma_f16 v75, v132, v148, v75 op_sel:[0,1,0]
	v_pk_fma_f16 v76, v132, v149, v76 op_sel_hi:[1,0,1]
	v_pk_fma_f16 v71, v133, v148, v71 op_sel_hi:[1,0,1]
	v_pk_fma_f16 v77, v133, v148, v77 op_sel:[0,1,0]
	v_pk_fma_f16 v78, v133, v149, v78 op_sel_hi:[1,0,1]
	v_pk_fma_f16 v72, v134, v148, v72 op_sel_hi:[1,0,1]
	v_pk_fma_f16 v65, v135, v148, v65 op_sel_hi:[1,0,1]
	v_pk_fma_f16 v8, v135, v148, v8 op_sel:[0,1,0]
	v_pk_fma_f16 v9, v135, v149, v9 op_sel_hi:[1,0,1]
	v_pk_fma_f16 v66, v136, v148, v66 op_sel_hi:[1,0,1]
	v_pk_fma_f16 v67, v137, v148, v67 op_sel_hi:[1,0,1]
	v_pk_fma_f16 v4, v137, v148, v4 op_sel:[0,1,0]
	v_pk_fma_f16 v6, v137, v149, v6 op_sel_hi:[1,0,1]
	v_pk_fma_f16 v5, v137, v149, v5 op_sel:[0,1,0]
	v_pk_fma_f16 v79, v118, v112, v79 op_sel:[0,1,0]
	v_pk_fma_f16 v80, v118, v113, v80 op_sel_hi:[1,0,1]
	v_pk_fma_f16 v73, v136, v148, v73 op_sel:[0,1,0]
	v_pk_fma_f16 v74, v136, v149, v74 op_sel_hi:[1,0,1]
	v_pk_fma_f16 v7, v138, v150, v7 op_sel_hi:[1,0,1]
	v_pk_fma_f16 v10, v138, v150, v10 op_sel:[0,1,0]
	v_pk_fma_f16 v11, v138, v151, v11 op_sel_hi:[1,0,1]
	v_pk_fma_f16 v68, v139, v150, v68 op_sel:[0,1,0]
	v_pk_fma_f16 v69, v139, v151, v69 op_sel_hi:[1,0,1]
	v_pk_fma_f16 v70, v140, v150, v70 op_sel_hi:[1,0,1]
	v_pk_fma_f16 v75, v140, v150, v75 op_sel:[0,1,0]
	v_pk_fma_f16 v76, v140, v151, v76 op_sel_hi:[1,0,1]
	v_pk_fma_f16 v71, v141, v150, v71 op_sel_hi:[1,0,1]
	v_pk_fma_f16 v77, v141, v150, v77 op_sel:[0,1,0]
	v_pk_fma_f16 v78, v141, v151, v78 op_sel_hi:[1,0,1]
	;; [unrolled: 24-line block ×3, first 2 shown]
	v_pk_fma_f16 v101, v158, v152, v72 op_sel_hi:[1,0,1]
	v_pk_fma_f16 v102, v159, v152, v65 op_sel_hi:[1,0,1]
	v_pk_fma_f16 v103, v159, v152, v8 op_sel:[0,1,0]
	v_pk_fma_f16 v104, v159, v153, v9 op_sel_hi:[1,0,1]
	v_pk_fma_f16 v105, v160, v152, v66 op_sel_hi:[1,0,1]
	;; [unrolled: 1-line block ×3, first 2 shown]
	v_pk_fma_f16 v109, v161, v152, v4 op_sel:[0,1,0]
	v_pk_fma_f16 v110, v161, v153, v6 op_sel_hi:[1,0,1]
	v_pk_fma_f16 v111, v161, v153, v5 op_sel:[0,1,0]
	ds_load_2addr_b64 v[65:68], v64 offset0:64 offset1:96
	ds_load_b128 v[69:72], v41 offset:784
	ds_load_b128 v[8:11], v41 offset:800
	;; [unrolled: 1-line block ×3, first 2 shown]
	v_pk_fma_f16 v79, v134, v148, v79 op_sel:[0,1,0]
	v_pk_fma_f16 v80, v134, v149, v80 op_sel_hi:[1,0,1]
	v_pk_fma_f16 v106, v160, v152, v73 op_sel:[0,1,0]
	v_pk_fma_f16 v107, v160, v153, v74 op_sel_hi:[1,0,1]
	s_waitcnt lgkmcnt(4)
	v_pk_fma_f16 v88, v56, v60, v88 op_sel_hi:[1,0,1]
	v_pk_fma_f16 v89, v56, v60, v89 op_sel:[0,1,0]
	v_pk_fma_f16 v90, v56, v61, v90 op_sel_hi:[1,0,1]
	v_pk_fma_f16 v91, v56, v61, v91 op_sel:[0,1,0]
	;; [unrolled: 2-line block ×7, first 2 shown]
	ds_load_2addr_b64 v[73:76], v64 offset0:128 offset1:160
	v_pk_fma_f16 v78, v59, v61, v78 op_sel_hi:[1,0,1]
	v_pk_fma_f16 v100, v59, v61, v100 op_sel:[0,1,0]
	ds_load_2addr_b64 v[56:59], v64 offset0:192 offset1:224
	v_pk_fma_f16 v79, v142, v150, v79 op_sel:[0,1,0]
	v_pk_fma_f16 v80, v142, v151, v80 op_sel_hi:[1,0,1]
	v_pk_fma_f16 v85, v158, v153, v85 op_sel:[0,1,0]
	v_pk_fma_f16 v86, v159, v153, v86 op_sel:[0,1,0]
	;; [unrolled: 1-line block ×4, first 2 shown]
	v_pk_fma_f16 v80, v158, v153, v80 op_sel_hi:[1,0,1]
	s_waitcnt lgkmcnt(5)
	v_pk_fma_f16 v101, v65, v60, v101 op_sel_hi:[1,0,1]
	v_pk_fma_f16 v85, v65, v61, v85 op_sel:[0,1,0]
	v_pk_fma_f16 v102, v66, v60, v102 op_sel_hi:[1,0,1]
	v_pk_fma_f16 v79, v65, v60, v79 op_sel:[0,1,0]
	;; [unrolled: 2-line block ×8, first 2 shown]
	ds_load_2addr_b64 v[65:68], v53 offset1:32
	s_waitcnt lgkmcnt(2)
	v_pk_fma_f16 v88, v73, v62, v88 op_sel_hi:[1,0,1]
	v_pk_fma_f16 v89, v73, v62, v89 op_sel:[0,1,0]
	v_pk_fma_f16 v90, v73, v63, v90 op_sel_hi:[1,0,1]
	v_pk_fma_f16 v91, v73, v63, v91 op_sel:[0,1,0]
	;; [unrolled: 2-line block ×8, first 2 shown]
	s_waitcnt lgkmcnt(1)
	v_pk_fma_f16 v101, v56, v62, v101 op_sel_hi:[1,0,1]
	v_pk_fma_f16 v79, v56, v62, v79 op_sel:[0,1,0]
	v_pk_fma_f16 v80, v56, v63, v80 op_sel_hi:[1,0,1]
	v_pk_fma_f16 v85, v56, v63, v85 op_sel:[0,1,0]
	;; [unrolled: 2-line block ×7, first 2 shown]
	ds_load_2addr_b64 v[73:76], v53 offset0:64 offset1:96
	v_pk_fma_f16 v109, v59, v63, v109 op_sel_hi:[1,0,1]
	v_pk_fma_f16 v112, v59, v63, v61 op_sel:[0,1,0]
	ds_load_2addr_b64 v[56:59], v53 offset0:128 offset1:160
	s_waitcnt lgkmcnt(2)
	v_pk_fma_f16 v88, v65, v69, v88 op_sel_hi:[1,0,1]
	v_pk_fma_f16 v89, v65, v69, v89 op_sel:[0,1,0]
	v_pk_fma_f16 v90, v65, v70, v90 op_sel_hi:[1,0,1]
	v_pk_fma_f16 v65, v65, v70, v91 op_sel:[0,1,0]
	;; [unrolled: 2-line block ×8, first 2 shown]
	s_waitcnt lgkmcnt(1)
	v_pk_fma_f16 v100, v73, v69, v101 op_sel_hi:[1,0,1]
	v_pk_fma_f16 v79, v73, v69, v79 op_sel:[0,1,0]
	v_pk_fma_f16 v80, v73, v70, v80 op_sel_hi:[1,0,1]
	v_pk_fma_f16 v73, v73, v70, v85 op_sel:[0,1,0]
	;; [unrolled: 2-line block ×7, first 2 shown]
	ds_load_2addr_b64 v[60:63], v53 offset0:192 offset1:224
	v_pk_fma_f16 v105, v76, v70, v109 op_sel_hi:[1,0,1]
	v_pk_fma_f16 v70, v76, v70, v112 op_sel:[0,1,0]
	s_waitcnt lgkmcnt(1)
	v_pk_fma_f16 v76, v56, v71, v88 op_sel_hi:[1,0,1]
	v_pk_fma_f16 v88, v56, v71, v89 op_sel:[0,1,0]
	v_pk_fma_f16 v89, v56, v72, v90 op_sel_hi:[1,0,1]
	v_pk_fma_f16 v90, v56, v72, v65 op_sel:[0,1,0]
	v_pk_fma_f16 v106, v57, v72, v66 op_sel:[0,1,0]
	;; [unrolled: 1-line block ×3, first 2 shown]
	ds_load_2addr_b64 v[65:68], v54 offset1:32
	v_pk_fma_f16 v91, v57, v71, v91 op_sel_hi:[1,0,1]
	v_pk_fma_f16 v92, v57, v71, v92 op_sel:[0,1,0]
	v_pk_fma_f16 v94, v57, v72, v94 op_sel_hi:[1,0,1]
	v_pk_fma_f16 v95, v58, v71, v95 op_sel_hi:[1,0,1]
	v_pk_fma_f16 v96, v58, v71, v96 op_sel:[0,1,0]
	v_pk_fma_f16 v97, v58, v72, v97 op_sel_hi:[1,0,1]
	;; [unrolled: 3-line block ×3, first 2 shown]
	v_pk_fma_f16 v99, v59, v72, v99 op_sel:[0,1,0]
	ds_load_2addr_b64 v[56:59], v54 offset0:64 offset1:96
	s_or_b32 s4, s13, 0x70
	s_waitcnt lgkmcnt(2)
	v_pk_fma_f16 v100, v60, v71, v100 op_sel_hi:[1,0,1]
	v_pk_fma_f16 v79, v60, v71, v79 op_sel:[0,1,0]
	v_pk_fma_f16 v80, v60, v72, v80 op_sel_hi:[1,0,1]
	v_pk_fma_f16 v73, v60, v72, v73 op_sel:[0,1,0]
	;; [unrolled: 2-line block ×8, first 2 shown]
	s_waitcnt lgkmcnt(1)
	v_pk_fma_f16 v72, v65, v8, v76 op_sel_hi:[1,0,1]
	v_pk_fma_f16 v76, v65, v8, v88 op_sel:[0,1,0]
	v_pk_fma_f16 v88, v65, v9, v89 op_sel_hi:[1,0,1]
	v_pk_fma_f16 v89, v65, v9, v90 op_sel:[0,1,0]
	;; [unrolled: 2-line block ×7, first 2 shown]
	ds_load_2addr_b64 v[60:63], v54 offset0:128 offset1:160
	v_pk_fma_f16 v78, v68, v9, v78 op_sel_hi:[1,0,1]
	v_pk_fma_f16 v99, v68, v9, v99 op_sel:[0,1,0]
	ds_load_2addr_b64 v[65:68], v54 offset0:192 offset1:224
	s_mul_hi_i32 s21, s4, s10
	s_mul_i32 s20, s4, s10
	s_waitcnt lgkmcnt(2)
	v_pk_fma_f16 v100, v56, v8, v100 op_sel_hi:[1,0,1]
	s_lshl_b64 s[20:21], s[20:21], 2
	v_pk_fma_f16 v79, v56, v8, v79 op_sel:[0,1,0]
	s_add_u32 s4, s11, s20
	v_pk_fma_f16 v80, v56, v9, v80 op_sel_hi:[1,0,1]
	v_pk_fma_f16 v56, v56, v9, v73 op_sel:[0,1,0]
	v_pk_fma_f16 v73, v57, v8, v85 op_sel_hi:[1,0,1]
	v_pk_fma_f16 v178, v57, v8, v101 op_sel:[0,1,0]
	;; [unrolled: 2-line block ×4, first 2 shown]
	s_addc_u32 s19, s16, s21
	v_add_co_u32 v8, vcc_lo, s4, v27
	v_pk_fma_f16 v179, v57, v9, v102 op_sel_hi:[1,0,1]
	v_pk_fma_f16 v180, v57, v9, v74 op_sel:[0,1,0]
	v_pk_fma_f16 v183, v58, v9, v104 op_sel_hi:[1,0,1]
	v_pk_fma_f16 v184, v58, v9, v75 op_sel:[0,1,0]
	;; [unrolled: 2-line block ×3, first 2 shown]
	v_add_co_ci_u32_e32 v9, vcc_lo, s19, v28, vcc_lo
	v_add_co_u32 v162, vcc_lo, s4, v29
	v_add_co_ci_u32_e32 v163, vcc_lo, s19, v30, vcc_lo
	v_add_co_u32 v8, vcc_lo, v8, v93
	s_delay_alu instid0(VALU_DEP_4) | instskip(NEXT) | instid1(VALU_DEP_4)
	v_add_co_ci_u32_e32 v9, vcc_lo, 0, v9, vcc_lo
	v_add_co_u32 v174, vcc_lo, v162, v93
	s_delay_alu instid0(VALU_DEP_4)
	v_add_co_ci_u32_e32 v175, vcc_lo, 0, v163, vcc_lo
	s_waitcnt lgkmcnt(1)
	v_pk_fma_f16 v189, v60, v10, v72 op_sel_hi:[1,0,1]
	v_pk_fma_f16 v190, v60, v10, v76 op_sel:[0,1,0]
	v_pk_fma_f16 v191, v60, v11, v88 op_sel_hi:[1,0,1]
	v_pk_fma_f16 v192, v60, v11, v89 op_sel:[0,1,0]
	;; [unrolled: 2-line block ×8, first 2 shown]
	s_waitcnt lgkmcnt(0)
	v_pk_fma_f16 v205, v65, v10, v100 op_sel_hi:[1,0,1]
	v_pk_fma_f16 v206, v65, v10, v79 op_sel:[0,1,0]
	v_pk_fma_f16 v207, v65, v11, v80 op_sel_hi:[1,0,1]
	v_pk_fma_f16 v65, v65, v11, v56 op_sel:[0,1,0]
	v_pk_fma_f16 v208, v66, v10, v73 op_sel_hi:[1,0,1]
	ds_load_2addr_b64 v[56:59], v55 offset1:32
	ds_load_2addr_b64 v[60:63], v55 offset0:64 offset1:96
	ds_load_2addr_b64 v[69:72], v55 offset0:128 offset1:160
	;; [unrolled: 1-line block ×3, first 2 shown]
	ds_load_2addr_b64 v[77:80], v52 offset1:32
	ds_load_2addr_b64 v[85:88], v52 offset0:64 offset1:96
	ds_load_2addr_b64 v[89:92], v52 offset0:128 offset1:160
	ds_load_2addr_b64 v[94:97], v52 offset0:192 offset1:224
	ds_load_2addr_b64 v[98:101], v51 offset1:32
	ds_load_2addr_b64 v[102:105], v51 offset0:64 offset1:96
	ds_load_b128 v[106:109], v41 offset:832
	ds_load_b128 v[110:113], v41 offset:848
	ds_load_2addr_b64 v[114:117], v51 offset0:128 offset1:160
	ds_load_2addr_b64 v[118:121], v51 offset0:192 offset1:224
	ds_load_2addr_b64 v[122:125], v50 offset1:32
	ds_load_2addr_b64 v[126:129], v50 offset0:64 offset1:96
	ds_load_2addr_b64 v[130:133], v50 offset0:128 offset1:160
	ds_load_2addr_b64 v[134:137], v50 offset0:192 offset1:224
	ds_load_2addr_b64 v[138:141], v49 offset1:32
	ds_load_2addr_b64 v[142:145], v49 offset0:64 offset1:96
	ds_load_b128 v[146:149], v41 offset:864
	ds_load_b128 v[150:153], v41 offset:880
	ds_load_2addr_b64 v[154:157], v49 offset0:128 offset1:160
	ds_load_2addr_b64 v[158:161], v49 offset0:192 offset1:224
	s_waitcnt lgkmcnt(0)
	s_barrier
	buffer_gl0_inv
	s_clause 0x3
	global_load_b128 v[162:165], v[8:9], off
	global_load_b128 v[166:169], v[8:9], off offset:512
	global_load_b128 v[170:173], v[174:175], off
	global_load_b128 v[174:177], v[174:175], off offset:512
	v_pk_fma_f16 v8, v66, v10, v178 op_sel:[0,1,0]
	v_pk_fma_f16 v9, v66, v11, v179 op_sel_hi:[1,0,1]
	v_pk_fma_f16 v66, v66, v11, v180 op_sel:[0,1,0]
	v_pk_fma_f16 v93, v67, v10, v181 op_sel_hi:[1,0,1]
	;; [unrolled: 2-line block ×53, first 2 shown]
	v_pk_fma_f16 v59, v80, v107, v59 op_sel:[0,1,0]
	v_pk_fma_f16 v8, v103, v110, v8 op_sel:[0,1,0]
	v_pk_fma_f16 v9, v103, v111, v9 op_sel_hi:[1,0,1]
	v_pk_fma_f16 v4, v105, v110, v4 op_sel:[0,1,0]
	v_pk_fma_f16 v6, v105, v111, v6 op_sel_hi:[1,0,1]
	v_pk_fma_f16 v5, v105, v111, v5 op_sel:[0,1,0]
	v_pk_fma_f16 v7, v114, v112, v7 op_sel_hi:[1,0,1]
	v_pk_fma_f16 v10, v114, v112, v10 op_sel:[0,1,0]
	v_pk_fma_f16 v11, v114, v113, v11 op_sel_hi:[1,0,1]
	v_pk_fma_f16 v72, v85, v106, v72 op_sel_hi:[1,0,1]
	v_pk_fma_f16 v60, v85, v107, v60 op_sel:[0,1,0]
	v_pk_fma_f16 v65, v86, v106, v65 op_sel_hi:[1,0,1]
	v_pk_fma_f16 v61, v86, v107, v61 op_sel:[0,1,0]
	v_pk_fma_f16 v66, v87, v106, v66 op_sel_hi:[1,0,1]
	v_pk_fma_f16 v62, v87, v107, v62 op_sel:[0,1,0]
	v_pk_fma_f16 v67, v88, v106, v67 op_sel_hi:[1,0,1]
	v_pk_fma_f16 v73, v87, v106, v73 op_sel:[0,1,0]
	v_pk_fma_f16 v74, v87, v107, v74 op_sel_hi:[1,0,1]
	v_pk_fma_f16 v56, v89, v109, v56 op_sel:[0,1,0]
	v_pk_fma_f16 v63, v90, v108, v63 op_sel_hi:[1,0,1]
	v_pk_fma_f16 v68, v90, v108, v68 op_sel:[0,1,0]
	v_pk_fma_f16 v69, v90, v109, v69 op_sel_hi:[1,0,1]
	v_pk_fma_f16 v57, v90, v109, v57 op_sel:[0,1,0]
	v_pk_fma_f16 v70, v91, v108, v70 op_sel_hi:[1,0,1]
	v_pk_fma_f16 v75, v91, v108, v75 op_sel:[0,1,0]
	v_pk_fma_f16 v76, v91, v109, v76 op_sel_hi:[1,0,1]
	v_pk_fma_f16 v58, v91, v109, v58 op_sel:[0,1,0]
	v_pk_fma_f16 v71, v92, v108, v71 op_sel_hi:[1,0,1]
	v_pk_fma_f16 v77, v92, v108, v77 op_sel:[0,1,0]
	v_pk_fma_f16 v78, v92, v109, v78 op_sel_hi:[1,0,1]
	v_pk_fma_f16 v59, v92, v109, v59 op_sel:[0,1,0]
	v_pk_fma_f16 v8, v119, v112, v8 op_sel:[0,1,0]
	v_pk_fma_f16 v9, v119, v113, v9 op_sel_hi:[1,0,1]
	v_pk_fma_f16 v4, v121, v112, v4 op_sel:[0,1,0]
	v_pk_fma_f16 v6, v121, v113, v6 op_sel_hi:[1,0,1]
	v_pk_fma_f16 v5, v121, v113, v5 op_sel:[0,1,0]
	v_pk_fma_f16 v7, v122, v146, v7 op_sel_hi:[1,0,1]
	v_pk_fma_f16 v10, v122, v146, v10 op_sel:[0,1,0]
	v_pk_fma_f16 v11, v122, v147, v11 op_sel_hi:[1,0,1]
	v_pk_fma_f16 v72, v94, v108, v72 op_sel_hi:[1,0,1]
	v_pk_fma_f16 v60, v94, v109, v60 op_sel:[0,1,0]
	v_pk_fma_f16 v65, v95, v108, v65 op_sel_hi:[1,0,1]
	v_pk_fma_f16 v61, v95, v109, v61 op_sel:[0,1,0]
	v_pk_fma_f16 v66, v96, v108, v66 op_sel_hi:[1,0,1]
	v_pk_fma_f16 v62, v96, v109, v62 op_sel:[0,1,0]
	v_pk_fma_f16 v67, v97, v108, v67 op_sel_hi:[1,0,1]
	v_pk_fma_f16 v73, v96, v108, v73 op_sel:[0,1,0]
	v_pk_fma_f16 v74, v96, v109, v74 op_sel_hi:[1,0,1]
	v_pk_fma_f16 v56, v98, v111, v56 op_sel:[0,1,0]
	v_pk_fma_f16 v63, v99, v110, v63 op_sel_hi:[1,0,1]
	v_pk_fma_f16 v68, v99, v110, v68 op_sel:[0,1,0]
	v_pk_fma_f16 v69, v99, v111, v69 op_sel_hi:[1,0,1]
	v_pk_fma_f16 v57, v99, v111, v57 op_sel:[0,1,0]
	v_pk_fma_f16 v70, v100, v110, v70 op_sel_hi:[1,0,1]
	v_pk_fma_f16 v75, v100, v110, v75 op_sel:[0,1,0]
	v_pk_fma_f16 v76, v100, v111, v76 op_sel_hi:[1,0,1]
	v_pk_fma_f16 v58, v100, v111, v58 op_sel:[0,1,0]
	v_pk_fma_f16 v71, v101, v110, v71 op_sel_hi:[1,0,1]
	v_pk_fma_f16 v77, v101, v110, v77 op_sel:[0,1,0]
	v_pk_fma_f16 v78, v101, v111, v78 op_sel_hi:[1,0,1]
	;; [unrolled: 30-line block ×3, first 2 shown]
	v_pk_fma_f16 v77, v117, v112, v77 op_sel:[0,1,0]
	v_pk_fma_f16 v78, v117, v113, v78 op_sel_hi:[1,0,1]
	v_pk_fma_f16 v59, v117, v113, v59 op_sel:[0,1,0]
	v_pk_fma_f16 v8, v135, v148, v8 op_sel:[0,1,0]
	v_pk_fma_f16 v9, v135, v149, v9 op_sel_hi:[1,0,1]
	v_pk_fma_f16 v4, v137, v148, v4 op_sel:[0,1,0]
	v_pk_fma_f16 v6, v137, v149, v6 op_sel_hi:[1,0,1]
	;; [unrolled: 2-line block ×4, first 2 shown]
	v_pk_fma_f16 v72, v118, v112, v72 op_sel_hi:[1,0,1]
	v_pk_fma_f16 v60, v118, v113, v60 op_sel:[0,1,0]
	v_pk_fma_f16 v65, v119, v112, v65 op_sel_hi:[1,0,1]
	v_pk_fma_f16 v61, v119, v113, v61 op_sel:[0,1,0]
	;; [unrolled: 2-line block ×12, first 2 shown]
	v_pk_fma_f16 v85, v143, v150, v8 op_sel:[0,1,0]
	v_pk_fma_f16 v86, v143, v151, v9 op_sel_hi:[1,0,1]
	v_pk_fma_f16 v87, v145, v150, v4 op_sel:[0,1,0]
	v_pk_fma_f16 v88, v145, v151, v6 op_sel_hi:[1,0,1]
	;; [unrolled: 2-line block ×4, first 2 shown]
	s_waitcnt vmcnt(3)
	ds_store_b128 v43, v[162:165]
	s_waitcnt vmcnt(2)
	ds_store_b128 v44, v[166:169]
	;; [unrolled: 2-line block ×4, first 2 shown]
	s_waitcnt lgkmcnt(0)
	s_barrier
	buffer_gl0_inv
	ds_load_2addr_b64 v[4:7], v64 offset1:32
	ds_load_b128 v[8:11], v41 offset:896
	v_pk_fma_f16 v72, v126, v146, v72 op_sel_hi:[1,0,1]
	v_pk_fma_f16 v60, v126, v147, v60 op_sel:[0,1,0]
	v_pk_fma_f16 v65, v127, v146, v65 op_sel_hi:[1,0,1]
	v_pk_fma_f16 v61, v127, v147, v61 op_sel:[0,1,0]
	;; [unrolled: 2-line block ×39, first 2 shown]
	v_pk_fma_f16 v110, v161, v152, v67 op_sel_hi:[1,0,1]
	ds_load_2addr_b64 v[56:59], v64 offset0:64 offset1:96
	ds_load_b128 v[60:63], v41 offset:912
	ds_load_b128 v[65:68], v41 offset:928
	;; [unrolled: 1-line block ×3, first 2 shown]
	v_pk_fma_f16 v79, v134, v148, v79 op_sel:[0,1,0]
	v_pk_fma_f16 v80, v134, v149, v80 op_sel_hi:[1,0,1]
	v_pk_fma_f16 v107, v160, v152, v73 op_sel:[0,1,0]
	v_pk_fma_f16 v108, v160, v153, v74 op_sel_hi:[1,0,1]
	s_waitcnt lgkmcnt(4)
	v_pk_fma_f16 v90, v4, v8, v90 op_sel_hi:[1,0,1]
	v_pk_fma_f16 v91, v4, v8, v91 op_sel:[0,1,0]
	v_pk_fma_f16 v92, v4, v9, v92 op_sel_hi:[1,0,1]
	v_pk_fma_f16 v93, v4, v9, v93 op_sel:[0,1,0]
	;; [unrolled: 2-line block ×7, first 2 shown]
	ds_load_2addr_b64 v[73:76], v64 offset0:128 offset1:160
	v_pk_fma_f16 v78, v7, v9, v78 op_sel_hi:[1,0,1]
	v_pk_fma_f16 v101, v7, v9, v101 op_sel:[0,1,0]
	ds_load_2addr_b64 v[4:7], v64 offset0:192 offset1:224
	v_pk_fma_f16 v79, v142, v150, v79 op_sel:[0,1,0]
	v_pk_fma_f16 v80, v142, v151, v80 op_sel_hi:[1,0,1]
	v_pk_fma_f16 v85, v159, v152, v85 op_sel:[0,1,0]
	v_pk_fma_f16 v86, v159, v153, v86 op_sel_hi:[1,0,1]
	v_pk_fma_f16 v87, v161, v152, v87 op_sel:[0,1,0]
	v_pk_fma_f16 v79, v158, v152, v79 op_sel:[0,1,0]
	v_pk_fma_f16 v80, v158, v153, v80 op_sel_hi:[1,0,1]
	v_pk_fma_f16 v88, v161, v153, v88 op_sel_hi:[1,0,1]
	v_pk_fma_f16 v89, v161, v153, v89 op_sel:[0,1,0]
	s_waitcnt lgkmcnt(5)
	v_pk_fma_f16 v102, v56, v8, v102 op_sel_hi:[1,0,1]
	v_pk_fma_f16 v79, v56, v8, v79 op_sel:[0,1,0]
	v_pk_fma_f16 v80, v56, v9, v80 op_sel_hi:[1,0,1]
	v_pk_fma_f16 v103, v56, v9, v103 op_sel:[0,1,0]
	;; [unrolled: 2-line block ×8, first 2 shown]
	ds_load_2addr_b64 v[56:59], v53 offset1:32
	s_waitcnt lgkmcnt(2)
	v_pk_fma_f16 v87, v73, v10, v90 op_sel_hi:[1,0,1]
	v_pk_fma_f16 v88, v73, v10, v91 op_sel:[0,1,0]
	v_pk_fma_f16 v89, v73, v11, v92 op_sel_hi:[1,0,1]
	v_pk_fma_f16 v90, v73, v11, v93 op_sel:[0,1,0]
	v_pk_fma_f16 v91, v74, v10, v94 op_sel_hi:[1,0,1]
	v_pk_fma_f16 v92, v74, v10, v95 op_sel:[0,1,0]
	v_pk_fma_f16 v93, v74, v11, v96 op_sel_hi:[1,0,1]
	v_pk_fma_f16 v94, v74, v11, v97 op_sel:[0,1,0]
	v_pk_fma_f16 v95, v75, v10, v98 op_sel_hi:[1,0,1]
	v_pk_fma_f16 v96, v75, v10, v111 op_sel:[0,1,0]
	v_pk_fma_f16 v97, v75, v11, v112 op_sel_hi:[1,0,1]
	v_pk_fma_f16 v98, v75, v11, v99 op_sel:[0,1,0]
	v_pk_fma_f16 v99, v76, v10, v100 op_sel_hi:[1,0,1]
	v_pk_fma_f16 v77, v76, v10, v77 op_sel:[0,1,0]
	v_pk_fma_f16 v78, v76, v11, v78 op_sel_hi:[1,0,1]
	v_pk_fma_f16 v100, v76, v11, v101 op_sel:[0,1,0]
	s_waitcnt lgkmcnt(1)
	v_pk_fma_f16 v101, v4, v10, v102 op_sel_hi:[1,0,1]
	v_pk_fma_f16 v79, v4, v10, v79 op_sel:[0,1,0]
	v_pk_fma_f16 v80, v4, v11, v80 op_sel_hi:[1,0,1]
	v_pk_fma_f16 v102, v4, v11, v103 op_sel:[0,1,0]
	;; [unrolled: 2-line block ×7, first 2 shown]
	ds_load_2addr_b64 v[73:76], v53 offset0:64 offset1:96
	v_pk_fma_f16 v64, v7, v11, v64 op_sel_hi:[1,0,1]
	v_pk_fma_f16 v110, v7, v11, v9 op_sel:[0,1,0]
	ds_load_2addr_b64 v[4:7], v53 offset0:128 offset1:160
	s_waitcnt lgkmcnt(2)
	v_pk_fma_f16 v87, v56, v60, v87 op_sel_hi:[1,0,1]
	v_pk_fma_f16 v88, v56, v60, v88 op_sel:[0,1,0]
	v_pk_fma_f16 v89, v56, v61, v89 op_sel_hi:[1,0,1]
	v_pk_fma_f16 v56, v56, v61, v90 op_sel:[0,1,0]
	;; [unrolled: 2-line block ×8, first 2 shown]
	s_waitcnt lgkmcnt(1)
	v_pk_fma_f16 v98, v73, v60, v101 op_sel_hi:[1,0,1]
	v_pk_fma_f16 v79, v73, v60, v79 op_sel:[0,1,0]
	v_pk_fma_f16 v80, v73, v61, v80 op_sel_hi:[1,0,1]
	v_pk_fma_f16 v73, v73, v61, v102 op_sel:[0,1,0]
	;; [unrolled: 2-line block ×7, first 2 shown]
	ds_load_2addr_b64 v[8:11], v53 offset0:192 offset1:224
	v_pk_fma_f16 v53, v76, v61, v64 op_sel_hi:[1,0,1]
	v_pk_fma_f16 v61, v76, v61, v110 op_sel:[0,1,0]
	s_waitcnt lgkmcnt(1)
	v_pk_fma_f16 v64, v4, v62, v87 op_sel_hi:[1,0,1]
	v_pk_fma_f16 v76, v4, v62, v88 op_sel:[0,1,0]
	v_pk_fma_f16 v87, v4, v63, v89 op_sel_hi:[1,0,1]
	v_pk_fma_f16 v88, v4, v63, v56 op_sel:[0,1,0]
	;; [unrolled: 2-line block ×4, first 2 shown]
	v_pk_fma_f16 v104, v6, v63, v58 op_sel:[0,1,0]
	ds_load_2addr_b64 v[56:59], v54 offset1:32
	v_pk_fma_f16 v93, v6, v62, v93 op_sel_hi:[1,0,1]
	v_pk_fma_f16 v94, v6, v62, v94 op_sel:[0,1,0]
	v_pk_fma_f16 v95, v6, v63, v95 op_sel_hi:[1,0,1]
	v_pk_fma_f16 v96, v7, v62, v96 op_sel_hi:[1,0,1]
	v_pk_fma_f16 v77, v7, v62, v77 op_sel:[0,1,0]
	v_pk_fma_f16 v78, v7, v63, v78 op_sel_hi:[1,0,1]
	v_pk_fma_f16 v97, v7, v63, v97 op_sel:[0,1,0]
	ds_load_2addr_b64 v[4:7], v54 offset0:64 offset1:96
	s_waitcnt lgkmcnt(2)
	v_pk_fma_f16 v98, v8, v62, v98 op_sel_hi:[1,0,1]
	v_pk_fma_f16 v79, v8, v62, v79 op_sel:[0,1,0]
	v_pk_fma_f16 v80, v8, v63, v80 op_sel_hi:[1,0,1]
	v_pk_fma_f16 v73, v8, v63, v73 op_sel:[0,1,0]
	;; [unrolled: 2-line block ×8, first 2 shown]
	s_waitcnt lgkmcnt(1)
	v_pk_fma_f16 v62, v56, v65, v64 op_sel_hi:[1,0,1]
	v_pk_fma_f16 v63, v56, v65, v76 op_sel:[0,1,0]
	v_pk_fma_f16 v64, v56, v66, v87 op_sel_hi:[1,0,1]
	v_pk_fma_f16 v76, v56, v66, v88 op_sel:[0,1,0]
	;; [unrolled: 2-line block ×7, first 2 shown]
	ds_load_2addr_b64 v[8:11], v54 offset0:128 offset1:160
	v_pk_fma_f16 v78, v59, v66, v78 op_sel_hi:[1,0,1]
	v_pk_fma_f16 v96, v59, v66, v97 op_sel:[0,1,0]
	ds_load_2addr_b64 v[56:59], v54 offset0:192 offset1:224
	s_waitcnt lgkmcnt(2)
	v_pk_fma_f16 v97, v4, v65, v98 op_sel_hi:[1,0,1]
	v_pk_fma_f16 v79, v4, v65, v79 op_sel:[0,1,0]
	v_pk_fma_f16 v80, v4, v66, v80 op_sel_hi:[1,0,1]
	v_pk_fma_f16 v73, v4, v66, v73 op_sel:[0,1,0]
	;; [unrolled: 2-line block ×8, first 2 shown]
	ds_load_2addr_b64 v[4:7], v55 offset1:32
	s_waitcnt lgkmcnt(2)
	v_pk_fma_f16 v61, v8, v67, v62 op_sel_hi:[1,0,1]
	v_pk_fma_f16 v62, v8, v67, v63 op_sel:[0,1,0]
	v_pk_fma_f16 v63, v8, v68, v64 op_sel_hi:[1,0,1]
	v_pk_fma_f16 v64, v8, v68, v76 op_sel:[0,1,0]
	;; [unrolled: 2-line block ×8, first 2 shown]
	s_waitcnt lgkmcnt(1)
	v_pk_fma_f16 v94, v56, v67, v97 op_sel_hi:[1,0,1]
	v_pk_fma_f16 v79, v56, v67, v79 op_sel:[0,1,0]
	v_pk_fma_f16 v80, v56, v68, v80 op_sel_hi:[1,0,1]
	v_pk_fma_f16 v73, v56, v68, v73 op_sel:[0,1,0]
	;; [unrolled: 2-line block ×7, first 2 shown]
	ds_load_2addr_b64 v[8:11], v55 offset0:64 offset1:96
	v_pk_fma_f16 v53, v59, v68, v53 op_sel_hi:[1,0,1]
	v_pk_fma_f16 v54, v59, v68, v54 op_sel:[0,1,0]
	ds_load_2addr_b64 v[56:59], v55 offset0:128 offset1:160
	s_waitcnt lgkmcnt(2)
	v_pk_fma_f16 v61, v4, v69, v61 op_sel_hi:[1,0,1]
	v_pk_fma_f16 v62, v4, v69, v62 op_sel:[0,1,0]
	v_pk_fma_f16 v63, v4, v70, v63 op_sel_hi:[1,0,1]
	v_pk_fma_f16 v64, v4, v70, v64 op_sel:[0,1,0]
	;; [unrolled: 2-line block ×8, first 2 shown]
	ds_load_2addr_b64 v[4:7], v55 offset0:192 offset1:224
	s_waitcnt lgkmcnt(2)
	v_pk_fma_f16 v92, v8, v69, v94 op_sel_hi:[1,0,1]
	v_pk_fma_f16 v79, v8, v69, v79 op_sel:[0,1,0]
	v_pk_fma_f16 v80, v8, v70, v80 op_sel_hi:[1,0,1]
	v_pk_fma_f16 v73, v8, v70, v73 op_sel:[0,1,0]
	;; [unrolled: 2-line block ×8, first 2 shown]
	s_waitcnt lgkmcnt(1)
	v_pk_fma_f16 v61, v56, v71, v61 op_sel_hi:[1,0,1]
	v_pk_fma_f16 v62, v56, v71, v62 op_sel:[0,1,0]
	v_pk_fma_f16 v63, v56, v72, v63 op_sel_hi:[1,0,1]
	v_pk_fma_f16 v64, v56, v72, v64 op_sel:[0,1,0]
	ds_load_2addr_b64 v[8:11], v52 offset1:32
	ds_load_b128 v[53:56], v41 offset:960
	v_pk_fma_f16 v65, v57, v71, v65 op_sel_hi:[1,0,1]
	v_pk_fma_f16 v66, v57, v71, v66 op_sel:[0,1,0]
	v_pk_fma_f16 v67, v57, v72, v67 op_sel_hi:[1,0,1]
	v_pk_fma_f16 v68, v57, v72, v68 op_sel:[0,1,0]
	;; [unrolled: 2-line block ×6, first 2 shown]
	s_waitcnt lgkmcnt(2)
	v_pk_fma_f16 v92, v4, v71, v92 op_sel_hi:[1,0,1]
	v_pk_fma_f16 v79, v4, v71, v79 op_sel:[0,1,0]
	v_pk_fma_f16 v93, v5, v71, v93 op_sel_hi:[1,0,1]
	v_pk_fma_f16 v85, v5, v71, v85 op_sel:[0,1,0]
	;; [unrolled: 2-line block ×4, first 2 shown]
	ds_load_2addr_b64 v[57:60], v52 offset0:64 offset1:96
	v_pk_fma_f16 v80, v4, v72, v80 op_sel_hi:[1,0,1]
	v_pk_fma_f16 v73, v4, v72, v73 op_sel:[0,1,0]
	v_pk_fma_f16 v86, v5, v72, v86 op_sel_hi:[1,0,1]
	v_pk_fma_f16 v74, v5, v72, v74 op_sel:[0,1,0]
	;; [unrolled: 2-line block ×4, first 2 shown]
	s_waitcnt lgkmcnt(1)
	v_pk_fma_f16 v72, v8, v53, v61 op_sel_hi:[1,0,1]
	v_pk_fma_f16 v98, v8, v53, v62 op_sel:[0,1,0]
	v_pk_fma_f16 v99, v8, v54, v63 op_sel_hi:[1,0,1]
	v_pk_fma_f16 v100, v8, v54, v64 op_sel:[0,1,0]
	v_pk_fma_f16 v65, v9, v53, v65 op_sel_hi:[1,0,1]
	v_pk_fma_f16 v66, v9, v53, v66 op_sel:[0,1,0]
	v_pk_fma_f16 v67, v9, v54, v67 op_sel_hi:[1,0,1]
	v_pk_fma_f16 v68, v9, v54, v68 op_sel:[0,1,0]
	v_pk_fma_f16 v76, v10, v53, v76 op_sel_hi:[1,0,1]
	v_pk_fma_f16 v87, v10, v53, v87 op_sel:[0,1,0]
	v_pk_fma_f16 v88, v10, v54, v88 op_sel_hi:[1,0,1]
	v_pk_fma_f16 v89, v10, v54, v89 op_sel:[0,1,0]
	v_pk_fma_f16 v90, v11, v53, v90 op_sel_hi:[1,0,1]
	v_pk_fma_f16 v77, v11, v53, v77 op_sel:[0,1,0]
	ds_load_2addr_b64 v[61:64], v52 offset0:128 offset1:160
	v_pk_fma_f16 v78, v11, v54, v78 op_sel_hi:[1,0,1]
	v_pk_fma_f16 v91, v11, v54, v91 op_sel:[0,1,0]
	ds_load_2addr_b64 v[8:11], v52 offset0:192 offset1:224
	s_waitcnt lgkmcnt(2)
	v_pk_fma_f16 v92, v57, v53, v92 op_sel_hi:[1,0,1]
	v_pk_fma_f16 v79, v57, v53, v79 op_sel:[0,1,0]
	v_pk_fma_f16 v93, v58, v53, v93 op_sel_hi:[1,0,1]
	v_pk_fma_f16 v85, v58, v53, v85 op_sel:[0,1,0]
	;; [unrolled: 2-line block ×4, first 2 shown]
	ds_load_b128 v[4:7], v41 offset:976
	v_pk_fma_f16 v80, v57, v54, v80 op_sel_hi:[1,0,1]
	v_pk_fma_f16 v73, v57, v54, v73 op_sel:[0,1,0]
	v_pk_fma_f16 v86, v58, v54, v86 op_sel_hi:[1,0,1]
	v_pk_fma_f16 v74, v58, v54, v74 op_sel:[0,1,0]
	;; [unrolled: 2-line block ×4, first 2 shown]
	s_waitcnt lgkmcnt(2)
	v_pk_fma_f16 v71, v61, v55, v72 op_sel_hi:[1,0,1]
	v_pk_fma_f16 v72, v61, v55, v98 op_sel:[0,1,0]
	v_pk_fma_f16 v65, v62, v55, v65 op_sel_hi:[1,0,1]
	v_pk_fma_f16 v66, v62, v55, v66 op_sel:[0,1,0]
	;; [unrolled: 2-line block ×6, first 2 shown]
	ds_load_2addr_b64 v[57:60], v51 offset1:32
	v_pk_fma_f16 v78, v64, v56, v78 op_sel_hi:[1,0,1]
	v_pk_fma_f16 v64, v64, v56, v91 op_sel:[0,1,0]
	s_waitcnt lgkmcnt(2)
	v_pk_fma_f16 v89, v8, v55, v92 op_sel_hi:[1,0,1]
	v_pk_fma_f16 v79, v8, v55, v79 op_sel:[0,1,0]
	v_pk_fma_f16 v90, v9, v55, v93 op_sel_hi:[1,0,1]
	v_pk_fma_f16 v85, v9, v55, v85 op_sel:[0,1,0]
	;; [unrolled: 2-line block ×4, first 2 shown]
	ds_load_2addr_b64 v[52:55], v51 offset0:64 offset1:96
	v_pk_fma_f16 v98, v61, v56, v99 op_sel_hi:[1,0,1]
	v_pk_fma_f16 v61, v61, v56, v100 op_sel:[0,1,0]
	v_pk_fma_f16 v80, v8, v56, v80 op_sel_hi:[1,0,1]
	v_pk_fma_f16 v73, v8, v56, v73 op_sel:[0,1,0]
	;; [unrolled: 2-line block ×5, first 2 shown]
	ds_load_2addr_b64 v[8:11], v51 offset0:128 offset1:160
	s_waitcnt lgkmcnt(2)
	v_pk_fma_f16 v70, v57, v4, v71 op_sel_hi:[1,0,1]
	v_pk_fma_f16 v71, v57, v4, v72 op_sel:[0,1,0]
	v_pk_fma_f16 v72, v57, v5, v98 op_sel_hi:[1,0,1]
	v_pk_fma_f16 v57, v57, v5, v61 op_sel:[0,1,0]
	;; [unrolled: 2-line block ×8, first 2 shown]
	s_waitcnt lgkmcnt(1)
	v_pk_fma_f16 v78, v52, v4, v89 op_sel_hi:[1,0,1]
	v_pk_fma_f16 v79, v52, v4, v79 op_sel:[0,1,0]
	v_pk_fma_f16 v80, v52, v5, v80 op_sel_hi:[1,0,1]
	v_pk_fma_f16 v73, v52, v5, v73 op_sel:[0,1,0]
	;; [unrolled: 2-line block ×6, first 2 shown]
	ds_load_2addr_b64 v[51:54], v51 offset0:192 offset1:224
	v_pk_fma_f16 v91, v55, v4, v94 op_sel_hi:[1,0,1]
	v_pk_fma_f16 v4, v55, v4, v95 op_sel:[0,1,0]
	v_pk_fma_f16 v69, v55, v5, v69 op_sel_hi:[1,0,1]
	v_pk_fma_f16 v5, v55, v5, v56 op_sel:[0,1,0]
	s_waitcnt lgkmcnt(1)
	v_pk_fma_f16 v70, v8, v6, v70 op_sel_hi:[1,0,1]
	v_pk_fma_f16 v71, v8, v6, v71 op_sel:[0,1,0]
	v_pk_fma_f16 v72, v8, v7, v72 op_sel_hi:[1,0,1]
	v_pk_fma_f16 v92, v8, v7, v57 op_sel:[0,1,0]
	;; [unrolled: 2-line block ×7, first 2 shown]
	v_pk_fma_f16 v77, v11, v7, v77 op_sel_hi:[1,0,1]
	ds_load_2addr_b64 v[55:58], v50 offset1:32
	ds_load_b128 v[59:62], v41 offset:992
	v_pk_fma_f16 v64, v11, v7, v64 op_sel:[0,1,0]
	ds_load_2addr_b64 v[8:11], v50 offset0:64 offset1:96
	s_waitcnt lgkmcnt(3)
	v_pk_fma_f16 v78, v51, v6, v78 op_sel_hi:[1,0,1]
	v_pk_fma_f16 v79, v51, v6, v79 op_sel:[0,1,0]
	v_pk_fma_f16 v80, v51, v7, v80 op_sel_hi:[1,0,1]
	v_pk_fma_f16 v73, v51, v7, v73 op_sel:[0,1,0]
	v_pk_fma_f16 v87, v52, v6, v87 op_sel_hi:[1,0,1]
	v_pk_fma_f16 v85, v52, v6, v85 op_sel:[0,1,0]
	v_pk_fma_f16 v86, v52, v7, v86 op_sel_hi:[1,0,1]
	v_pk_fma_f16 v74, v52, v7, v74 op_sel:[0,1,0]
	v_pk_fma_f16 v88, v53, v6, v88 op_sel_hi:[1,0,1]
	v_pk_fma_f16 v89, v53, v6, v89 op_sel:[0,1,0]
	v_pk_fma_f16 v90, v53, v7, v90 op_sel_hi:[1,0,1]
	v_pk_fma_f16 v75, v53, v7, v75 op_sel:[0,1,0]
	v_pk_fma_f16 v91, v54, v6, v91 op_sel_hi:[1,0,1]
	v_pk_fma_f16 v97, v54, v6, v4 op_sel:[0,1,0]
	v_pk_fma_f16 v69, v54, v7, v69 op_sel_hi:[1,0,1]
	v_pk_fma_f16 v98, v54, v7, v5 op_sel:[0,1,0]
	ds_load_2addr_b64 v[51:54], v50 offset0:128 offset1:160
	ds_load_b128 v[4:7], v41 offset:1008
	s_waitcnt lgkmcnt(3)
	v_pk_fma_f16 v70, v55, v59, v70 op_sel_hi:[1,0,1]
	v_pk_fma_f16 v71, v55, v59, v71 op_sel:[0,1,0]
	v_pk_fma_f16 v72, v55, v60, v72 op_sel_hi:[1,0,1]
	v_pk_fma_f16 v92, v55, v60, v92 op_sel:[0,1,0]
	;; [unrolled: 2-line block ×8, first 2 shown]
	s_waitcnt lgkmcnt(2)
	v_pk_fma_f16 v78, v8, v59, v78 op_sel_hi:[1,0,1]
	v_pk_fma_f16 v79, v8, v59, v79 op_sel:[0,1,0]
	v_pk_fma_f16 v80, v8, v60, v80 op_sel_hi:[1,0,1]
	v_pk_fma_f16 v73, v8, v60, v73 op_sel:[0,1,0]
	;; [unrolled: 2-line block ×7, first 2 shown]
	ds_load_2addr_b64 v[55:58], v50 offset0:192 offset1:224
	v_pk_fma_f16 v69, v11, v60, v69 op_sel_hi:[1,0,1]
	v_pk_fma_f16 v60, v11, v60, v98 op_sel:[0,1,0]
	ds_load_2addr_b64 v[8:11], v49 offset1:32
	s_waitcnt lgkmcnt(3)
	v_pk_fma_f16 v70, v51, v61, v70 op_sel_hi:[1,0,1]
	v_pk_fma_f16 v71, v51, v61, v71 op_sel:[0,1,0]
	v_pk_fma_f16 v72, v51, v62, v72 op_sel_hi:[1,0,1]
	v_pk_fma_f16 v92, v51, v62, v92 op_sel:[0,1,0]
	;; [unrolled: 2-line block ×8, first 2 shown]
	ds_load_2addr_b64 v[50:53], v49 offset0:64 offset1:96
	s_waitcnt lgkmcnt(2)
	v_pk_fma_f16 v64, v55, v61, v78 op_sel_hi:[1,0,1]
	v_pk_fma_f16 v78, v55, v61, v79 op_sel:[0,1,0]
	v_pk_fma_f16 v79, v55, v62, v80 op_sel_hi:[1,0,1]
	v_pk_fma_f16 v73, v55, v62, v73 op_sel:[0,1,0]
	v_pk_fma_f16 v80, v56, v61, v87 op_sel_hi:[1,0,1]
	v_pk_fma_f16 v85, v56, v61, v85 op_sel:[0,1,0]
	v_pk_fma_f16 v86, v56, v62, v86 op_sel_hi:[1,0,1]
	v_pk_fma_f16 v74, v56, v62, v74 op_sel:[0,1,0]
	v_pk_fma_f16 v87, v57, v61, v88 op_sel_hi:[1,0,1]
	v_pk_fma_f16 v88, v57, v61, v89 op_sel:[0,1,0]
	v_pk_fma_f16 v89, v57, v62, v90 op_sel_hi:[1,0,1]
	v_pk_fma_f16 v75, v57, v62, v75 op_sel:[0,1,0]
	v_pk_fma_f16 v90, v58, v61, v91 op_sel_hi:[1,0,1]
	v_pk_fma_f16 v59, v58, v61, v59 op_sel:[0,1,0]
	v_pk_fma_f16 v61, v58, v62, v69 op_sel_hi:[1,0,1]
	v_pk_fma_f16 v60, v58, v62, v60 op_sel:[0,1,0]
	s_waitcnt lgkmcnt(1)
	v_pk_fma_f16 v62, v8, v4, v70 op_sel_hi:[1,0,1]
	v_pk_fma_f16 v69, v8, v4, v71 op_sel:[0,1,0]
	v_pk_fma_f16 v70, v8, v5, v72 op_sel_hi:[1,0,1]
	v_pk_fma_f16 v71, v8, v5, v92 op_sel:[0,1,0]
	;; [unrolled: 2-line block ×7, first 2 shown]
	ds_load_2addr_b64 v[55:58], v49 offset0:128 offset1:160
	v_pk_fma_f16 v96, v11, v5, v77 op_sel_hi:[1,0,1]
	v_pk_fma_f16 v54, v11, v5, v54 op_sel:[0,1,0]
	ds_load_2addr_b64 v[8:11], v49 offset0:192 offset1:224
	s_waitcnt lgkmcnt(0)
	s_barrier
	buffer_gl0_inv
	s_load_b32 s4, s[2:3], 0x4
	v_pk_fma_f16 v97, v50, v4, v64 op_sel_hi:[1,0,1]
	v_pk_fma_f16 v78, v50, v4, v78 op_sel:[0,1,0]
	v_pk_fma_f16 v98, v50, v5, v79 op_sel_hi:[1,0,1]
	v_pk_fma_f16 v50, v50, v5, v73 op_sel:[0,1,0]
	;; [unrolled: 2-line block ×9, first 2 shown]
	v_pk_fma_f16 v60, v55, v7, v70 op_sel_hi:[1,0,1]
	s_waitcnt lgkmcnt(0)
	s_lshl_b32 s4, s4, 7
	v_pk_fma_f16 v55, v55, v7, v71 op_sel:[0,1,0]
	v_pk_fma_f16 v79, v56, v6, v72 op_sel_hi:[1,0,1]
	v_pk_fma_f16 v73, v56, v6, v91 op_sel:[0,1,0]
	v_pk_fma_f16 v64, v56, v7, v66 op_sel_hi:[1,0,1]
	;; [unrolled: 2-line block ×14, first 2 shown]
	v_pk_fma_f16 v49, v11, v7, v5 op_sel:[0,1,0]
	s_add_i32 s13, s4, s13
	s_delay_alu instid0(SALU_CYCLE_1)
	s_cmp_ge_i32 s13, s34
	s_cbranch_scc1 .LBB23_87
; %bb.86:                               ;   in Loop: Header=BB23_17 Depth=1
	v_dual_mov_b32 v92, v0 :: v_dual_mov_b32 v91, v81
	v_dual_mov_b32 v90, v1 :: v_dual_mov_b32 v89, v82
	;; [unrolled: 1-line block ×4, first 2 shown]
	s_branch .LBB23_17
.LBB23_87:
	v_mov_b32_e32 v7, v33
.LBB23_88:
	v_cmp_lt_i32_e32 vcc_lo, v48, v34
	s_cmp_lg_u64 s[24:25], 0
	s_cselect_b32 s2, -1, 0
	s_cmp_eq_u32 s14, 0
	v_cndmask_b32_e32 v4, v7, v48, vcc_lo
	v_cmp_lt_i32_e32 vcc_lo, v15, v34
	s_cselect_b32 s3, -1, 0
	s_delay_alu instid0(SALU_CYCLE_1) | instskip(SKIP_2) | instid1(VALU_DEP_2)
	s_and_b32 s2, s3, s2
	v_cndmask_b32_e32 v9, v7, v15, vcc_lo
	v_cmp_lt_i32_e32 vcc_lo, v14, v34
	v_lshlrev_b32_e32 v9, 2, v9
	v_lshlrev_b32_e32 v4, 2, v4
	v_cndmask_b32_e32 v14, v7, v14, vcc_lo
	v_cmp_lt_i32_e32 vcc_lo, v13, v34
	ds_bpermute_b32 v5, v4, v81
	v_cndmask_b32_e32 v13, v7, v13, vcc_lo
	v_cmp_lt_i32_e32 vcc_lo, v12, v34
	s_delay_alu instid0(VALU_DEP_2) | instskip(SKIP_2) | instid1(VALU_DEP_1)
	v_lshlrev_b32_e32 v13, 2, v13
	v_cndmask_b32_e32 v7, v7, v12, vcc_lo
	s_and_b32 vcc_lo, exec_lo, s2
	v_lshlrev_b32_e32 v7, 2, v7
	s_waitcnt lgkmcnt(0)
	v_add_f32_e32 v5, v81, v5
	ds_bpermute_b32 v6, v4, v82
	ds_bpermute_b32 v8, v4, v83
	;; [unrolled: 1-line block ×4, first 2 shown]
	s_waitcnt lgkmcnt(3)
	v_add_f32_e32 v6, v82, v6
	s_waitcnt lgkmcnt(2)
	v_add_f32_e32 v8, v83, v8
	s_waitcnt lgkmcnt(0)
	v_dual_add_f32 v4, v84, v4 :: v_dual_add_f32 v5, v5, v10
	ds_bpermute_b32 v11, v9, v6
	ds_bpermute_b32 v15, v9, v8
	;; [unrolled: 1-line block ×3, first 2 shown]
	v_lshlrev_b32_e32 v14, 2, v14
	s_waitcnt lgkmcnt(2)
	v_add_f32_e32 v6, v6, v11
	s_waitcnt lgkmcnt(0)
	v_add_f32_e32 v4, v4, v9
	ds_bpermute_b32 v9, v14, v5
	s_waitcnt lgkmcnt(0)
	v_add_f32_e32 v5, v5, v9
	ds_bpermute_b32 v10, v14, v6
	ds_bpermute_b32 v9, v13, v5
	s_waitcnt lgkmcnt(0)
	v_dual_add_f32 v8, v8, v15 :: v_dual_add_f32 v5, v5, v9
	ds_bpermute_b32 v11, v14, v8
	ds_bpermute_b32 v14, v14, v4
	s_waitcnt lgkmcnt(1)
	v_add_f32_e32 v8, v8, v11
	s_waitcnt lgkmcnt(0)
	v_add_f32_e32 v4, v4, v14
	v_add_f32_e32 v6, v6, v10
	ds_bpermute_b32 v11, v13, v8
	ds_bpermute_b32 v10, v13, v6
	;; [unrolled: 1-line block ×3, first 2 shown]
	s_waitcnt lgkmcnt(0)
	v_dual_add_f32 v9, v4, v13 :: v_dual_add_f32 v6, v6, v10
	ds_bpermute_b32 v4, v7, v5
	ds_bpermute_b32 v10, v7, v6
	s_waitcnt lgkmcnt(0)
	v_dual_add_f32 v4, v5, v4 :: v_dual_add_f32 v5, v6, v10
	v_add_f32_e32 v8, v8, v11
	ds_bpermute_b32 v11, v7, v8
	ds_bpermute_b32 v7, v7, v9
	s_waitcnt lgkmcnt(1)
	v_add_f32_e32 v6, v8, v11
	s_waitcnt lgkmcnt(0)
	v_add_f32_e32 v7, v9, v7
	s_cbranch_vccz .LBB23_91
; %bb.89:
	v_dual_max_f32 v13, v1, v1 :: v_dual_add_nc_u32 v8, s12, v32
	s_delay_alu instid0(VALU_DEP_1) | instskip(NEXT) | instid1(VALU_DEP_1)
	v_ashrrev_i32_e32 v9, 31, v8
	v_lshlrev_b64 v[8:9], 2, v[8:9]
	s_delay_alu instid0(VALU_DEP_1) | instskip(NEXT) | instid1(VALU_DEP_2)
	v_add_co_u32 v8, vcc_lo, s24, v8
	v_add_co_ci_u32_e32 v9, vcc_lo, s25, v9, vcc_lo
	global_load_b128 v[8:11], v[8:9], off
	v_max_f32_e32 v12, v0, v0
	s_waitcnt vmcnt(0)
	v_dual_max_f32 v14, v2, v2 :: v_dual_max_f32 v15, v8, v8
	v_dual_max_f32 v19, v9, v9 :: v_dual_max_f32 v20, v10, v10
	v_max_f32_e32 v21, v11, v11
	s_delay_alu instid0(VALU_DEP_2) | instskip(NEXT) | instid1(VALU_DEP_1)
	v_dual_max_f32 v13, v13, v19 :: v_dual_max_f32 v14, v14, v20
	v_dual_max_f32 v18, v3, v3 :: v_dual_sub_f32 v19, v1, v13
	s_delay_alu instid0(VALU_DEP_1) | instskip(NEXT) | instid1(VALU_DEP_3)
	v_dual_max_f32 v12, v12, v15 :: v_dual_max_f32 v15, v18, v21
	v_sub_f32_e32 v10, v10, v14
	v_dual_sub_f32 v20, v2, v14 :: v_dual_sub_f32 v9, v9, v13
	s_delay_alu instid0(VALU_DEP_3) | instskip(NEXT) | instid1(VALU_DEP_4)
	v_sub_f32_e32 v18, v0, v12
	v_dual_sub_f32 v8, v8, v12 :: v_dual_sub_f32 v21, v3, v15
	v_dual_mov_b32 v0, v12 :: v_dual_mov_b32 v3, v15
	v_dual_mov_b32 v1, v13 :: v_dual_mov_b32 v2, v14
	s_delay_alu instid0(VALU_DEP_3) | instskip(SKIP_3) | instid1(VALU_DEP_4)
	v_dual_mul_f32 v13, 0x3fb8aa3b, v8 :: v_dual_mul_f32 v12, 0x3fb8aa3b, v18
	v_dual_mul_f32 v14, 0x3fb8aa3b, v19 :: v_dual_mul_f32 v23, 0x3fb8aa3b, v10
	v_sub_f32_e32 v11, v11, v15
	v_mul_f32_e32 v15, 0x3fb8aa3b, v9
	v_fma_f32 v26, 0x3fb8aa3b, v18, -v12
	v_rndne_f32_e32 v27, v12
	v_fma_f32 v28, 0x3fb8aa3b, v8, -v13
	v_rndne_f32_e32 v29, v13
	v_rndne_f32_e32 v39, v23
	v_fma_f32 v38, 0x3fb8aa3b, v10, -v23
	v_fmac_f32_e32 v26, 0x32a5705f, v18
	s_delay_alu instid0(VALU_DEP_4) | instskip(NEXT) | instid1(VALU_DEP_4)
	v_dual_fmac_f32 v28, 0x32a5705f, v8 :: v_dual_sub_f32 v13, v13, v29
	v_sub_f32_e32 v23, v23, v39
	v_sub_f32_e32 v12, v12, v27
	v_cvt_i32_f32_e32 v27, v27
	v_cvt_i32_f32_e32 v29, v29
	v_add_f32_e32 v13, v13, v28
	v_cmp_ngt_f32_e32 vcc_lo, 0xc2ce8ed0, v18
	v_add_f32_e32 v12, v12, v26
	v_dual_mul_f32 v22, 0x3fb8aa3b, v20 :: v_dual_mul_f32 v25, 0x3fb8aa3b, v11
	s_delay_alu instid0(VALU_DEP_4) | instskip(SKIP_1) | instid1(VALU_DEP_3)
	v_exp_f32_e32 v13, v13
	v_fma_f32 v30, 0x3fb8aa3b, v19, -v14
	v_exp_f32_e32 v12, v12
	v_rndne_f32_e32 v33, v14
	v_fma_f32 v34, 0x3fb8aa3b, v9, -v15
	v_rndne_f32_e32 v35, v15
	v_mul_f32_e32 v24, 0x3fb8aa3b, v21
	v_rndne_f32_e32 v43, v25
	v_sub_f32_e32 v14, v14, v33
	v_fma_f32 v42, 0x3fb8aa3b, v11, -v25
	v_ldexp_f32 v13, v13, v29
	v_sub_f32_e32 v15, v15, v35
	v_sub_f32_e32 v25, v25, v43
	v_ldexp_f32 v12, v12, v27
	v_cvt_i32_f32_e32 v33, v33
	v_fma_f32 v36, 0x3fb8aa3b, v20, -v22
	v_rndne_f32_e32 v37, v22
	v_cvt_i32_f32_e32 v35, v35
	v_cndmask_b32_e32 v12, 0, v12, vcc_lo
	v_cmp_ngt_f32_e32 vcc_lo, 0xc2ce8ed0, v8
	v_fmac_f32_e32 v38, 0x32a5705f, v10
	v_fmac_f32_e32 v42, 0x32a5705f, v11
	;; [unrolled: 1-line block ×3, first 2 shown]
	v_fma_f32 v40, 0x3fb8aa3b, v21, -v24
	v_cndmask_b32_e32 v13, 0, v13, vcc_lo
	v_dual_fmac_f32 v34, 0x32a5705f, v9 :: v_dual_add_f32 v23, v23, v38
	v_fmac_f32_e32 v30, 0x32a5705f, v19
	v_cmp_ngt_f32_e32 vcc_lo, 0xc2ce8ed0, v19
	v_add_f32_e32 v25, v25, v42
	s_delay_alu instid0(VALU_DEP_4)
	v_add_f32_e32 v15, v15, v34
	v_exp_f32_e32 v23, v23
	v_add_f32_e32 v14, v14, v30
	v_rndne_f32_e32 v41, v24
	v_cvt_i32_f32_e32 v39, v39
	v_exp_f32_e32 v15, v15
	v_exp_f32_e32 v25, v25
	;; [unrolled: 1-line block ×3, first 2 shown]
	v_cvt_i32_f32_e32 v26, v41
	v_cvt_i32_f32_e32 v28, v43
	v_ldexp_f32 v23, v23, v39
	s_delay_alu instid0(TRANS32_DEP_3) | instskip(SKIP_3) | instid1(VALU_DEP_1)
	v_ldexp_f32 v15, v15, v35
	s_waitcnt_depctr 0xfff
	v_ldexp_f32 v25, v25, v28
	v_ldexp_f32 v14, v14, v33
	v_cndmask_b32_e32 v14, 0, v14, vcc_lo
	v_cmp_ngt_f32_e32 vcc_lo, 0xc2ce8ed0, v9
	v_sub_f32_e32 v22, v22, v37
	v_cvt_i32_f32_e32 v37, v37
	v_dual_sub_f32 v24, v24, v41 :: v_dual_cndmask_b32 v15, 0, v15
	s_delay_alu instid0(VALU_DEP_3) | instskip(SKIP_1) | instid1(VALU_DEP_2)
	v_add_f32_e32 v22, v22, v36
	v_cmp_ngt_f32_e32 vcc_lo, 0xc2ce8ed0, v20
	v_exp_f32_e32 v22, v22
	s_waitcnt_depctr 0xfff
	v_ldexp_f32 v22, v22, v37
	s_delay_alu instid0(VALU_DEP_1) | instskip(SKIP_2) | instid1(VALU_DEP_1)
	v_cndmask_b32_e32 v22, 0, v22, vcc_lo
	v_cmp_ngt_f32_e32 vcc_lo, 0xc2ce8ed0, v10
	v_dual_fmac_f32 v40, 0x32a5705f, v21 :: v_dual_cndmask_b32 v23, 0, v23
	v_add_f32_e32 v24, v24, v40
	v_cmp_ngt_f32_e32 vcc_lo, 0xc2ce8ed0, v21
	s_delay_alu instid0(VALU_DEP_2) | instskip(SKIP_2) | instid1(VALU_DEP_1)
	v_exp_f32_e32 v24, v24
	s_waitcnt_depctr 0xfff
	v_ldexp_f32 v24, v24, v26
	v_cndmask_b32_e32 v24, 0, v24, vcc_lo
	v_cmp_ngt_f32_e32 vcc_lo, 0xc2ce8ed0, v11
	v_cndmask_b32_e32 v25, 0, v25, vcc_lo
	v_cmp_nlt_f32_e32 vcc_lo, 0x42b17218, v18
	v_cndmask_b32_e32 v12, 0x7f800000, v12, vcc_lo
	v_cmp_nlt_f32_e32 vcc_lo, 0x42b17218, v8
	v_cndmask_b32_e32 v8, 0x7f800000, v13, vcc_lo
	v_cmp_nlt_f32_e32 vcc_lo, 0x42b17218, v19
	s_delay_alu instid0(VALU_DEP_2) | instskip(SKIP_4) | instid1(VALU_DEP_3)
	v_dual_fmac_f32 v8, v4, v12 :: v_dual_cndmask_b32 v13, 0x7f800000, v14
	v_cmp_nlt_f32_e32 vcc_lo, 0x42b17218, v9
	v_cvt_f16_f32_e32 v4, v12
	v_cndmask_b32_e32 v9, 0x7f800000, v15, vcc_lo
	v_cmp_nlt_f32_e32 vcc_lo, 0x42b17218, v20
	v_pk_mul_f16 v68, v4, v68 op_sel_hi:[0,1]
	v_pk_mul_f16 v79, v4, v79 op_sel_hi:[0,1]
	;; [unrolled: 1-line block ×3, first 2 shown]
	v_dual_fmac_f32 v9, v5, v13 :: v_dual_cndmask_b32 v14, 0x7f800000, v22
	v_cmp_nlt_f32_e32 vcc_lo, 0x42b17218, v10
	v_cvt_f16_f32_e32 v5, v13
	v_pk_mul_f16 v80, v4, v80 op_sel_hi:[0,1]
	v_pk_mul_f16 v76, v4, v76 op_sel_hi:[0,1]
	;; [unrolled: 1-line block ×3, first 2 shown]
	v_cndmask_b32_e32 v10, 0x7f800000, v23, vcc_lo
	v_cmp_nlt_f32_e32 vcc_lo, 0x42b17218, v21
	v_pk_mul_f16 v74, v4, v74 op_sel_hi:[0,1]
	v_pk_mul_f16 v75, v4, v75 op_sel_hi:[0,1]
	;; [unrolled: 1-line block ×3, first 2 shown]
	v_dual_fmac_f32 v10, v6, v14 :: v_dual_cndmask_b32 v15, 0x7f800000, v24
	v_cmp_nlt_f32_e32 vcc_lo, 0x42b17218, v11
	v_cvt_f16_f32_e32 v6, v14
	v_pk_mul_f16 v73, v5, v73 op_sel_hi:[0,1]
	v_pk_mul_f16 v70, v5, v70 op_sel_hi:[0,1]
	;; [unrolled: 1-line block ×3, first 2 shown]
	v_cndmask_b32_e32 v11, 0x7f800000, v25, vcc_lo
	v_pk_mul_f16 v69, v5, v69 op_sel_hi:[0,1]
	v_pk_mul_f16 v71, v5, v71 op_sel_hi:[0,1]
	;; [unrolled: 1-line block ×4, first 2 shown]
	v_fmac_f32_e32 v11, v7, v15
	v_cvt_f16_f32_e32 v7, v15
	v_pk_mul_f16 v60, v6, v60 op_sel_hi:[0,1]
	v_pk_mul_f16 v64, v6, v64 op_sel_hi:[0,1]
	;; [unrolled: 1-line block ×16, first 2 shown]
	v_dual_mov_b32 v4, v8 :: v_dual_mov_b32 v5, v9
	v_dual_mov_b32 v6, v10 :: v_dual_mov_b32 v7, v11
	s_mov_b32 s2, exec_lo
	v_cmpx_gt_i32_e64 s6, v16
	s_cbranch_execnz .LBB23_92
.LBB23_90:
	s_nop 0
	s_sendmsg sendmsg(MSG_DEALLOC_VGPRS)
	s_endpgm
.LBB23_91:
	s_delay_alu instid0(VALU_DEP_1)
	v_dual_mov_b32 v11, v7 :: v_dual_mov_b32 v10, v6
	v_dual_mov_b32 v9, v5 :: v_dual_mov_b32 v8, v4
	s_mov_b32 s2, exec_lo
	v_cmpx_gt_i32_e64 s6, v16
	s_cbranch_execz .LBB23_90
.LBB23_92:
	s_load_b32 s1, s[0:1], 0xd4
	v_mov_b32_e32 v14, 1.0
	s_waitcnt lgkmcnt(0)
	s_cmp_lg_u32 s1, 1
	s_cselect_b32 s3, -1, 0
	s_cmp_eq_u32 s1, 1
	s_cselect_b32 s2, -1, 0
	s_and_b32 vcc_lo, exec_lo, s3
	s_cbranch_vccnz .LBB23_94
; %bb.93:
	v_div_scale_f32 v12, null, v4, v4, 1.0
	s_delay_alu instid0(VALU_DEP_1) | instskip(SKIP_2) | instid1(VALU_DEP_1)
	v_rcp_f32_e32 v13, v12
	s_waitcnt_depctr 0xfff
	v_fma_f32 v14, -v12, v13, 1.0
	v_fmac_f32_e32 v13, v14, v13
	v_div_scale_f32 v14, vcc_lo, 1.0, v4, 1.0
	s_delay_alu instid0(VALU_DEP_1) | instskip(NEXT) | instid1(VALU_DEP_1)
	v_mul_f32_e32 v15, v14, v13
	v_fma_f32 v18, -v12, v15, v14
	s_delay_alu instid0(VALU_DEP_1) | instskip(NEXT) | instid1(VALU_DEP_1)
	v_fmac_f32_e32 v15, v18, v13
	v_fma_f32 v12, -v12, v15, v14
	s_delay_alu instid0(VALU_DEP_1) | instskip(NEXT) | instid1(VALU_DEP_1)
	v_div_fmas_f32 v12, v12, v13, v15
	v_div_fixup_f32 v14, v12, v4, 1.0
.LBB23_94:
	v_mad_u64_u32 v[12:13], null, s33, s6, v[16:17]
	v_cmp_eq_u32_e32 vcc_lo, 0, v17
	v_lshrrev_b32_e32 v4, 16, v79
	v_cvt_f32_f16_e32 v15, v79
	v_cvt_f32_f16_e32 v18, v68
	v_mov_b32_e32 v28, 0
	v_lshrrev_b32_e32 v19, 16, v80
	v_mul_lo_u32 v12, v12, s7
	v_cvt_f32_f16_e32 v23, v77
	v_cvt_f32_f16_e32 v4, v4
	v_lshrrev_b32_e32 v16, 16, v68
	v_lshrrev_b32_e32 v25, 16, v78
	v_cvt_f32_f16_e32 v29, v19
	v_mul_f32_e32 v19, v14, v23
	v_cvt_f32_f16_e32 v20, v80
	v_add3_u32 v17, s12, v32, v12
	v_lshrrev_b32_e32 v22, 16, v77
	v_cvt_f32_f16_e32 v38, v25
	v_lshrrev_b32_e32 v37, 16, v76
	v_cvt_f32_f16_e32 v36, v78
	v_mad_u64_u32 v[12:13], null, s1, v17, s[14:15]
	v_mul_f32_e32 v17, v14, v15
	v_dual_mul_f32 v15, v14, v18 :: v_dual_mov_b32 v24, v28
	v_cvt_f32_f16_e32 v13, v16
	v_dual_mul_f32 v21, v14, v20 :: v_dual_mov_b32 v30, v28
	v_lshl_add_u32 v27, v12, 9, v31
	v_mul_f32_e32 v18, v14, v4
	s_delay_alu instid0(VALU_DEP_4)
	v_mul_f32_e32 v16, v14, v13
	v_cvt_f32_f16_e32 v13, v76
	v_cvt_f32_f16_e32 v20, v22
	v_add_nc_u32_e32 v23, 0x80, v27
	v_lshlrev_b64 v[25:26], 2, v[27:28]
	v_dual_mul_f32 v22, v14, v29 :: v_dual_add_nc_u32 v29, 0x100, v27
	v_add_nc_u32_e32 v27, 0x180, v27
	s_delay_alu instid0(VALU_DEP_4) | instskip(SKIP_2) | instid1(VALU_DEP_1)
	v_lshlrev_b64 v[23:24], 2, v[23:24]
	v_cvt_f32_f16_e32 v4, v37
	v_add_co_u32 v32, s0, s28, v25
	v_add_co_ci_u32_e64 v33, s0, s29, v26, s0
	s_delay_alu instid0(VALU_DEP_4)
	v_add_co_u32 v34, s0, s28, v23
	v_mul_f32_e32 v23, v14, v13
	v_lshrrev_b32_e32 v13, 16, v74
	v_lshlrev_b64 v[29:30], 2, v[29:30]
	v_add_co_ci_u32_e64 v35, s0, s29, v24, s0
	v_mul_f32_e32 v24, v14, v4
	v_lshrrev_b32_e32 v4, 16, v75
	v_mul_f32_e32 v26, v14, v38
	v_lshlrev_b64 v[38:39], 2, v[27:28]
	v_cvt_f32_f16_e32 v13, v13
	v_mul_f32_e32 v25, v14, v36
	v_add_co_u32 v36, s0, s28, v29
	v_cvt_f32_f16_e32 v4, v4
	v_cvt_f32_f16_e32 v29, v75
	;; [unrolled: 1-line block ×3, first 2 shown]
	v_add_co_ci_u32_e64 v37, s0, s29, v30, s0
	v_mul_f32_e32 v28, v14, v13
	v_add_co_u32 v13, s0, s28, v38
	v_mul_f32_e32 v20, v14, v20
	v_mul_f32_e32 v30, v14, v4
	;; [unrolled: 1-line block ×4, first 2 shown]
	v_add_co_ci_u32_e64 v14, s0, s29, v39, s0
	s_and_b32 s0, vcc_lo, s3
	s_clause 0x3
	global_store_b128 v[32:33], v[15:18], off
	global_store_b128 v[34:35], v[19:22], off
	;; [unrolled: 1-line block ×4, first 2 shown]
	s_and_saveexec_b32 s3, s0
	s_cbranch_execz .LBB23_96
; %bb.95:
	v_ashrrev_i32_e32 v13, 31, v12
	v_mov_b32_e32 v15, v0
	v_mov_b32_e32 v16, v8
	s_delay_alu instid0(VALU_DEP_3) | instskip(NEXT) | instid1(VALU_DEP_1)
	v_lshlrev_b64 v[13:14], 3, v[12:13]
	v_add_co_u32 v13, vcc_lo, s30, v13
	s_delay_alu instid0(VALU_DEP_2)
	v_add_co_ci_u32_e32 v14, vcc_lo, s31, v14, vcc_lo
	global_store_b64 v[13:14], v[15:16], off
.LBB23_96:
	s_or_b32 exec_lo, exec_lo, s3
	v_cndmask_b32_e64 v13, 0, 1, s2
	v_mov_b32_e32 v0, 1.0
	s_and_not1_b32 vcc_lo, exec_lo, s2
	s_cbranch_vccnz .LBB23_98
; %bb.97:
	v_div_scale_f32 v0, null, v5, v5, 1.0
	s_delay_alu instid0(VALU_DEP_1) | instskip(SKIP_2) | instid1(VALU_DEP_1)
	v_rcp_f32_e32 v4, v0
	s_waitcnt_depctr 0xfff
	v_fma_f32 v8, -v0, v4, 1.0
	v_fmac_f32_e32 v4, v8, v4
	v_div_scale_f32 v8, vcc_lo, 1.0, v5, 1.0
	s_delay_alu instid0(VALU_DEP_1) | instskip(NEXT) | instid1(VALU_DEP_1)
	v_mul_f32_e32 v14, v8, v4
	v_fma_f32 v15, -v0, v14, v8
	s_delay_alu instid0(VALU_DEP_1) | instskip(NEXT) | instid1(VALU_DEP_1)
	v_fmac_f32_e32 v14, v15, v4
	v_fma_f32 v0, -v0, v14, v8
	s_delay_alu instid0(VALU_DEP_1) | instskip(NEXT) | instid1(VALU_DEP_1)
	v_div_fmas_f32 v0, v0, v4, v14
	v_div_fixup_f32 v0, v0, v5, 1.0
.LBB23_98:
	v_dual_mov_b32 v27, 0 :: v_dual_add_nc_u32 v4, s1, v12
	v_lshrrev_b32_e32 v5, 16, v73
	v_cvt_f32_f16_e32 v8, v73
	v_lshrrev_b32_e32 v20, 16, v72
	s_delay_alu instid0(VALU_DEP_4)
	v_lshl_add_u32 v26, v4, 9, v31
	v_lshrrev_b32_e32 v12, 16, v65
	v_cvt_f32_f16_e32 v5, v5
	v_mul_f32_e32 v16, v0, v8
	v_cvt_f32_f16_e32 v8, v20
	v_lshlrev_b64 v[18:19], 2, v[26:27]
	v_cvt_f32_f16_e32 v14, v65
	v_mul_f32_e32 v17, v0, v5
	v_lshrrev_b32_e32 v5, 16, v70
	v_cvt_f32_f16_e32 v12, v12
	v_mul_f32_e32 v21, v0, v8
	v_add_co_u32 v32, vcc_lo, s28, v18
	v_add_co_ci_u32_e32 v33, vcc_lo, s29, v19, vcc_lo
	v_dual_mov_b32 v19, v27 :: v_dual_add_nc_u32 v18, 0x80, v26
	v_cvt_f32_f16_e32 v5, v5
	v_lshrrev_b32_e32 v8, 16, v69
	v_mul_f32_e32 v14, v0, v14
	v_mul_f32_e32 v15, v0, v12
	v_lshlrev_b64 v[22:23], 2, v[18:19]
	v_mul_f32_e32 v19, v0, v5
	v_lshrrev_b32_e32 v5, 16, v71
	v_cvt_f32_f16_e32 v12, v72
	v_cvt_f32_f16_e32 v8, v8
	;; [unrolled: 1-line block ×3, first 2 shown]
	v_add_co_u32 v34, vcc_lo, s28, v22
	v_add_nc_u32_e32 v22, 0x100, v26
	v_add_co_ci_u32_e32 v35, vcc_lo, s29, v23, vcc_lo
	v_mov_b32_e32 v23, v27
	v_cvt_f32_f16_e32 v5, v5
	v_add_nc_u32_e32 v26, 0x180, v26
	v_mul_f32_e32 v20, v0, v12
	v_cvt_f32_f16_e32 v12, v71
	v_lshlrev_b64 v[28:29], 2, v[22:23]
	v_cvt_f32_f16_e32 v30, v69
	v_mul_f32_e32 v25, v0, v5
	v_mul_f32_e32 v23, v0, v8
	v_lshrrev_b32_e32 v5, 16, v67
	v_lshrrev_b32_e32 v8, 16, v66
	v_lshlrev_b64 v[38:39], 2, v[26:27]
	v_mul_f32_e32 v18, v0, v24
	v_mul_f32_e32 v24, v0, v12
	;; [unrolled: 1-line block ×3, first 2 shown]
	v_add_co_u32 v36, vcc_lo, s28, v28
	v_cvt_f32_f16_e32 v5, v5
	v_cvt_f32_f16_e32 v12, v67
	;; [unrolled: 1-line block ×4, first 2 shown]
	v_add_co_ci_u32_e32 v37, vcc_lo, s29, v29, vcc_lo
	v_add_co_u32 v38, vcc_lo, s28, v38
	v_mul_f32_e32 v29, v0, v5
	v_mul_f32_e32 v28, v0, v12
	;; [unrolled: 1-line block ×4, first 2 shown]
	v_add_co_ci_u32_e32 v39, vcc_lo, s29, v39, vcc_lo
	s_clause 0x3
	global_store_b128 v[32:33], v[14:17], off
	global_store_b128 v[34:35], v[18:21], off
	;; [unrolled: 1-line block ×4, first 2 shown]
	s_and_saveexec_b32 s2, s0
	s_cbranch_execz .LBB23_100
; %bb.99:
	v_ashrrev_i32_e32 v5, 31, v4
	v_mov_b32_e32 v8, v1
	s_delay_alu instid0(VALU_DEP_2) | instskip(NEXT) | instid1(VALU_DEP_1)
	v_lshlrev_b64 v[14:15], 3, v[4:5]
	v_add_co_u32 v14, vcc_lo, s30, v14
	s_delay_alu instid0(VALU_DEP_2)
	v_add_co_ci_u32_e32 v15, vcc_lo, s31, v15, vcc_lo
	global_store_b64 v[14:15], v[8:9], off
.LBB23_100:
	s_or_b32 exec_lo, exec_lo, s2
	v_cmp_ne_u32_e32 vcc_lo, 1, v13
	v_mov_b32_e32 v1, 1.0
	s_cbranch_vccnz .LBB23_102
; %bb.101:
	v_div_scale_f32 v0, null, v6, v6, 1.0
	s_delay_alu instid0(VALU_DEP_1) | instskip(SKIP_2) | instid1(VALU_DEP_1)
	v_rcp_f32_e32 v1, v0
	s_waitcnt_depctr 0xfff
	v_fma_f32 v5, -v0, v1, 1.0
	v_fmac_f32_e32 v1, v5, v1
	v_div_scale_f32 v5, vcc_lo, 1.0, v6, 1.0
	s_delay_alu instid0(VALU_DEP_1) | instskip(NEXT) | instid1(VALU_DEP_1)
	v_mul_f32_e32 v8, v5, v1
	v_fma_f32 v9, -v0, v8, v5
	s_delay_alu instid0(VALU_DEP_1) | instskip(NEXT) | instid1(VALU_DEP_1)
	v_fmac_f32_e32 v8, v9, v1
	v_fma_f32 v0, -v0, v8, v5
	s_delay_alu instid0(VALU_DEP_1) | instskip(NEXT) | instid1(VALU_DEP_1)
	v_div_fmas_f32 v0, v0, v1, v8
	v_div_fixup_f32 v1, v0, v6, 1.0
.LBB23_102:
	v_lshrrev_b32_e32 v6, 16, v64
	v_dual_mov_b32 v5, 0 :: v_dual_add_nc_u32 v0, s1, v4
	v_cvt_f32_f16_e32 v12, v64
	v_lshrrev_b32_e32 v18, 16, v63
	s_delay_alu instid0(VALU_DEP_4) | instskip(NEXT) | instid1(VALU_DEP_4)
	v_cvt_f32_f16_e32 v6, v6
	v_lshl_add_u32 v4, v0, 9, v31
	v_lshrrev_b32_e32 v8, 16, v60
	v_mul_f32_e32 v16, v1, v12
	v_cvt_f32_f16_e32 v12, v18
	s_delay_alu instid0(VALU_DEP_4)
	v_dual_mul_f32 v17, v1, v6 :: v_dual_add_nc_u32 v18, 0x80, v4
	v_lshrrev_b32_e32 v6, 16, v61
	v_mov_b32_e32 v19, v5
	v_cvt_f32_f16_e32 v15, v8
	v_lshlrev_b64 v[8:9], 2, v[4:5]
	v_mul_f32_e32 v21, v1, v12
	v_cvt_f32_f16_e32 v6, v6
	v_lshlrev_b64 v[22:23], 2, v[18:19]
	v_lshrrev_b32_e32 v12, 16, v59
	v_mul_f32_e32 v15, v1, v15
	v_add_co_u32 v8, vcc_lo, s28, v8
	v_mul_f32_e32 v19, v1, v6
	v_lshrrev_b32_e32 v6, 16, v62
	v_add_co_ci_u32_e32 v9, vcc_lo, s29, v9, vcc_lo
	v_add_co_u32 v32, vcc_lo, s28, v22
	v_add_nc_u32_e32 v22, 0x100, v4
	v_add_co_ci_u32_e32 v33, vcc_lo, s29, v23, vcc_lo
	v_mov_b32_e32 v23, v5
	v_cvt_f32_f16_e32 v6, v6
	v_cvt_f32_f16_e32 v12, v12
	v_add_nc_u32_e32 v4, 0x180, v4
	v_cvt_f32_f16_e32 v24, v61
	v_lshlrev_b64 v[26:27], 2, v[22:23]
	v_mul_f32_e32 v25, v1, v6
	v_mul_f32_e32 v23, v1, v12
	v_lshrrev_b32_e32 v6, 16, v58
	v_lshrrev_b32_e32 v12, 16, v57
	v_cvt_f32_f16_e32 v14, v60
	v_lshlrev_b64 v[4:5], 2, v[4:5]
	v_cvt_f32_f16_e32 v20, v63
	v_mul_f32_e32 v18, v1, v24
	v_cvt_f32_f16_e32 v24, v62
	v_cvt_f32_f16_e32 v28, v59
	v_add_co_u32 v34, vcc_lo, s28, v26
	v_cvt_f32_f16_e32 v6, v6
	v_cvt_f32_f16_e32 v26, v58
	;; [unrolled: 1-line block ×4, first 2 shown]
	v_mul_f32_e32 v14, v1, v14
	v_add_co_ci_u32_e32 v35, vcc_lo, s29, v27, vcc_lo
	v_mul_f32_e32 v20, v1, v20
	v_add_co_u32 v4, vcc_lo, s28, v4
	v_mul_f32_e32 v24, v1, v24
	v_mul_f32_e32 v22, v1, v28
	;; [unrolled: 1-line block ×6, first 2 shown]
	v_add_co_ci_u32_e32 v5, vcc_lo, s29, v5, vcc_lo
	s_clause 0x3
	global_store_b128 v[8:9], v[14:17], off
	global_store_b128 v[32:33], v[18:21], off
	;; [unrolled: 1-line block ×4, first 2 shown]
	s_and_saveexec_b32 s2, s0
	s_cbranch_execz .LBB23_104
; %bb.103:
	v_ashrrev_i32_e32 v1, 31, v0
	v_mov_b32_e32 v9, v2
	s_delay_alu instid0(VALU_DEP_2) | instskip(NEXT) | instid1(VALU_DEP_1)
	v_lshlrev_b64 v[4:5], 3, v[0:1]
	v_add_co_u32 v4, vcc_lo, s30, v4
	s_delay_alu instid0(VALU_DEP_2)
	v_add_co_ci_u32_e32 v5, vcc_lo, s31, v5, vcc_lo
	global_store_b64 v[4:5], v[9:10], off
.LBB23_104:
	s_or_b32 exec_lo, exec_lo, s2
	v_cmp_ne_u32_e32 vcc_lo, 1, v13
	v_mov_b32_e32 v1, 1.0
	s_cbranch_vccnz .LBB23_106
; %bb.105:
	v_div_scale_f32 v1, null, v7, v7, 1.0
	s_delay_alu instid0(VALU_DEP_1) | instskip(SKIP_2) | instid1(VALU_DEP_1)
	v_rcp_f32_e32 v2, v1
	s_waitcnt_depctr 0xfff
	v_fma_f32 v4, -v1, v2, 1.0
	v_fmac_f32_e32 v2, v4, v2
	v_div_scale_f32 v4, vcc_lo, 1.0, v7, 1.0
	s_delay_alu instid0(VALU_DEP_1) | instskip(NEXT) | instid1(VALU_DEP_1)
	v_mul_f32_e32 v5, v4, v2
	v_fma_f32 v6, -v1, v5, v4
	s_delay_alu instid0(VALU_DEP_1) | instskip(NEXT) | instid1(VALU_DEP_1)
	v_fmac_f32_e32 v5, v6, v2
	v_fma_f32 v1, -v1, v5, v4
	s_delay_alu instid0(VALU_DEP_1) | instskip(NEXT) | instid1(VALU_DEP_1)
	v_div_fmas_f32 v1, v1, v2, v5
	v_div_fixup_f32 v1, v1, v7, 1.0
.LBB23_106:
	v_dual_mov_b32 v9, 0 :: v_dual_add_nc_u32 v0, s1, v0
	v_lshrrev_b32_e32 v2, 16, v56
	v_cvt_f32_f16_e32 v4, v56
	v_cvt_f32_f16_e32 v7, v55
	s_delay_alu instid0(VALU_DEP_4)
	v_lshl_add_u32 v8, v0, 9, v31
	v_lshrrev_b32_e32 v10, 16, v54
	v_cvt_f32_f16_e32 v2, v2
	v_mul_f32_e32 v6, v1, v4
	v_mul_f32_e32 v4, v1, v7
	v_lshlrev_b64 v[12:13], 2, v[8:9]
	v_lshrrev_b32_e32 v5, 16, v55
	v_mul_f32_e32 v7, v1, v2
	v_lshrrev_b32_e32 v2, 16, v52
	v_cvt_f32_f16_e32 v10, v10
	v_cvt_f32_f16_e32 v18, v52
	v_add_co_u32 v24, vcc_lo, s28, v12
	v_add_nc_u32_e32 v12, 0x80, v8
	v_add_co_ci_u32_e32 v25, vcc_lo, s29, v13, vcc_lo
	v_mov_b32_e32 v13, v9
	v_cvt_f32_f16_e32 v2, v2
	v_cvt_f32_f16_e32 v5, v5
	v_mul_f32_e32 v15, v1, v10
	v_lshrrev_b32_e32 v10, 16, v51
	v_lshlrev_b64 v[16:17], 2, v[12:13]
	v_mul_f32_e32 v13, v1, v2
	v_lshrrev_b32_e32 v2, 16, v53
	v_mul_f32_e32 v5, v1, v5
	v_cvt_f32_f16_e32 v10, v10
	v_cvt_f32_f16_e32 v14, v54
	v_add_co_u32 v26, vcc_lo, s28, v16
	v_add_nc_u32_e32 v16, 0x100, v8
	v_add_co_ci_u32_e32 v27, vcc_lo, s29, v17, vcc_lo
	v_mov_b32_e32 v17, v9
	v_cvt_f32_f16_e32 v2, v2
	v_add_nc_u32_e32 v8, 0x180, v8
	v_mul_f32_e32 v12, v1, v18
	v_cvt_f32_f16_e32 v18, v53
	v_lshlrev_b64 v[20:21], 2, v[16:17]
	v_mul_f32_e32 v19, v1, v2
	v_mul_f32_e32 v17, v1, v10
	v_lshrrev_b32_e32 v2, 16, v49
	v_lshrrev_b32_e32 v10, 16, v50
	v_lshlrev_b64 v[8:9], 2, v[8:9]
	v_cvt_f32_f16_e32 v22, v51
	v_add_co_u32 v28, vcc_lo, s28, v20
	v_cvt_f32_f16_e32 v2, v2
	v_cvt_f32_f16_e32 v20, v49
	;; [unrolled: 1-line block ×4, first 2 shown]
	v_add_co_ci_u32_e32 v29, vcc_lo, s29, v21, vcc_lo
	v_mul_f32_e32 v14, v1, v14
	v_mul_f32_e32 v18, v1, v18
	;; [unrolled: 1-line block ×7, first 2 shown]
	v_add_co_u32 v1, vcc_lo, s28, v8
	v_add_co_ci_u32_e32 v2, vcc_lo, s29, v9, vcc_lo
	s_clause 0x3
	global_store_b128 v[24:25], v[4:7], off
	global_store_b128 v[26:27], v[12:15], off
	;; [unrolled: 1-line block ×4, first 2 shown]
	s_and_b32 exec_lo, exec_lo, s0
	s_cbranch_execz .LBB23_90
; %bb.107:
	v_ashrrev_i32_e32 v1, 31, v0
	v_mov_b32_e32 v10, v3
	s_delay_alu instid0(VALU_DEP_2) | instskip(NEXT) | instid1(VALU_DEP_1)
	v_lshlrev_b64 v[0:1], 3, v[0:1]
	v_add_co_u32 v0, vcc_lo, s30, v0
	s_delay_alu instid0(VALU_DEP_2)
	v_add_co_ci_u32_e32 v1, vcc_lo, s31, v1, vcc_lo
	global_store_b64 v[0:1], v[10:11], off
	s_nop 0
	s_sendmsg sendmsg(MSG_DEALLOC_VGPRS)
	s_endpgm
	.section	.rodata,"a",@progbits
	.p2align	6, 0x0
	.amdhsa_kernel _ZL15flash_attn_tileILi576ELi512ELi2ELi16ELb1EEvPKcS1_S1_S1_S1_PKiPfP15HIP_vector_typeIfLj2EEffffjfiS5_IjLj3EEiiiiiiiiiiiliiliiiiil
		.amdhsa_group_segment_fixed_size 63488
		.amdhsa_private_segment_fixed_size 0
		.amdhsa_kernarg_size 464
		.amdhsa_user_sgpr_count 13
		.amdhsa_user_sgpr_dispatch_ptr 0
		.amdhsa_user_sgpr_queue_ptr 0
		.amdhsa_user_sgpr_kernarg_segment_ptr 1
		.amdhsa_user_sgpr_dispatch_id 0
		.amdhsa_user_sgpr_private_segment_size 0
		.amdhsa_wavefront_size32 1
		.amdhsa_uses_dynamic_stack 0
		.amdhsa_enable_private_segment 0
		.amdhsa_system_sgpr_workgroup_id_x 1
		.amdhsa_system_sgpr_workgroup_id_y 1
		.amdhsa_system_sgpr_workgroup_id_z 1
		.amdhsa_system_sgpr_workgroup_info 0
		.amdhsa_system_vgpr_workitem_id 1
		.amdhsa_next_free_vgpr 209
		.amdhsa_next_free_sgpr 40
		.amdhsa_reserve_vcc 1
		.amdhsa_float_round_mode_32 0
		.amdhsa_float_round_mode_16_64 0
		.amdhsa_float_denorm_mode_32 3
		.amdhsa_float_denorm_mode_16_64 3
		.amdhsa_dx10_clamp 1
		.amdhsa_ieee_mode 1
		.amdhsa_fp16_overflow 0
		.amdhsa_workgroup_processor_mode 1
		.amdhsa_memory_ordered 1
		.amdhsa_forward_progress 0
		.amdhsa_shared_vgpr_count 0
		.amdhsa_exception_fp_ieee_invalid_op 0
		.amdhsa_exception_fp_denorm_src 0
		.amdhsa_exception_fp_ieee_div_zero 0
		.amdhsa_exception_fp_ieee_overflow 0
		.amdhsa_exception_fp_ieee_underflow 0
		.amdhsa_exception_fp_ieee_inexact 0
		.amdhsa_exception_int_div_zero 0
	.end_amdhsa_kernel
	.section	.text._ZL15flash_attn_tileILi576ELi512ELi2ELi16ELb1EEvPKcS1_S1_S1_S1_PKiPfP15HIP_vector_typeIfLj2EEffffjfiS5_IjLj3EEiiiiiiiiiiiliiliiiiil,"axG",@progbits,_ZL15flash_attn_tileILi576ELi512ELi2ELi16ELb1EEvPKcS1_S1_S1_S1_PKiPfP15HIP_vector_typeIfLj2EEffffjfiS5_IjLj3EEiiiiiiiiiiiliiliiiiil,comdat
.Lfunc_end23:
	.size	_ZL15flash_attn_tileILi576ELi512ELi2ELi16ELb1EEvPKcS1_S1_S1_S1_PKiPfP15HIP_vector_typeIfLj2EEffffjfiS5_IjLj3EEiiiiiiiiiiiliiliiiiil, .Lfunc_end23-_ZL15flash_attn_tileILi576ELi512ELi2ELi16ELb1EEvPKcS1_S1_S1_S1_PKiPfP15HIP_vector_typeIfLj2EEffffjfiS5_IjLj3EEiiiiiiiiiiiliiliiiiil
                                        ; -- End function
	.section	.AMDGPU.csdata,"",@progbits
; Kernel info:
; codeLenInByte = 85676
; NumSgprs: 42
; NumVgprs: 209
; ScratchSize: 0
; MemoryBound: 0
; FloatMode: 240
; IeeeMode: 1
; LDSByteSize: 63488 bytes/workgroup (compile time only)
; SGPRBlocks: 5
; VGPRBlocks: 26
; NumSGPRsForWavesPerEU: 42
; NumVGPRsForWavesPerEU: 209
; Occupancy: 4
; WaveLimiterHint : 1
; COMPUTE_PGM_RSRC2:SCRATCH_EN: 0
; COMPUTE_PGM_RSRC2:USER_SGPR: 13
; COMPUTE_PGM_RSRC2:TRAP_HANDLER: 0
; COMPUTE_PGM_RSRC2:TGID_X_EN: 1
; COMPUTE_PGM_RSRC2:TGID_Y_EN: 1
; COMPUTE_PGM_RSRC2:TGID_Z_EN: 1
; COMPUTE_PGM_RSRC2:TIDIG_COMP_CNT: 1
	.section	.text._ZL15flash_attn_tileILi576ELi512ELi1ELi16ELb1EEvPKcS1_S1_S1_S1_PKiPfP15HIP_vector_typeIfLj2EEffffjfiS5_IjLj3EEiiiiiiiiiiiliiliiiiil,"axG",@progbits,_ZL15flash_attn_tileILi576ELi512ELi1ELi16ELb1EEvPKcS1_S1_S1_S1_PKiPfP15HIP_vector_typeIfLj2EEffffjfiS5_IjLj3EEiiiiiiiiiiiliiliiiiil,comdat
	.globl	_ZL15flash_attn_tileILi576ELi512ELi1ELi16ELb1EEvPKcS1_S1_S1_S1_PKiPfP15HIP_vector_typeIfLj2EEffffjfiS5_IjLj3EEiiiiiiiiiiiliiliiiiil ; -- Begin function _ZL15flash_attn_tileILi576ELi512ELi1ELi16ELb1EEvPKcS1_S1_S1_S1_PKiPfP15HIP_vector_typeIfLj2EEffffjfiS5_IjLj3EEiiiiiiiiiiiliiliiiiil
	.p2align	8
	.type	_ZL15flash_attn_tileILi576ELi512ELi1ELi16ELb1EEvPKcS1_S1_S1_S1_PKiPfP15HIP_vector_typeIfLj2EEffffjfiS5_IjLj3EEiiiiiiiiiiiliiliiiiil,@function
_ZL15flash_attn_tileILi576ELi512ELi1ELi16ELb1EEvPKcS1_S1_S1_S1_PKiPfP15HIP_vector_typeIfLj2EEffffjfiS5_IjLj3EEiiiiiiiiiiiliiliiiiil: ; @_ZL15flash_attn_tileILi576ELi512ELi1ELi16ELb1EEvPKcS1_S1_S1_S1_PKiPfP15HIP_vector_typeIfLj2EEffffjfiS5_IjLj3EEiiiiiiiiiiiliiliiiiil
; %bb.0:
	s_clause 0x1
	s_load_b128 s[4:7], s[0:1], 0x5c
	s_load_b64 s[34:35], s[0:1], 0x80
	s_mov_b64 s[36:37], 0
	s_waitcnt lgkmcnt(0)
	s_ashr_i32 s2, s7, 31
	s_delay_alu instid0(SALU_CYCLE_1) | instskip(NEXT) | instid1(SALU_CYCLE_1)
	s_lshr_b32 s2, s2, 28
	s_add_i32 s2, s7, s2
	s_delay_alu instid0(SALU_CYCLE_1) | instskip(NEXT) | instid1(SALU_CYCLE_1)
	s_ashr_i32 s2, s2, 4
	v_cvt_f32_u32_e32 v1, s2
	s_sub_i32 s8, 0, s2
	s_delay_alu instid0(VALU_DEP_1) | instskip(SKIP_2) | instid1(VALU_DEP_1)
	v_rcp_iflag_f32_e32 v1, v1
	s_waitcnt_depctr 0xfff
	v_mul_f32_e32 v1, 0x4f7ffffe, v1
	v_cvt_u32_f32_e32 v1, v1
	s_delay_alu instid0(VALU_DEP_1) | instskip(NEXT) | instid1(VALU_DEP_1)
	v_readfirstlane_b32 s3, v1
	s_mul_i32 s8, s8, s3
	s_delay_alu instid0(SALU_CYCLE_1) | instskip(NEXT) | instid1(SALU_CYCLE_1)
	s_mul_hi_u32 s8, s3, s8
	s_add_i32 s3, s3, s8
	s_delay_alu instid0(SALU_CYCLE_1) | instskip(NEXT) | instid1(SALU_CYCLE_1)
	s_mul_hi_u32 s3, s15, s3
	s_mul_i32 s8, s3, s2
	s_add_i32 s9, s3, 1
	s_sub_i32 s8, s15, s8
	s_delay_alu instid0(SALU_CYCLE_1)
	s_sub_i32 s10, s8, s2
	s_cmp_ge_u32 s8, s2
	s_cselect_b32 s3, s9, s3
	s_cselect_b32 s8, s10, s8
	s_add_i32 s9, s3, 1
	s_cmp_ge_u32 s8, s2
	s_cselect_b32 s12, s9, s3
	s_abs_i32 s2, s35
	s_abs_i32 s11, s7
	v_cvt_f32_u32_e32 v1, s2
	s_sub_i32 s8, 0, s2
	s_lshl_b32 s9, s15, 4
	s_mul_i32 s10, s12, s7
	s_delay_alu instid0(VALU_DEP_1) | instskip(SKIP_3) | instid1(VALU_DEP_1)
	v_rcp_iflag_f32_e32 v1, v1
	s_sub_i32 s15, s9, s10
	s_waitcnt_depctr 0xfff
	v_mul_f32_e32 v1, 0x4f7ffffe, v1
	v_cvt_u32_f32_e32 v1, v1
	s_delay_alu instid0(VALU_DEP_1) | instskip(NEXT) | instid1(VALU_DEP_1)
	v_readfirstlane_b32 s3, v1
	s_mul_i32 s8, s8, s3
	s_delay_alu instid0(SALU_CYCLE_1) | instskip(NEXT) | instid1(SALU_CYCLE_1)
	s_mul_hi_u32 s8, s3, s8
	s_add_i32 s3, s3, s8
	s_xor_b32 s8, s7, s35
	s_mul_hi_u32 s3, s11, s3
	s_ashr_i32 s8, s8, 31
	s_mul_i32 s9, s3, s2
	s_add_i32 s10, s3, 1
	s_sub_i32 s9, s11, s9
	s_delay_alu instid0(SALU_CYCLE_1)
	s_sub_i32 s11, s9, s2
	s_cmp_ge_u32 s9, s2
	s_cselect_b32 s3, s10, s3
	s_cselect_b32 s9, s11, s9
	s_add_i32 s10, s3, 1
	s_cmp_ge_u32 s9, s2
	s_cselect_b32 s2, s10, s3
	s_delay_alu instid0(SALU_CYCLE_1) | instskip(NEXT) | instid1(SALU_CYCLE_1)
	s_xor_b32 s2, s2, s8
	s_sub_i32 s35, s2, s8
	s_clause 0x1
	s_load_b512 s[16:31], s[0:1], 0x0
	s_load_b64 s[2:3], s[0:1], 0xb8
	s_abs_i32 s33, s35
	s_delay_alu instid0(SALU_CYCLE_1) | instskip(NEXT) | instid1(VALU_DEP_1)
	v_cvt_f32_u32_e32 v1, s33
	v_rcp_iflag_f32_e32 v1, v1
	s_waitcnt_depctr 0xfff
	v_mul_f32_e32 v1, 0x4f7ffffe, v1
	s_waitcnt lgkmcnt(0)
	s_cmp_eq_u64 s[22:23], 0
	s_delay_alu instid0(VALU_DEP_1) | instskip(NEXT) | instid1(VALU_DEP_1)
	v_cvt_u32_f32_e32 v1, v1
	v_readfirstlane_b32 s38, v1
	s_cbranch_scc1 .LBB24_2
; %bb.1:
	s_abs_i32 s2, s2
	s_abs_i32 s10, s12
	v_cvt_f32_u32_e32 v1, s2
	s_sub_i32 s9, 0, s2
	s_delay_alu instid0(VALU_DEP_1) | instskip(SKIP_2) | instid1(VALU_DEP_1)
	v_rcp_iflag_f32_e32 v1, v1
	s_waitcnt_depctr 0xfff
	v_mul_f32_e32 v1, 0x4f7ffffe, v1
	v_cvt_u32_f32_e32 v1, v1
	s_delay_alu instid0(VALU_DEP_1) | instskip(NEXT) | instid1(VALU_DEP_1)
	v_readfirstlane_b32 s8, v1
	s_mul_i32 s9, s9, s8
	s_delay_alu instid0(SALU_CYCLE_1) | instskip(NEXT) | instid1(SALU_CYCLE_1)
	s_mul_hi_u32 s9, s8, s9
	s_add_i32 s11, s8, s9
	s_load_b64 s[8:9], s[0:1], 0xc8
	s_mul_hi_u32 s11, s10, s11
	s_delay_alu instid0(SALU_CYCLE_1) | instskip(NEXT) | instid1(SALU_CYCLE_1)
	s_mul_i32 s11, s11, s2
	s_sub_i32 s10, s10, s11
	s_ashr_i32 s11, s12, 31
	s_sub_i32 s36, s10, s2
	s_cmp_ge_u32 s10, s2
	s_cselect_b32 s10, s36, s10
	s_delay_alu instid0(SALU_CYCLE_1) | instskip(SKIP_2) | instid1(SALU_CYCLE_1)
	s_sub_i32 s36, s10, s2
	s_cmp_ge_u32 s10, s2
	s_cselect_b32 s2, s36, s10
	s_xor_b32 s2, s2, s11
	s_delay_alu instid0(SALU_CYCLE_1)
	s_sub_i32 s2, s2, s11
	s_waitcnt lgkmcnt(0)
	s_mul_i32 s9, s2, s9
	s_mul_hi_u32 s10, s2, s8
	s_ashr_i32 s11, s2, 31
	s_add_i32 s9, s10, s9
	s_mul_i32 s11, s11, s8
	s_mul_i32 s2, s2, s8
	s_add_i32 s9, s9, s11
	s_add_u32 s36, s22, s2
	s_addc_u32 s37, s23, s9
.LBB24_2:
	v_bfe_u32 v2, v0, 10, 10
	s_load_b128 s[8:11], s[0:1], 0x70
	v_and_b32_e32 v193, 0x3ff, v0
	s_delay_alu instid0(VALU_DEP_2) | instskip(SKIP_1) | instid1(VALU_DEP_2)
	v_lshrrev_b32_e32 v1, 3, v2
	v_lshlrev_b32_e32 v4, 1, v2
	v_add_nc_u32_e32 v192, s13, v1
	s_delay_alu instid0(VALU_DEP_2) | instskip(NEXT) | instid1(VALU_DEP_2)
	v_and_b32_e32 v202, 14, v4
	v_mul_hi_u32 v1, s4, v192
	s_waitcnt lgkmcnt(0)
	s_mul_i32 s2, s12, s10
	s_mul_i32 s4, s15, s9
	s_delay_alu instid0(VALU_DEP_1) | instskip(NEXT) | instid1(VALU_DEP_1)
	v_add_nc_u32_e32 v1, v192, v1
	v_lshrrev_b32_e32 v1, s5, v1
	s_ashr_i32 s5, s2, 31
	s_add_u32 s2, s16, s2
	s_addc_u32 s5, s17, s5
	s_ashr_i32 s10, s4, 31
	v_mul_lo_u32 v1, v1, s6
	s_add_u32 s2, s2, s4
	s_addc_u32 s4, s5, s10
	s_ashr_i32 s10, s8, 31
	s_ashr_i32 s5, s9, 31
	v_alignbit_b32 v7, s10, s8, 2
	v_alignbit_b32 v9, s5, s9, 2
	s_lshr_b32 s8, s10, 2
	v_sub_nc_u32_e32 v3, v192, v1
	s_delay_alu instid0(VALU_DEP_1) | instskip(NEXT) | instid1(VALU_DEP_3)
	v_mad_u64_u32 v[5:6], null, v7, v3, 0
	v_mad_u64_u32 v[7:8], null, v9, v202, 0
	s_delay_alu instid0(VALU_DEP_2) | instskip(NEXT) | instid1(VALU_DEP_1)
	v_mov_b32_e32 v1, v6
	v_mad_u64_u32 v[9:10], null, s8, v3, v[1:2]
	s_delay_alu instid0(VALU_DEP_3) | instskip(SKIP_1) | instid1(VALU_DEP_2)
	v_mov_b32_e32 v1, v8
	s_lshr_b32 s8, s5, 2
	v_mov_b32_e32 v6, v9
	s_delay_alu instid0(VALU_DEP_2) | instskip(SKIP_1) | instid1(VALU_DEP_2)
	v_mad_u64_u32 v[8:9], null, s8, v202, v[1:2]
	s_load_b32 s8, s[0:1], 0x40
	v_lshlrev_b64 v[0:1], 2, v[5:6]
	v_lshlrev_b32_e32 v5, 4, v193
	s_delay_alu instid0(VALU_DEP_2) | instskip(NEXT) | instid1(VALU_DEP_3)
	v_add_co_u32 v6, vcc_lo, s2, v0
	v_add_co_ci_u32_e32 v9, vcc_lo, s4, v1, vcc_lo
	v_lshlrev_b64 v[0:1], 2, v[7:8]
	s_delay_alu instid0(VALU_DEP_3) | instskip(NEXT) | instid1(VALU_DEP_3)
	v_add_co_u32 v5, vcc_lo, v6, v5
	v_add_co_ci_u32_e32 v6, vcc_lo, 0, v9, vcc_lo
	v_lshlrev_b32_e32 v7, 1, v193
	s_delay_alu instid0(VALU_DEP_3) | instskip(NEXT) | instid1(VALU_DEP_3)
	v_add_co_u32 v0, vcc_lo, v5, v0
	v_add_co_ci_u32_e32 v1, vcc_lo, v6, v1, vcc_lo
	v_mul_u32_u24_e32 v8, 0x240, v2
	v_cmp_gt_u32_e32 vcc_lo, 16, v193
	s_mov_b32 s4, s9
	s_clause 0x3
	global_load_b128 v[9:12], v[0:1], off
	global_load_b128 v[13:16], v[0:1], off offset:512
	global_load_b128 v[17:20], v[0:1], off offset:1024
	;; [unrolled: 1-line block ×3, first 2 shown]
	s_lshr_b64 s[4:5], s[4:5], 2
	v_add_lshl_u32 v8, v8, v7, 2
	s_waitcnt vmcnt(3) lgkmcnt(0)
	v_fma_mixlo_f16 v25, v9, s8, 0
	v_fma_mixlo_f16 v26, v11, s8, 0
	s_waitcnt vmcnt(2)
	v_fma_mixlo_f16 v27, v13, s8, 0
	v_fma_mixlo_f16 v28, v15, s8, 0
	s_waitcnt vmcnt(1)
	;; [unrolled: 3-line block ×3, first 2 shown]
	v_fma_mixlo_f16 v31, v21, s8, 0
	v_fma_mixlo_f16 v32, v23, s8, 0
	v_fma_mixhi_f16 v26, v12, s8, 0
	v_fma_mixhi_f16 v25, v10, s8, 0
	;; [unrolled: 1-line block ×8, first 2 shown]
	ds_store_2addr_b64 v8, v[25:26], v[27:28] offset1:32
	ds_store_2addr_b64 v8, v[29:30], v[31:32] offset0:64 offset1:96
	s_and_saveexec_b32 s2, vcc_lo
	s_cbranch_execz .LBB24_4
; %bb.3:
	global_load_b128 v[9:12], v[0:1], off offset:2048
	s_waitcnt vmcnt(0)
	v_fma_mixlo_f16 v1, v11, s8, 0
	v_fma_mixlo_f16 v0, v9, s8, 0
	s_delay_alu instid0(VALU_DEP_2) | instskip(NEXT) | instid1(VALU_DEP_2)
	v_fma_mixhi_f16 v1, v12, s8, 0
	v_fma_mixhi_f16 v0, v10, s8, 0
	ds_store_b64 v8, v[0:1] offset:1024
.LBB24_4:
	s_or_b32 exec_lo, exec_lo, s2
	v_or_b32_e32 v4, 1, v4
	s_delay_alu instid0(VALU_DEP_1) | instskip(SKIP_1) | instid1(VALU_DEP_2)
	v_and_b32_e32 v10, 15, v4
	v_mul_u32_u24_e32 v4, 0x120, v4
	v_mad_u64_u32 v[0:1], null, s4, v10, 0
	s_delay_alu instid0(VALU_DEP_2) | instskip(NEXT) | instid1(VALU_DEP_2)
	v_add_lshl_u32 v4, v4, v7, 2
	v_mad_u64_u32 v[8:9], null, s5, v10, v[1:2]
	s_delay_alu instid0(VALU_DEP_1) | instskip(NEXT) | instid1(VALU_DEP_1)
	v_mov_b32_e32 v1, v8
	v_lshlrev_b64 v[0:1], 2, v[0:1]
	s_delay_alu instid0(VALU_DEP_1) | instskip(NEXT) | instid1(VALU_DEP_1)
	v_add_co_u32 v0, s2, v5, v0
	v_add_co_ci_u32_e64 v1, s2, v6, v1, s2
	s_clause 0x3
	global_load_b128 v[8:11], v[0:1], off
	global_load_b128 v[12:15], v[0:1], off offset:512
	global_load_b128 v[16:19], v[0:1], off offset:1024
	;; [unrolled: 1-line block ×3, first 2 shown]
	s_waitcnt vmcnt(3)
	v_fma_mixlo_f16 v5, v8, s8, 0
	v_fma_mixlo_f16 v6, v10, s8, 0
	s_waitcnt vmcnt(2)
	v_fma_mixlo_f16 v7, v12, s8, 0
	v_fma_mixlo_f16 v8, v14, s8, 0
	;; [unrolled: 3-line block ×4, first 2 shown]
	v_fma_mixhi_f16 v6, v11, s8, 0
	v_fma_mixhi_f16 v5, v9, s8, 0
	;; [unrolled: 1-line block ×8, first 2 shown]
	ds_store_2addr_b64 v4, v[5:6], v[7:8] offset1:32
	ds_store_2addr_b64 v4, v[24:25], v[26:27] offset0:64 offset1:96
	s_and_saveexec_b32 s2, vcc_lo
	s_cbranch_execz .LBB24_6
; %bb.5:
	global_load_b128 v[5:8], v[0:1], off offset:2048
	s_waitcnt vmcnt(0)
	v_fma_mixlo_f16 v1, v7, s8, 0
	v_fma_mixlo_f16 v0, v5, s8, 0
	s_delay_alu instid0(VALU_DEP_2) | instskip(NEXT) | instid1(VALU_DEP_2)
	v_fma_mixhi_f16 v1, v8, s8, 0
	v_fma_mixhi_f16 v0, v6, s8, 0
	ds_store_b64 v4, v[0:1] offset:1024
.LBB24_6:
	s_or_b32 exec_lo, exec_lo, s2
	s_cmp_eq_u64 s[26:27], 0
	s_waitcnt lgkmcnt(0)
	s_barrier
	buffer_gl0_inv
	s_cbranch_scc1 .LBB24_8
; %bb.7:
	s_load_b32 s2, s[0:1], 0xd0
	s_mov_b32 s5, 0
	s_waitcnt lgkmcnt(0)
	s_mul_i32 s2, s2, s12
	s_delay_alu instid0(SALU_CYCLE_1) | instskip(NEXT) | instid1(SALU_CYCLE_1)
	s_add_i32 s4, s2, s13
	s_lshl_b64 s[4:5], s[4:5], 2
	s_delay_alu instid0(SALU_CYCLE_1)
	s_add_u32 s4, s26, s4
	s_addc_u32 s5, s27, s5
	s_load_b32 s34, s[4:5], 0x0
.LBB24_8:
	v_lshlrev_b32_e32 v201, 2, v193
	v_mbcnt_lo_u32_b32 v203, -1, 0
	s_lshl_b32 s4, s14, 6
	s_waitcnt lgkmcnt(0)
	s_cmp_lt_i32 s4, s34
	s_cbranch_scc1 .LBB24_10
; %bb.9:
	v_mbcnt_lo_u32_b32 v0, -1, 0
	v_mov_b32_e32 v204, 32
	s_mov_b32 s2, 0
	s_mov_b32 s5, 0xfeffffff
	s_delay_alu instid0(VALU_DEP_2)
	v_xor_b32_e32 v222, 16, v0
	v_xor_b32_e32 v218, 8, v0
	;; [unrolled: 1-line block ×5, first 2 shown]
	s_branch .LBB24_11
.LBB24_10:
	s_mov_b32 s2, -1
                                        ; implicit-def: $sgpr5
                                        ; implicit-def: $vgpr0
                                        ; implicit-def: $vgpr204
                                        ; implicit-def: $vgpr222
                                        ; implicit-def: $vgpr218
                                        ; implicit-def: $vgpr219
                                        ; implicit-def: $vgpr220
                                        ; implicit-def: $vgpr221
.LBB24_11:
	s_delay_alu instid0(SALU_CYCLE_1) | instskip(SKIP_2) | instid1(VALU_DEP_3)
	v_cndmask_b32_e64 v1, 0, 1, s2
	v_dual_mov_b32 v200, s5 :: v_dual_mov_b32 v169, s2
	v_dual_mov_b32 v156, s2 :: v_dual_mov_b32 v199, s5
	v_cmp_ne_u32_e32 vcc_lo, 1, v1
	v_dual_mov_b32 v168, s2 :: v_dual_mov_b32 v157, s2
	v_dual_mov_b32 v158, s2 :: v_dual_mov_b32 v159, s2
	;; [unrolled: 1-line block ×8, first 2 shown]
	s_cbranch_vccnz .LBB24_32
; %bb.12:
	s_clause 0x1
	s_load_b128 s[8:11], s[0:1], 0x98
	s_load_b64 s[16:17], s[0:1], 0x8c
	s_sub_i32 s2, 0, s33
	s_abs_i32 s13, s15
	s_mul_i32 s2, s2, s38
	s_ashr_i32 s23, s35, 31
	s_mul_hi_u32 s2, s38, s2
	s_ashr_i32 s35, s12, 31
	s_add_i32 s38, s38, s2
	s_ashr_i32 s22, s15, 31
	s_mul_hi_u32 s27, s13, s38
	s_ashr_i32 s26, s3, 1
	s_load_b64 s[2:3], s[0:1], 0xa8
	s_mul_i32 s38, s27, s33
	v_lshrrev_b32_e32 v0, 3, v193
	v_dual_mov_b32 v145, 0 :: v_dual_and_b32 v8, 28, v201
	v_mov_b32_e32 v147, 0
	v_dual_mov_b32 v160, 0xfeffffff :: v_dual_lshlrev_b32 v9, 2, v201
	s_waitcnt lgkmcnt(0)
	s_ashr_i32 s5, s10, 2
	s_ashr_i32 s10, s16, 2
	s_mul_i32 s9, s12, s9
	s_mul_hi_u32 s16, s12, s8
	s_mul_i32 s39, s35, s8
	s_add_i32 s9, s16, s9
	s_mul_i32 s8, s12, s8
	s_add_i32 s9, s9, s39
	s_add_u32 s16, s18, s8
	s_addc_u32 s18, s19, s9
	s_sub_i32 s13, s13, s38
	s_xor_b32 s9, s22, s23
	s_add_i32 s19, s27, 1
	s_sub_i32 s22, s13, s33
	s_cmp_ge_u32 s13, s33
	v_lshl_add_u32 v1, v2, 2, v0
	v_lshlrev_b32_e32 v4, 2, v8
	s_cselect_b32 s19, s19, s27
	s_cselect_b32 s13, s22, s13
	s_add_i32 s22, s19, 1
	s_cmp_ge_u32 s13, s33
	v_mad_u32_u24 v5, 0x90, v1, v4
	v_mul_lo_u32 v4, s5, v2
	s_cselect_b32 s13, s22, s19
	v_mul_lo_u32 v0, s10, v1
	s_xor_b32 s13, s13, s9
	v_dual_mov_b32 v144, 0 :: v_dual_add_nc_u32 v205, 0x4800, v5
	s_sub_i32 s19, s13, s9
	v_dual_mov_b32 v149, 0 :: v_dual_add_nc_u32 v206, 0x5a00, v5
	s_mul_i32 s9, s19, s17
	v_ashrrev_i32_e32 v5, 31, v4
	s_load_b32 s8, s[0:1], 0x54
	s_mul_i32 s3, s12, s3
	s_mul_hi_u32 s22, s12, s2
	s_ashr_i32 s13, s9, 31
	s_add_u32 s9, s16, s9
	s_mul_i32 s35, s35, s2
	s_addc_u32 s13, s18, s13
	s_add_i32 s3, s22, s3
	s_mul_i32 s2, s12, s2
	v_lshlrev_b64 v[4:5], 2, v[4:5]
	s_add_i32 s3, s3, s35
	s_mul_i32 s19, s19, s11
	s_add_u32 s2, s20, s2
	v_lshl_add_u32 v6, s10, 5, v0
	s_addc_u32 s3, s21, s3
	s_ashr_i32 s11, s19, 31
	s_add_u32 s2, s2, s19
	s_addc_u32 s3, s3, s11
	v_mul_u32_u24_e32 v208, 0x900, v2
	v_lshl_add_u32 v10, v2, 10, v9
	v_lshl_add_u32 v209, v2, 8, 0x6c00
	v_add_co_u32 v2, vcc_lo, s2, v4
	v_ashrrev_i32_e32 v1, 31, v0
	v_ashrrev_i32_e32 v7, 31, v6
	v_mad_u64_u32 v[194:195], null, v3, s26, v[193:194]
	v_add_co_ci_u32_e32 v3, vcc_lo, s3, v5, vcc_lo
	v_add_co_u32 v213, vcc_lo, v2, v9
	v_lshlrev_b64 v[195:196], 2, v[0:1]
	v_lshlrev_b64 v[197:198], 2, v[6:7]
	v_mul_u32_u24_e32 v207, 0x90, v193
	v_dual_mov_b32 v151, 0 :: v_dual_add_nc_u32 v210, 0x4800, v10
	v_dual_mov_b32 v204, 32 :: v_dual_add_nc_u32 v211, 0x4a00, v10
	v_lshl_add_u32 v212, v193, 3, 0x4800
	v_add_co_ci_u32_e32 v214, vcc_lo, 0, v3, vcc_lo
	v_dual_mov_b32 v146, 0 :: v_dual_lshlrev_b32 v215, 2, v8
	v_dual_mov_b32 v148, 0 :: v_dual_mov_b32 v153, 0
	v_dual_mov_b32 v150, 0 :: v_dual_mov_b32 v155, 0
	;; [unrolled: 1-line block ×6, first 2 shown]
	v_mov_b32_e32 v216, 0
	s_add_u32 s2, s0, 0xd0
	s_addc_u32 s3, s1, 0
	s_mov_b32 s11, 0xbbbac73d
.LBB24_13:                              ; =>This Inner Loop Header: Depth=1
	s_mul_hi_i32 s17, s4, s10
	s_mul_i32 s16, s4, s10
	s_delay_alu instid0(SALU_CYCLE_1) | instskip(NEXT) | instid1(SALU_CYCLE_1)
	s_lshl_b64 s[16:17], s[16:17], 2
	s_add_u32 s16, s9, s16
	s_addc_u32 s17, s13, s17
	v_add_co_u32 v0, vcc_lo, s16, v195
	v_add_co_ci_u32_e32 v1, vcc_lo, s17, v196, vcc_lo
	v_add_co_u32 v2, vcc_lo, s16, v197
	v_add_co_ci_u32_e32 v3, vcc_lo, s17, v198, vcc_lo
	s_delay_alu instid0(VALU_DEP_4) | instskip(NEXT) | instid1(VALU_DEP_4)
	v_add_co_u32 v0, vcc_lo, v0, v215
	v_add_co_ci_u32_e32 v1, vcc_lo, 0, v1, vcc_lo
	s_delay_alu instid0(VALU_DEP_4) | instskip(NEXT) | instid1(VALU_DEP_4)
	v_add_co_u32 v2, vcc_lo, v2, v215
	v_add_co_ci_u32_e32 v3, vcc_lo, 0, v3, vcc_lo
	s_clause 0x1
	global_load_b128 v[4:7], v[0:1], off
	global_load_b128 v[8:11], v[2:3], off
	s_waitcnt vmcnt(1)
	ds_store_b128 v205, v[4:7]
	s_waitcnt vmcnt(0)
	ds_store_b128 v206, v[8:11]
	s_waitcnt lgkmcnt(0)
	s_barrier
	buffer_gl0_inv
	ds_load_b128 v[8:11], v207 offset:18432
	ds_load_b128 v[12:15], v208
	ds_load_b128 v[16:19], v208 offset:1152
	ds_load_b128 v[20:23], v207 offset:23040
	v_dual_mov_b32 v6, 0 :: v_dual_mov_b32 v7, 0
	v_dual_mov_b32 v4, 0 :: v_dual_mov_b32 v5, 0
	s_waitcnt lgkmcnt(2)
	;;#ASMSTART
	v_dot2_f32_f16 v6, v8, v12, v6
	;;#ASMEND
	;;#ASMSTART
	v_dot2_f32_f16 v6, v9, v13, v6
	;;#ASMEND
	;;#ASMSTART
	v_dot2_f32_f16 v6, v10, v14, v6
	;;#ASMEND
	;;#ASMSTART
	v_dot2_f32_f16 v6, v11, v15, v6
	;;#ASMEND
	s_waitcnt lgkmcnt(1)
	;;#ASMSTART
	v_dot2_f32_f16 v4, v8, v16, v4
	;;#ASMEND
	;;#ASMSTART
	v_dot2_f32_f16 v4, v9, v17, v4
	;;#ASMEND
	;;#ASMSTART
	v_dot2_f32_f16 v4, v10, v18, v4
	;;#ASMEND
	;;#ASMSTART
	v_dot2_f32_f16 v4, v11, v19, v4
	;;#ASMEND
	s_waitcnt lgkmcnt(0)
	;;#ASMSTART
	v_dot2_f32_f16 v7, v20, v12, v7
	;;#ASMEND
	;;#ASMSTART
	v_dot2_f32_f16 v7, v21, v13, v7
	;;#ASMEND
	;;#ASMSTART
	v_dot2_f32_f16 v7, v22, v14, v7
	;;#ASMEND
	;;#ASMSTART
	v_dot2_f32_f16 v7, v23, v15, v7
	;;#ASMEND
	;;#ASMSTART
	v_dot2_f32_f16 v5, v20, v16, v5
	;;#ASMEND
	;;#ASMSTART
	v_dot2_f32_f16 v5, v21, v17, v5
	;;#ASMEND
	;;#ASMSTART
	v_dot2_f32_f16 v5, v22, v18, v5
	;;#ASMEND
	;;#ASMSTART
	v_dot2_f32_f16 v5, v23, v19, v5
	;;#ASMEND
	ds_load_b128 v[8:11], v207 offset:18448
	ds_load_b128 v[12:15], v208 offset:16
	ds_load_b128 v[16:19], v208 offset:1168
	ds_load_b128 v[20:23], v207 offset:23056
	s_waitcnt lgkmcnt(2)
	;;#ASMSTART
	v_dot2_f32_f16 v6, v8, v12, v6
	;;#ASMEND
	;;#ASMSTART
	v_dot2_f32_f16 v6, v9, v13, v6
	;;#ASMEND
	;;#ASMSTART
	v_dot2_f32_f16 v6, v10, v14, v6
	;;#ASMEND
	;;#ASMSTART
	v_dot2_f32_f16 v6, v11, v15, v6
	;;#ASMEND
	s_waitcnt lgkmcnt(1)
	;;#ASMSTART
	v_dot2_f32_f16 v4, v8, v16, v4
	;;#ASMEND
	;;#ASMSTART
	v_dot2_f32_f16 v4, v9, v17, v4
	;;#ASMEND
	;;#ASMSTART
	v_dot2_f32_f16 v4, v10, v18, v4
	;;#ASMEND
	;;#ASMSTART
	v_dot2_f32_f16 v4, v11, v19, v4
	;;#ASMEND
	s_waitcnt lgkmcnt(0)
	;;#ASMSTART
	v_dot2_f32_f16 v7, v20, v12, v7
	;;#ASMEND
	;;#ASMSTART
	v_dot2_f32_f16 v7, v21, v13, v7
	;;#ASMEND
	;;#ASMSTART
	v_dot2_f32_f16 v7, v22, v14, v7
	;;#ASMEND
	;;#ASMSTART
	v_dot2_f32_f16 v7, v23, v15, v7
	;;#ASMEND
	;;#ASMSTART
	v_dot2_f32_f16 v5, v20, v16, v5
	;;#ASMEND
	;;#ASMSTART
	v_dot2_f32_f16 v5, v21, v17, v5
	;;#ASMEND
	;;#ASMSTART
	v_dot2_f32_f16 v5, v22, v18, v5
	;;#ASMEND
	;;#ASMSTART
	v_dot2_f32_f16 v5, v23, v19, v5
	;;#ASMEND
	ds_load_b128 v[8:11], v207 offset:18464
	ds_load_b128 v[12:15], v208 offset:32
	ds_load_b128 v[16:19], v208 offset:1184
	ds_load_b128 v[20:23], v207 offset:23072
	;; [unrolled: 55-line block ×7, first 2 shown]
	s_waitcnt lgkmcnt(2)
	;;#ASMSTART
	v_dot2_f32_f16 v6, v8, v12, v6
	;;#ASMEND
	;;#ASMSTART
	v_dot2_f32_f16 v6, v9, v13, v6
	;;#ASMEND
	;;#ASMSTART
	v_dot2_f32_f16 v6, v10, v14, v6
	;;#ASMEND
	;;#ASMSTART
	v_dot2_f32_f16 v6, v11, v15, v6
	;;#ASMEND
	s_waitcnt lgkmcnt(1)
	;;#ASMSTART
	v_dot2_f32_f16 v4, v8, v16, v4
	;;#ASMEND
	;;#ASMSTART
	v_dot2_f32_f16 v4, v9, v17, v4
	;;#ASMEND
	;;#ASMSTART
	v_dot2_f32_f16 v4, v10, v18, v4
	;;#ASMEND
	;;#ASMSTART
	v_dot2_f32_f16 v4, v11, v19, v4
	;;#ASMEND
	;; [unrolled: 13-line block ×3, first 2 shown]
	;;#ASMSTART
	v_dot2_f32_f16 v5, v20, v16, v5
	;;#ASMEND
	;;#ASMSTART
	v_dot2_f32_f16 v5, v21, v17, v5
	;;#ASMEND
	;; [unrolled: 3-line block ×4, first 2 shown]
	s_barrier
	buffer_gl0_inv
	s_clause 0x1
	global_load_b128 v[8:11], v[0:1], off offset:128
	global_load_b128 v[12:15], v[2:3], off offset:128
	s_waitcnt vmcnt(1)
	ds_store_b128 v205, v[8:11]
	s_waitcnt vmcnt(0)
	ds_store_b128 v206, v[12:15]
	s_waitcnt lgkmcnt(0)
	s_barrier
	buffer_gl0_inv
	ds_load_b128 v[8:11], v207 offset:18432
	ds_load_b128 v[12:15], v208 offset:128
	ds_load_b128 v[16:19], v208 offset:1280
	ds_load_b128 v[20:23], v207 offset:23040
	s_waitcnt lgkmcnt(2)
	;;#ASMSTART
	v_dot2_f32_f16 v6, v8, v12, v6
	;;#ASMEND
	;;#ASMSTART
	v_dot2_f32_f16 v6, v9, v13, v6
	;;#ASMEND
	;;#ASMSTART
	v_dot2_f32_f16 v6, v10, v14, v6
	;;#ASMEND
	;;#ASMSTART
	v_dot2_f32_f16 v6, v11, v15, v6
	;;#ASMEND
	s_waitcnt lgkmcnt(1)
	;;#ASMSTART
	v_dot2_f32_f16 v4, v8, v16, v4
	;;#ASMEND
	;;#ASMSTART
	v_dot2_f32_f16 v4, v9, v17, v4
	;;#ASMEND
	;;#ASMSTART
	v_dot2_f32_f16 v4, v10, v18, v4
	;;#ASMEND
	;;#ASMSTART
	v_dot2_f32_f16 v4, v11, v19, v4
	;;#ASMEND
	s_waitcnt lgkmcnt(0)
	;;#ASMSTART
	v_dot2_f32_f16 v7, v20, v12, v7
	;;#ASMEND
	;;#ASMSTART
	v_dot2_f32_f16 v7, v21, v13, v7
	;;#ASMEND
	;;#ASMSTART
	v_dot2_f32_f16 v7, v22, v14, v7
	;;#ASMEND
	;;#ASMSTART
	v_dot2_f32_f16 v7, v23, v15, v7
	;;#ASMEND
	;;#ASMSTART
	v_dot2_f32_f16 v5, v20, v16, v5
	;;#ASMEND
	;;#ASMSTART
	v_dot2_f32_f16 v5, v21, v17, v5
	;;#ASMEND
	;;#ASMSTART
	v_dot2_f32_f16 v5, v22, v18, v5
	;;#ASMEND
	;;#ASMSTART
	v_dot2_f32_f16 v5, v23, v19, v5
	;;#ASMEND
	ds_load_b128 v[8:11], v207 offset:18448
	ds_load_b128 v[12:15], v208 offset:144
	ds_load_b128 v[16:19], v208 offset:1296
	ds_load_b128 v[20:23], v207 offset:23056
	s_waitcnt lgkmcnt(2)
	;;#ASMSTART
	v_dot2_f32_f16 v6, v8, v12, v6
	;;#ASMEND
	;;#ASMSTART
	v_dot2_f32_f16 v6, v9, v13, v6
	;;#ASMEND
	;;#ASMSTART
	v_dot2_f32_f16 v6, v10, v14, v6
	;;#ASMEND
	;;#ASMSTART
	v_dot2_f32_f16 v6, v11, v15, v6
	;;#ASMEND
	s_waitcnt lgkmcnt(1)
	;;#ASMSTART
	v_dot2_f32_f16 v4, v8, v16, v4
	;;#ASMEND
	;;#ASMSTART
	v_dot2_f32_f16 v4, v9, v17, v4
	;;#ASMEND
	;;#ASMSTART
	v_dot2_f32_f16 v4, v10, v18, v4
	;;#ASMEND
	;;#ASMSTART
	v_dot2_f32_f16 v4, v11, v19, v4
	;;#ASMEND
	s_waitcnt lgkmcnt(0)
	;;#ASMSTART
	v_dot2_f32_f16 v7, v20, v12, v7
	;;#ASMEND
	;;#ASMSTART
	v_dot2_f32_f16 v7, v21, v13, v7
	;;#ASMEND
	;;#ASMSTART
	v_dot2_f32_f16 v7, v22, v14, v7
	;;#ASMEND
	;;#ASMSTART
	v_dot2_f32_f16 v7, v23, v15, v7
	;;#ASMEND
	;;#ASMSTART
	v_dot2_f32_f16 v5, v20, v16, v5
	;;#ASMEND
	;;#ASMSTART
	v_dot2_f32_f16 v5, v21, v17, v5
	;;#ASMEND
	;;#ASMSTART
	v_dot2_f32_f16 v5, v22, v18, v5
	;;#ASMEND
	;;#ASMSTART
	v_dot2_f32_f16 v5, v23, v19, v5
	;;#ASMEND
	;; [unrolled: 55-line block ×8, first 2 shown]
	s_barrier
	buffer_gl0_inv
	s_clause 0x1
	global_load_b128 v[8:11], v[0:1], off offset:256
	global_load_b128 v[12:15], v[2:3], off offset:256
	s_waitcnt vmcnt(1)
	ds_store_b128 v205, v[8:11]
	s_waitcnt vmcnt(0)
	ds_store_b128 v206, v[12:15]
	s_waitcnt lgkmcnt(0)
	s_barrier
	buffer_gl0_inv
	ds_load_b128 v[8:11], v207 offset:18432
	ds_load_b128 v[12:15], v208 offset:256
	ds_load_b128 v[16:19], v208 offset:1408
	ds_load_b128 v[20:23], v207 offset:23040
	s_waitcnt lgkmcnt(2)
	;;#ASMSTART
	v_dot2_f32_f16 v6, v8, v12, v6
	;;#ASMEND
	;;#ASMSTART
	v_dot2_f32_f16 v6, v9, v13, v6
	;;#ASMEND
	;;#ASMSTART
	v_dot2_f32_f16 v6, v10, v14, v6
	;;#ASMEND
	;;#ASMSTART
	v_dot2_f32_f16 v6, v11, v15, v6
	;;#ASMEND
	s_waitcnt lgkmcnt(1)
	;;#ASMSTART
	v_dot2_f32_f16 v4, v8, v16, v4
	;;#ASMEND
	;;#ASMSTART
	v_dot2_f32_f16 v4, v9, v17, v4
	;;#ASMEND
	;;#ASMSTART
	v_dot2_f32_f16 v4, v10, v18, v4
	;;#ASMEND
	;;#ASMSTART
	v_dot2_f32_f16 v4, v11, v19, v4
	;;#ASMEND
	s_waitcnt lgkmcnt(0)
	;;#ASMSTART
	v_dot2_f32_f16 v7, v20, v12, v7
	;;#ASMEND
	;;#ASMSTART
	v_dot2_f32_f16 v7, v21, v13, v7
	;;#ASMEND
	;;#ASMSTART
	v_dot2_f32_f16 v7, v22, v14, v7
	;;#ASMEND
	;;#ASMSTART
	v_dot2_f32_f16 v7, v23, v15, v7
	;;#ASMEND
	;;#ASMSTART
	v_dot2_f32_f16 v5, v20, v16, v5
	;;#ASMEND
	;;#ASMSTART
	v_dot2_f32_f16 v5, v21, v17, v5
	;;#ASMEND
	;;#ASMSTART
	v_dot2_f32_f16 v5, v22, v18, v5
	;;#ASMEND
	;;#ASMSTART
	v_dot2_f32_f16 v5, v23, v19, v5
	;;#ASMEND
	ds_load_b128 v[8:11], v207 offset:18448
	ds_load_b128 v[12:15], v208 offset:272
	ds_load_b128 v[16:19], v208 offset:1424
	ds_load_b128 v[20:23], v207 offset:23056
	s_waitcnt lgkmcnt(2)
	;;#ASMSTART
	v_dot2_f32_f16 v6, v8, v12, v6
	;;#ASMEND
	;;#ASMSTART
	v_dot2_f32_f16 v6, v9, v13, v6
	;;#ASMEND
	;;#ASMSTART
	v_dot2_f32_f16 v6, v10, v14, v6
	;;#ASMEND
	;;#ASMSTART
	v_dot2_f32_f16 v6, v11, v15, v6
	;;#ASMEND
	s_waitcnt lgkmcnt(1)
	;;#ASMSTART
	v_dot2_f32_f16 v4, v8, v16, v4
	;;#ASMEND
	;;#ASMSTART
	v_dot2_f32_f16 v4, v9, v17, v4
	;;#ASMEND
	;;#ASMSTART
	v_dot2_f32_f16 v4, v10, v18, v4
	;;#ASMEND
	;;#ASMSTART
	v_dot2_f32_f16 v4, v11, v19, v4
	;;#ASMEND
	s_waitcnt lgkmcnt(0)
	;;#ASMSTART
	v_dot2_f32_f16 v7, v20, v12, v7
	;;#ASMEND
	;;#ASMSTART
	v_dot2_f32_f16 v7, v21, v13, v7
	;;#ASMEND
	;;#ASMSTART
	v_dot2_f32_f16 v7, v22, v14, v7
	;;#ASMEND
	;;#ASMSTART
	v_dot2_f32_f16 v7, v23, v15, v7
	;;#ASMEND
	;;#ASMSTART
	v_dot2_f32_f16 v5, v20, v16, v5
	;;#ASMEND
	;;#ASMSTART
	v_dot2_f32_f16 v5, v21, v17, v5
	;;#ASMEND
	;;#ASMSTART
	v_dot2_f32_f16 v5, v22, v18, v5
	;;#ASMEND
	;;#ASMSTART
	v_dot2_f32_f16 v5, v23, v19, v5
	;;#ASMEND
	;; [unrolled: 55-line block ×8, first 2 shown]
	s_barrier
	buffer_gl0_inv
	s_clause 0x1
	global_load_b128 v[8:11], v[0:1], off offset:384
	global_load_b128 v[12:15], v[2:3], off offset:384
	s_waitcnt vmcnt(1)
	ds_store_b128 v205, v[8:11]
	s_waitcnt vmcnt(0)
	ds_store_b128 v206, v[12:15]
	s_waitcnt lgkmcnt(0)
	s_barrier
	buffer_gl0_inv
	ds_load_b128 v[8:11], v207 offset:18432
	ds_load_b128 v[12:15], v208 offset:384
	ds_load_b128 v[16:19], v208 offset:1536
	ds_load_b128 v[20:23], v207 offset:23040
	s_waitcnt lgkmcnt(2)
	;;#ASMSTART
	v_dot2_f32_f16 v6, v8, v12, v6
	;;#ASMEND
	;;#ASMSTART
	v_dot2_f32_f16 v6, v9, v13, v6
	;;#ASMEND
	;;#ASMSTART
	v_dot2_f32_f16 v6, v10, v14, v6
	;;#ASMEND
	;;#ASMSTART
	v_dot2_f32_f16 v6, v11, v15, v6
	;;#ASMEND
	s_waitcnt lgkmcnt(1)
	;;#ASMSTART
	v_dot2_f32_f16 v4, v8, v16, v4
	;;#ASMEND
	;;#ASMSTART
	v_dot2_f32_f16 v4, v9, v17, v4
	;;#ASMEND
	;;#ASMSTART
	v_dot2_f32_f16 v4, v10, v18, v4
	;;#ASMEND
	;;#ASMSTART
	v_dot2_f32_f16 v4, v11, v19, v4
	;;#ASMEND
	s_waitcnt lgkmcnt(0)
	;;#ASMSTART
	v_dot2_f32_f16 v7, v20, v12, v7
	;;#ASMEND
	;;#ASMSTART
	v_dot2_f32_f16 v7, v21, v13, v7
	;;#ASMEND
	;;#ASMSTART
	v_dot2_f32_f16 v7, v22, v14, v7
	;;#ASMEND
	;;#ASMSTART
	v_dot2_f32_f16 v7, v23, v15, v7
	;;#ASMEND
	;;#ASMSTART
	v_dot2_f32_f16 v5, v20, v16, v5
	;;#ASMEND
	;;#ASMSTART
	v_dot2_f32_f16 v5, v21, v17, v5
	;;#ASMEND
	;;#ASMSTART
	v_dot2_f32_f16 v5, v22, v18, v5
	;;#ASMEND
	;;#ASMSTART
	v_dot2_f32_f16 v5, v23, v19, v5
	;;#ASMEND
	ds_load_b128 v[8:11], v207 offset:18448
	ds_load_b128 v[12:15], v208 offset:400
	ds_load_b128 v[16:19], v208 offset:1552
	ds_load_b128 v[20:23], v207 offset:23056
	s_waitcnt lgkmcnt(2)
	;;#ASMSTART
	v_dot2_f32_f16 v6, v8, v12, v6
	;;#ASMEND
	;;#ASMSTART
	v_dot2_f32_f16 v6, v9, v13, v6
	;;#ASMEND
	;;#ASMSTART
	v_dot2_f32_f16 v6, v10, v14, v6
	;;#ASMEND
	;;#ASMSTART
	v_dot2_f32_f16 v6, v11, v15, v6
	;;#ASMEND
	s_waitcnt lgkmcnt(1)
	;;#ASMSTART
	v_dot2_f32_f16 v4, v8, v16, v4
	;;#ASMEND
	;;#ASMSTART
	v_dot2_f32_f16 v4, v9, v17, v4
	;;#ASMEND
	;;#ASMSTART
	v_dot2_f32_f16 v4, v10, v18, v4
	;;#ASMEND
	;;#ASMSTART
	v_dot2_f32_f16 v4, v11, v19, v4
	;;#ASMEND
	s_waitcnt lgkmcnt(0)
	;;#ASMSTART
	v_dot2_f32_f16 v7, v20, v12, v7
	;;#ASMEND
	;;#ASMSTART
	v_dot2_f32_f16 v7, v21, v13, v7
	;;#ASMEND
	;;#ASMSTART
	v_dot2_f32_f16 v7, v22, v14, v7
	;;#ASMEND
	;;#ASMSTART
	v_dot2_f32_f16 v7, v23, v15, v7
	;;#ASMEND
	;;#ASMSTART
	v_dot2_f32_f16 v5, v20, v16, v5
	;;#ASMEND
	;;#ASMSTART
	v_dot2_f32_f16 v5, v21, v17, v5
	;;#ASMEND
	;;#ASMSTART
	v_dot2_f32_f16 v5, v22, v18, v5
	;;#ASMEND
	;;#ASMSTART
	v_dot2_f32_f16 v5, v23, v19, v5
	;;#ASMEND
	;; [unrolled: 55-line block ×8, first 2 shown]
	s_barrier
	buffer_gl0_inv
	s_clause 0x1
	global_load_b128 v[8:11], v[0:1], off offset:512
	global_load_b128 v[12:15], v[2:3], off offset:512
	s_waitcnt vmcnt(1)
	ds_store_b128 v205, v[8:11]
	s_waitcnt vmcnt(0)
	ds_store_b128 v206, v[12:15]
	s_waitcnt lgkmcnt(0)
	s_barrier
	buffer_gl0_inv
	ds_load_b128 v[8:11], v207 offset:18432
	ds_load_b128 v[12:15], v208 offset:512
	ds_load_b128 v[16:19], v208 offset:1664
	ds_load_b128 v[20:23], v207 offset:23040
	s_waitcnt lgkmcnt(2)
	;;#ASMSTART
	v_dot2_f32_f16 v6, v8, v12, v6
	;;#ASMEND
	;;#ASMSTART
	v_dot2_f32_f16 v6, v9, v13, v6
	;;#ASMEND
	;;#ASMSTART
	v_dot2_f32_f16 v6, v10, v14, v6
	;;#ASMEND
	;;#ASMSTART
	v_dot2_f32_f16 v6, v11, v15, v6
	;;#ASMEND
	s_waitcnt lgkmcnt(1)
	;;#ASMSTART
	v_dot2_f32_f16 v4, v8, v16, v4
	;;#ASMEND
	;;#ASMSTART
	v_dot2_f32_f16 v4, v9, v17, v4
	;;#ASMEND
	;;#ASMSTART
	v_dot2_f32_f16 v4, v10, v18, v4
	;;#ASMEND
	;;#ASMSTART
	v_dot2_f32_f16 v4, v11, v19, v4
	;;#ASMEND
	s_waitcnt lgkmcnt(0)
	;;#ASMSTART
	v_dot2_f32_f16 v7, v20, v12, v7
	;;#ASMEND
	;;#ASMSTART
	v_dot2_f32_f16 v7, v21, v13, v7
	;;#ASMEND
	;;#ASMSTART
	v_dot2_f32_f16 v7, v22, v14, v7
	;;#ASMEND
	;;#ASMSTART
	v_dot2_f32_f16 v7, v23, v15, v7
	;;#ASMEND
	;;#ASMSTART
	v_dot2_f32_f16 v5, v20, v16, v5
	;;#ASMEND
	;;#ASMSTART
	v_dot2_f32_f16 v5, v21, v17, v5
	;;#ASMEND
	;;#ASMSTART
	v_dot2_f32_f16 v5, v22, v18, v5
	;;#ASMEND
	;;#ASMSTART
	v_dot2_f32_f16 v5, v23, v19, v5
	;;#ASMEND
	ds_load_b128 v[8:11], v207 offset:18448
	ds_load_b128 v[12:15], v208 offset:528
	ds_load_b128 v[16:19], v208 offset:1680
	ds_load_b128 v[20:23], v207 offset:23056
	s_waitcnt lgkmcnt(2)
	;;#ASMSTART
	v_dot2_f32_f16 v6, v8, v12, v6
	;;#ASMEND
	;;#ASMSTART
	v_dot2_f32_f16 v6, v9, v13, v6
	;;#ASMEND
	;;#ASMSTART
	v_dot2_f32_f16 v6, v10, v14, v6
	;;#ASMEND
	;;#ASMSTART
	v_dot2_f32_f16 v6, v11, v15, v6
	;;#ASMEND
	s_waitcnt lgkmcnt(1)
	;;#ASMSTART
	v_dot2_f32_f16 v4, v8, v16, v4
	;;#ASMEND
	;;#ASMSTART
	v_dot2_f32_f16 v4, v9, v17, v4
	;;#ASMEND
	;;#ASMSTART
	v_dot2_f32_f16 v4, v10, v18, v4
	;;#ASMEND
	;;#ASMSTART
	v_dot2_f32_f16 v4, v11, v19, v4
	;;#ASMEND
	s_waitcnt lgkmcnt(0)
	;;#ASMSTART
	v_dot2_f32_f16 v7, v20, v12, v7
	;;#ASMEND
	;;#ASMSTART
	v_dot2_f32_f16 v7, v21, v13, v7
	;;#ASMEND
	;;#ASMSTART
	v_dot2_f32_f16 v7, v22, v14, v7
	;;#ASMEND
	;;#ASMSTART
	v_dot2_f32_f16 v7, v23, v15, v7
	;;#ASMEND
	;;#ASMSTART
	v_dot2_f32_f16 v5, v20, v16, v5
	;;#ASMEND
	;;#ASMSTART
	v_dot2_f32_f16 v5, v21, v17, v5
	;;#ASMEND
	;;#ASMSTART
	v_dot2_f32_f16 v5, v22, v18, v5
	;;#ASMEND
	;;#ASMSTART
	v_dot2_f32_f16 v5, v23, v19, v5
	;;#ASMEND
	;; [unrolled: 55-line block ×8, first 2 shown]
	s_barrier
	buffer_gl0_inv
	s_clause 0x1
	global_load_b128 v[8:11], v[0:1], off offset:640
	global_load_b128 v[12:15], v[2:3], off offset:640
	s_waitcnt vmcnt(1)
	ds_store_b128 v205, v[8:11]
	s_waitcnt vmcnt(0)
	ds_store_b128 v206, v[12:15]
	s_waitcnt lgkmcnt(0)
	s_barrier
	buffer_gl0_inv
	ds_load_b128 v[8:11], v207 offset:18432
	ds_load_b128 v[12:15], v208 offset:640
	ds_load_b128 v[16:19], v208 offset:1792
	ds_load_b128 v[20:23], v207 offset:23040
	s_waitcnt lgkmcnt(2)
	;;#ASMSTART
	v_dot2_f32_f16 v6, v8, v12, v6
	;;#ASMEND
	;;#ASMSTART
	v_dot2_f32_f16 v6, v9, v13, v6
	;;#ASMEND
	;;#ASMSTART
	v_dot2_f32_f16 v6, v10, v14, v6
	;;#ASMEND
	;;#ASMSTART
	v_dot2_f32_f16 v6, v11, v15, v6
	;;#ASMEND
	s_waitcnt lgkmcnt(1)
	;;#ASMSTART
	v_dot2_f32_f16 v4, v8, v16, v4
	;;#ASMEND
	;;#ASMSTART
	v_dot2_f32_f16 v4, v9, v17, v4
	;;#ASMEND
	;;#ASMSTART
	v_dot2_f32_f16 v4, v10, v18, v4
	;;#ASMEND
	;;#ASMSTART
	v_dot2_f32_f16 v4, v11, v19, v4
	;;#ASMEND
	s_waitcnt lgkmcnt(0)
	;;#ASMSTART
	v_dot2_f32_f16 v7, v20, v12, v7
	;;#ASMEND
	;;#ASMSTART
	v_dot2_f32_f16 v7, v21, v13, v7
	;;#ASMEND
	;;#ASMSTART
	v_dot2_f32_f16 v7, v22, v14, v7
	;;#ASMEND
	;;#ASMSTART
	v_dot2_f32_f16 v7, v23, v15, v7
	;;#ASMEND
	;;#ASMSTART
	v_dot2_f32_f16 v5, v20, v16, v5
	;;#ASMEND
	;;#ASMSTART
	v_dot2_f32_f16 v5, v21, v17, v5
	;;#ASMEND
	;;#ASMSTART
	v_dot2_f32_f16 v5, v22, v18, v5
	;;#ASMEND
	;;#ASMSTART
	v_dot2_f32_f16 v5, v23, v19, v5
	;;#ASMEND
	ds_load_b128 v[8:11], v207 offset:18448
	ds_load_b128 v[12:15], v208 offset:656
	ds_load_b128 v[16:19], v208 offset:1808
	ds_load_b128 v[20:23], v207 offset:23056
	s_waitcnt lgkmcnt(2)
	;;#ASMSTART
	v_dot2_f32_f16 v6, v8, v12, v6
	;;#ASMEND
	;;#ASMSTART
	v_dot2_f32_f16 v6, v9, v13, v6
	;;#ASMEND
	;;#ASMSTART
	v_dot2_f32_f16 v6, v10, v14, v6
	;;#ASMEND
	;;#ASMSTART
	v_dot2_f32_f16 v6, v11, v15, v6
	;;#ASMEND
	s_waitcnt lgkmcnt(1)
	;;#ASMSTART
	v_dot2_f32_f16 v4, v8, v16, v4
	;;#ASMEND
	;;#ASMSTART
	v_dot2_f32_f16 v4, v9, v17, v4
	;;#ASMEND
	;;#ASMSTART
	v_dot2_f32_f16 v4, v10, v18, v4
	;;#ASMEND
	;;#ASMSTART
	v_dot2_f32_f16 v4, v11, v19, v4
	;;#ASMEND
	s_waitcnt lgkmcnt(0)
	;;#ASMSTART
	v_dot2_f32_f16 v7, v20, v12, v7
	;;#ASMEND
	;;#ASMSTART
	v_dot2_f32_f16 v7, v21, v13, v7
	;;#ASMEND
	;;#ASMSTART
	v_dot2_f32_f16 v7, v22, v14, v7
	;;#ASMEND
	;;#ASMSTART
	v_dot2_f32_f16 v7, v23, v15, v7
	;;#ASMEND
	;;#ASMSTART
	v_dot2_f32_f16 v5, v20, v16, v5
	;;#ASMEND
	;;#ASMSTART
	v_dot2_f32_f16 v5, v21, v17, v5
	;;#ASMEND
	;;#ASMSTART
	v_dot2_f32_f16 v5, v22, v18, v5
	;;#ASMEND
	;;#ASMSTART
	v_dot2_f32_f16 v5, v23, v19, v5
	;;#ASMEND
	;; [unrolled: 55-line block ×8, first 2 shown]
	s_barrier
	buffer_gl0_inv
	s_clause 0x1
	global_load_b128 v[8:11], v[0:1], off offset:768
	global_load_b128 v[12:15], v[2:3], off offset:768
	s_waitcnt vmcnt(1)
	ds_store_b128 v205, v[8:11]
	s_waitcnt vmcnt(0)
	ds_store_b128 v206, v[12:15]
	s_waitcnt lgkmcnt(0)
	s_barrier
	buffer_gl0_inv
	ds_load_b128 v[8:11], v207 offset:18432
	ds_load_b128 v[12:15], v208 offset:768
	ds_load_b128 v[16:19], v208 offset:1920
	ds_load_b128 v[20:23], v207 offset:23040
	s_waitcnt lgkmcnt(2)
	;;#ASMSTART
	v_dot2_f32_f16 v6, v8, v12, v6
	;;#ASMEND
	;;#ASMSTART
	v_dot2_f32_f16 v6, v9, v13, v6
	;;#ASMEND
	;;#ASMSTART
	v_dot2_f32_f16 v6, v10, v14, v6
	;;#ASMEND
	;;#ASMSTART
	v_dot2_f32_f16 v6, v11, v15, v6
	;;#ASMEND
	s_waitcnt lgkmcnt(1)
	;;#ASMSTART
	v_dot2_f32_f16 v4, v8, v16, v4
	;;#ASMEND
	;;#ASMSTART
	v_dot2_f32_f16 v4, v9, v17, v4
	;;#ASMEND
	;;#ASMSTART
	v_dot2_f32_f16 v4, v10, v18, v4
	;;#ASMEND
	;;#ASMSTART
	v_dot2_f32_f16 v4, v11, v19, v4
	;;#ASMEND
	s_waitcnt lgkmcnt(0)
	;;#ASMSTART
	v_dot2_f32_f16 v7, v20, v12, v7
	;;#ASMEND
	;;#ASMSTART
	v_dot2_f32_f16 v7, v21, v13, v7
	;;#ASMEND
	;;#ASMSTART
	v_dot2_f32_f16 v7, v22, v14, v7
	;;#ASMEND
	;;#ASMSTART
	v_dot2_f32_f16 v7, v23, v15, v7
	;;#ASMEND
	;;#ASMSTART
	v_dot2_f32_f16 v5, v20, v16, v5
	;;#ASMEND
	;;#ASMSTART
	v_dot2_f32_f16 v5, v21, v17, v5
	;;#ASMEND
	;;#ASMSTART
	v_dot2_f32_f16 v5, v22, v18, v5
	;;#ASMEND
	;;#ASMSTART
	v_dot2_f32_f16 v5, v23, v19, v5
	;;#ASMEND
	ds_load_b128 v[8:11], v207 offset:18448
	ds_load_b128 v[12:15], v208 offset:784
	ds_load_b128 v[16:19], v208 offset:1936
	ds_load_b128 v[20:23], v207 offset:23056
	s_waitcnt lgkmcnt(2)
	;;#ASMSTART
	v_dot2_f32_f16 v6, v8, v12, v6
	;;#ASMEND
	;;#ASMSTART
	v_dot2_f32_f16 v6, v9, v13, v6
	;;#ASMEND
	;;#ASMSTART
	v_dot2_f32_f16 v6, v10, v14, v6
	;;#ASMEND
	;;#ASMSTART
	v_dot2_f32_f16 v6, v11, v15, v6
	;;#ASMEND
	s_waitcnt lgkmcnt(1)
	;;#ASMSTART
	v_dot2_f32_f16 v4, v8, v16, v4
	;;#ASMEND
	;;#ASMSTART
	v_dot2_f32_f16 v4, v9, v17, v4
	;;#ASMEND
	;;#ASMSTART
	v_dot2_f32_f16 v4, v10, v18, v4
	;;#ASMEND
	;;#ASMSTART
	v_dot2_f32_f16 v4, v11, v19, v4
	;;#ASMEND
	s_waitcnt lgkmcnt(0)
	;;#ASMSTART
	v_dot2_f32_f16 v7, v20, v12, v7
	;;#ASMEND
	;;#ASMSTART
	v_dot2_f32_f16 v7, v21, v13, v7
	;;#ASMEND
	;;#ASMSTART
	v_dot2_f32_f16 v7, v22, v14, v7
	;;#ASMEND
	;;#ASMSTART
	v_dot2_f32_f16 v7, v23, v15, v7
	;;#ASMEND
	;;#ASMSTART
	v_dot2_f32_f16 v5, v20, v16, v5
	;;#ASMEND
	;;#ASMSTART
	v_dot2_f32_f16 v5, v21, v17, v5
	;;#ASMEND
	;;#ASMSTART
	v_dot2_f32_f16 v5, v22, v18, v5
	;;#ASMEND
	;;#ASMSTART
	v_dot2_f32_f16 v5, v23, v19, v5
	;;#ASMEND
	;; [unrolled: 55-line block ×8, first 2 shown]
	s_barrier
	buffer_gl0_inv
	s_clause 0x1
	global_load_b128 v[8:11], v[0:1], off offset:896
	global_load_b128 v[12:15], v[2:3], off offset:896
	s_waitcnt vmcnt(1)
	ds_store_b128 v205, v[8:11]
	s_waitcnt vmcnt(0)
	ds_store_b128 v206, v[12:15]
	s_waitcnt lgkmcnt(0)
	s_barrier
	buffer_gl0_inv
	ds_load_b128 v[8:11], v207 offset:18432
	ds_load_b128 v[12:15], v208 offset:896
	ds_load_b128 v[16:19], v208 offset:2048
	ds_load_b128 v[20:23], v207 offset:23040
	s_waitcnt lgkmcnt(2)
	;;#ASMSTART
	v_dot2_f32_f16 v6, v8, v12, v6
	;;#ASMEND
	;;#ASMSTART
	v_dot2_f32_f16 v6, v9, v13, v6
	;;#ASMEND
	;;#ASMSTART
	v_dot2_f32_f16 v6, v10, v14, v6
	;;#ASMEND
	;;#ASMSTART
	v_dot2_f32_f16 v6, v11, v15, v6
	;;#ASMEND
	s_waitcnt lgkmcnt(1)
	;;#ASMSTART
	v_dot2_f32_f16 v4, v8, v16, v4
	;;#ASMEND
	;;#ASMSTART
	v_dot2_f32_f16 v4, v9, v17, v4
	;;#ASMEND
	;;#ASMSTART
	v_dot2_f32_f16 v4, v10, v18, v4
	;;#ASMEND
	;;#ASMSTART
	v_dot2_f32_f16 v4, v11, v19, v4
	;;#ASMEND
	s_waitcnt lgkmcnt(0)
	;;#ASMSTART
	v_dot2_f32_f16 v7, v20, v12, v7
	;;#ASMEND
	;;#ASMSTART
	v_dot2_f32_f16 v7, v21, v13, v7
	;;#ASMEND
	;;#ASMSTART
	v_dot2_f32_f16 v7, v22, v14, v7
	;;#ASMEND
	;;#ASMSTART
	v_dot2_f32_f16 v7, v23, v15, v7
	;;#ASMEND
	;;#ASMSTART
	v_dot2_f32_f16 v5, v20, v16, v5
	;;#ASMEND
	;;#ASMSTART
	v_dot2_f32_f16 v5, v21, v17, v5
	;;#ASMEND
	;;#ASMSTART
	v_dot2_f32_f16 v5, v22, v18, v5
	;;#ASMEND
	;;#ASMSTART
	v_dot2_f32_f16 v5, v23, v19, v5
	;;#ASMEND
	ds_load_b128 v[8:11], v207 offset:18448
	ds_load_b128 v[12:15], v208 offset:912
	ds_load_b128 v[16:19], v208 offset:2064
	ds_load_b128 v[20:23], v207 offset:23056
	s_waitcnt lgkmcnt(2)
	;;#ASMSTART
	v_dot2_f32_f16 v6, v8, v12, v6
	;;#ASMEND
	;;#ASMSTART
	v_dot2_f32_f16 v6, v9, v13, v6
	;;#ASMEND
	;;#ASMSTART
	v_dot2_f32_f16 v6, v10, v14, v6
	;;#ASMEND
	;;#ASMSTART
	v_dot2_f32_f16 v6, v11, v15, v6
	;;#ASMEND
	s_waitcnt lgkmcnt(1)
	;;#ASMSTART
	v_dot2_f32_f16 v4, v8, v16, v4
	;;#ASMEND
	;;#ASMSTART
	v_dot2_f32_f16 v4, v9, v17, v4
	;;#ASMEND
	;;#ASMSTART
	v_dot2_f32_f16 v4, v10, v18, v4
	;;#ASMEND
	;;#ASMSTART
	v_dot2_f32_f16 v4, v11, v19, v4
	;;#ASMEND
	s_waitcnt lgkmcnt(0)
	;;#ASMSTART
	v_dot2_f32_f16 v7, v20, v12, v7
	;;#ASMEND
	;;#ASMSTART
	v_dot2_f32_f16 v7, v21, v13, v7
	;;#ASMEND
	;;#ASMSTART
	v_dot2_f32_f16 v7, v22, v14, v7
	;;#ASMEND
	;;#ASMSTART
	v_dot2_f32_f16 v7, v23, v15, v7
	;;#ASMEND
	;;#ASMSTART
	v_dot2_f32_f16 v5, v20, v16, v5
	;;#ASMEND
	;;#ASMSTART
	v_dot2_f32_f16 v5, v21, v17, v5
	;;#ASMEND
	;;#ASMSTART
	v_dot2_f32_f16 v5, v22, v18, v5
	;;#ASMEND
	;;#ASMSTART
	v_dot2_f32_f16 v5, v23, v19, v5
	;;#ASMEND
	;; [unrolled: 55-line block ×8, first 2 shown]
	s_barrier
	buffer_gl0_inv
	s_clause 0x1
	global_load_b128 v[8:11], v[0:1], off offset:1024
	global_load_b128 v[0:3], v[2:3], off offset:1024
	s_waitcnt vmcnt(1)
	ds_store_b128 v205, v[8:11]
	s_waitcnt vmcnt(0)
	ds_store_b128 v206, v[0:3]
	s_waitcnt lgkmcnt(0)
	s_barrier
	buffer_gl0_inv
	ds_load_b128 v[0:3], v207 offset:18432
	ds_load_b128 v[8:11], v208 offset:1024
	ds_load_b128 v[12:15], v208 offset:2176
	ds_load_b128 v[16:19], v207 offset:23040
	s_waitcnt lgkmcnt(2)
	;;#ASMSTART
	v_dot2_f32_f16 v6, v0, v8, v6
	;;#ASMEND
	;;#ASMSTART
	v_dot2_f32_f16 v6, v1, v9, v6
	;;#ASMEND
	;;#ASMSTART
	v_dot2_f32_f16 v6, v2, v10, v6
	;;#ASMEND
	;;#ASMSTART
	v_dot2_f32_f16 v6, v3, v11, v6
	;;#ASMEND
	s_waitcnt lgkmcnt(1)
	;;#ASMSTART
	v_dot2_f32_f16 v4, v0, v12, v4
	;;#ASMEND
	;;#ASMSTART
	v_dot2_f32_f16 v4, v1, v13, v4
	;;#ASMEND
	;;#ASMSTART
	v_dot2_f32_f16 v4, v2, v14, v4
	;;#ASMEND
	;;#ASMSTART
	v_dot2_f32_f16 v4, v3, v15, v4
	;;#ASMEND
	s_waitcnt lgkmcnt(0)
	;;#ASMSTART
	v_dot2_f32_f16 v7, v16, v8, v7
	;;#ASMEND
	;;#ASMSTART
	v_dot2_f32_f16 v7, v17, v9, v7
	;;#ASMEND
	;;#ASMSTART
	v_dot2_f32_f16 v7, v18, v10, v7
	;;#ASMEND
	;;#ASMSTART
	v_dot2_f32_f16 v7, v19, v11, v7
	;;#ASMEND
	;;#ASMSTART
	v_dot2_f32_f16 v5, v16, v12, v5
	;;#ASMEND
	;;#ASMSTART
	v_dot2_f32_f16 v5, v17, v13, v5
	;;#ASMEND
	;;#ASMSTART
	v_dot2_f32_f16 v5, v18, v14, v5
	;;#ASMEND
	;;#ASMSTART
	v_dot2_f32_f16 v5, v19, v15, v5
	;;#ASMEND
	ds_load_b128 v[0:3], v207 offset:18448
	ds_load_b128 v[8:11], v208 offset:1040
	ds_load_b128 v[12:15], v208 offset:2192
	ds_load_b128 v[16:19], v207 offset:23056
	s_waitcnt lgkmcnt(2)
	;;#ASMSTART
	v_dot2_f32_f16 v6, v0, v8, v6
	;;#ASMEND
	;;#ASMSTART
	v_dot2_f32_f16 v6, v1, v9, v6
	;;#ASMEND
	;;#ASMSTART
	v_dot2_f32_f16 v6, v2, v10, v6
	;;#ASMEND
	;;#ASMSTART
	v_dot2_f32_f16 v6, v3, v11, v6
	;;#ASMEND
	s_waitcnt lgkmcnt(1)
	;;#ASMSTART
	v_dot2_f32_f16 v4, v0, v12, v4
	;;#ASMEND
	;;#ASMSTART
	v_dot2_f32_f16 v4, v1, v13, v4
	;;#ASMEND
	;;#ASMSTART
	v_dot2_f32_f16 v4, v2, v14, v4
	;;#ASMEND
	;;#ASMSTART
	v_dot2_f32_f16 v4, v3, v15, v4
	;;#ASMEND
	s_waitcnt lgkmcnt(0)
	;;#ASMSTART
	v_dot2_f32_f16 v7, v16, v8, v7
	;;#ASMEND
	;;#ASMSTART
	v_dot2_f32_f16 v7, v17, v9, v7
	;;#ASMEND
	;;#ASMSTART
	v_dot2_f32_f16 v7, v18, v10, v7
	;;#ASMEND
	;;#ASMSTART
	v_dot2_f32_f16 v7, v19, v11, v7
	;;#ASMEND
	;;#ASMSTART
	v_dot2_f32_f16 v5, v16, v12, v5
	;;#ASMEND
	;;#ASMSTART
	v_dot2_f32_f16 v5, v17, v13, v5
	;;#ASMEND
	;;#ASMSTART
	v_dot2_f32_f16 v5, v18, v14, v5
	;;#ASMEND
	;;#ASMSTART
	v_dot2_f32_f16 v5, v19, v15, v5
	;;#ASMEND
	;; [unrolled: 55-line block ×7, first 2 shown]
	ds_load_b128 v[0:3], v207 offset:18544
	ds_load_b128 v[8:11], v208 offset:1136
	;; [unrolled: 1-line block ×4, first 2 shown]
	s_waitcnt lgkmcnt(2)
	;;#ASMSTART
	v_dot2_f32_f16 v6, v0, v8, v6
	;;#ASMEND
	;;#ASMSTART
	v_dot2_f32_f16 v6, v1, v9, v6
	;;#ASMEND
	;; [unrolled: 3-line block ×4, first 2 shown]
	s_waitcnt lgkmcnt(1)
	;;#ASMSTART
	v_dot2_f32_f16 v4, v0, v12, v4
	;;#ASMEND
	;;#ASMSTART
	v_dot2_f32_f16 v4, v1, v13, v4
	;;#ASMEND
	;; [unrolled: 3-line block ×4, first 2 shown]
	s_waitcnt lgkmcnt(0)
	;;#ASMSTART
	v_dot2_f32_f16 v7, v16, v8, v7
	;;#ASMEND
	v_cmp_ngt_f32_e64 s16, 0x3f200000, |v6|
	;;#ASMSTART
	v_dot2_f32_f16 v7, v17, v9, v7
	;;#ASMEND
	;;#ASMSTART
	v_dot2_f32_f16 v7, v18, v10, v7
	;;#ASMEND
	;; [unrolled: 3-line block ×7, first 2 shown]
                                        ; implicit-def: $vgpr8
	s_and_saveexec_b32 s17, s16
	s_delay_alu instid0(SALU_CYCLE_1)
	s_xor_b32 s16, exec_lo, s17
	s_cbranch_execz .LBB24_15
; %bb.14:                               ;   in Loop: Header=BB24_13 Depth=1
	v_add_f32_e64 v0, |v6|, |v6|
	s_delay_alu instid0(VALU_DEP_1) | instskip(SKIP_1) | instid1(VALU_DEP_2)
	v_mul_f32_e32 v1, 0x3fb8aa3b, v0
	v_cmp_ngt_f32_e32 vcc_lo, 0xc2ce8ed0, v0
	v_rndne_f32_e32 v2, v1
	v_fma_f32 v3, 0x3fb8aa3b, v0, -v1
	s_delay_alu instid0(VALU_DEP_2) | instskip(NEXT) | instid1(VALU_DEP_2)
	v_sub_f32_e32 v1, v1, v2
	v_fmac_f32_e32 v3, 0x32a5705f, v0
	v_cvt_i32_f32_e32 v2, v2
	s_delay_alu instid0(VALU_DEP_2) | instskip(NEXT) | instid1(VALU_DEP_1)
	v_add_f32_e32 v1, v1, v3
	v_exp_f32_e32 v1, v1
	s_waitcnt_depctr 0xfff
	v_ldexp_f32 v1, v1, v2
	s_delay_alu instid0(VALU_DEP_1) | instskip(SKIP_1) | instid1(VALU_DEP_2)
	v_cndmask_b32_e32 v1, 0, v1, vcc_lo
	v_cmp_nlt_f32_e32 vcc_lo, 0x42b17218, v0
	v_cndmask_b32_e32 v0, 0x7f800000, v1, vcc_lo
	s_delay_alu instid0(VALU_DEP_1) | instskip(NEXT) | instid1(VALU_DEP_1)
	v_add_f32_e32 v0, 1.0, v0
	v_rcp_f32_e32 v0, v0
	s_waitcnt_depctr 0xfff
	v_fma_f32 v8, v0, -2.0, 1.0
.LBB24_15:                              ;   in Loop: Header=BB24_13 Depth=1
	s_and_not1_saveexec_b32 s16, s16
; %bb.16:                               ;   in Loop: Header=BB24_13 Depth=1
	v_mul_f32_e32 v0, v6, v6
	s_delay_alu instid0(VALU_DEP_1) | instskip(NEXT) | instid1(VALU_DEP_1)
	v_fmaak_f32 v1, s11, v0, 0x3ca908c9
	v_fmaak_f32 v1, v0, v1, 0xbd5c1c4e
	s_delay_alu instid0(VALU_DEP_1) | instskip(NEXT) | instid1(VALU_DEP_1)
	v_fmaak_f32 v1, v0, v1, 0x3e088382
	v_fmaak_f32 v1, v0, v1, 0xbeaaaa99
	s_delay_alu instid0(VALU_DEP_1) | instskip(NEXT) | instid1(VALU_DEP_1)
	v_mul_f32_e64 v1, |v6|, v1
	v_fma_f32 v8, v0, v1, |v6|
; %bb.17:                               ;   in Loop: Header=BB24_13 Depth=1
	s_or_b32 exec_lo, exec_lo, s16
	v_add_nc_u32_e32 v0, s4, v194
	v_cmp_ngt_f32_e64 s16, 0x3f200000, |v7|
                                        ; implicit-def: $vgpr9
	s_delay_alu instid0(VALU_DEP_2) | instskip(NEXT) | instid1(VALU_DEP_1)
	v_ashrrev_i32_e32 v1, 31, v0
	v_lshlrev_b64 v[0:1], 1, v[0:1]
	s_delay_alu instid0(VALU_DEP_1) | instskip(NEXT) | instid1(VALU_DEP_2)
	v_add_co_u32 v0, vcc_lo, s36, v0
	v_add_co_ci_u32_e32 v1, vcc_lo, s37, v1, vcc_lo
	flat_load_u16 v2, v[0:1]
	s_and_saveexec_b32 s17, s16
	s_delay_alu instid0(SALU_CYCLE_1)
	s_xor_b32 s16, exec_lo, s17
	s_cbranch_execz .LBB24_19
; %bb.18:                               ;   in Loop: Header=BB24_13 Depth=1
	v_add_f32_e64 v3, |v7|, |v7|
	s_delay_alu instid0(VALU_DEP_1) | instskip(SKIP_1) | instid1(VALU_DEP_2)
	v_mul_f32_e32 v9, 0x3fb8aa3b, v3
	v_cmp_ngt_f32_e32 vcc_lo, 0xc2ce8ed0, v3
	v_rndne_f32_e32 v10, v9
	v_fma_f32 v11, 0x3fb8aa3b, v3, -v9
	s_delay_alu instid0(VALU_DEP_2) | instskip(NEXT) | instid1(VALU_DEP_2)
	v_sub_f32_e32 v9, v9, v10
	v_fmac_f32_e32 v11, 0x32a5705f, v3
	v_cvt_i32_f32_e32 v10, v10
	s_delay_alu instid0(VALU_DEP_2) | instskip(NEXT) | instid1(VALU_DEP_1)
	v_add_f32_e32 v9, v9, v11
	v_exp_f32_e32 v9, v9
	s_waitcnt_depctr 0xfff
	v_ldexp_f32 v9, v9, v10
	s_delay_alu instid0(VALU_DEP_1) | instskip(SKIP_1) | instid1(VALU_DEP_2)
	v_cndmask_b32_e32 v9, 0, v9, vcc_lo
	v_cmp_nlt_f32_e32 vcc_lo, 0x42b17218, v3
	v_cndmask_b32_e32 v3, 0x7f800000, v9, vcc_lo
	s_delay_alu instid0(VALU_DEP_1) | instskip(NEXT) | instid1(VALU_DEP_1)
	v_add_f32_e32 v3, 1.0, v3
	v_rcp_f32_e32 v3, v3
	s_waitcnt_depctr 0xfff
	v_fma_f32 v9, v3, -2.0, 1.0
.LBB24_19:                              ;   in Loop: Header=BB24_13 Depth=1
	s_and_not1_saveexec_b32 s16, s16
; %bb.20:                               ;   in Loop: Header=BB24_13 Depth=1
	v_mul_f32_e32 v3, v7, v7
	s_delay_alu instid0(VALU_DEP_1) | instskip(NEXT) | instid1(VALU_DEP_1)
	v_fmaak_f32 v9, s11, v3, 0x3ca908c9
	v_fmaak_f32 v9, v3, v9, 0xbd5c1c4e
	s_delay_alu instid0(VALU_DEP_1) | instskip(NEXT) | instid1(VALU_DEP_1)
	v_fmaak_f32 v9, v3, v9, 0x3e088382
	v_fmaak_f32 v9, v3, v9, 0xbeaaaa99
	s_delay_alu instid0(VALU_DEP_1) | instskip(NEXT) | instid1(VALU_DEP_1)
	v_mul_f32_e64 v9, |v7|, v9
	v_fma_f32 v9, v3, v9, |v7|
; %bb.21:                               ;   in Loop: Header=BB24_13 Depth=1
	s_or_b32 exec_lo, exec_lo, s16
	flat_load_u16 v3, v[0:1] offset:64
	v_bfi_b32 v0, 0x7fffffff, v8, v6
	v_bfi_b32 v1, 0x7fffffff, v9, v7
	v_xor_b32_e32 v222, 16, v203
	v_xor_b32_e32 v218, 8, v203
	;; [unrolled: 1-line block ×3, first 2 shown]
	s_waitcnt vmcnt(1) lgkmcnt(1)
	v_fma_mix_f32 v0, v0, s8, v2 op_sel_hi:[0,0,1]
	v_xor_b32_e32 v220, 2, v203
	v_cmp_gt_i32_e32 vcc_lo, 32, v222
	v_xor_b32_e32 v221, 1, v203
	v_cmp_ngt_f32_e64 s16, 0x3f200000, |v4|
	v_dual_add_f32 v7, 0x40051340, v0 :: v_dual_cndmask_b32 v6, v203, v222
	v_cmp_gt_i32_e32 vcc_lo, 32, v218
	s_delay_alu instid0(VALU_DEP_2) | instskip(SKIP_4) | instid1(VALU_DEP_1)
	v_lshlrev_b32_e32 v6, 2, v6
	v_cndmask_b32_e32 v9, v203, v218, vcc_lo
	v_cmp_gt_i32_e32 vcc_lo, 32, v219
	s_waitcnt vmcnt(0) lgkmcnt(0)
	v_fma_mix_f32 v1, v1, s8, v3 op_sel_hi:[0,0,1]
	v_add_f32_e32 v8, 0x40051340, v1
	s_delay_alu instid0(VALU_DEP_1) | instskip(SKIP_3) | instid1(VALU_DEP_1)
	v_max3_f32 v8, v160, v7, v8
	ds_bpermute_b32 v7, v6, v8
	s_waitcnt lgkmcnt(0)
	v_dual_max_f32 v10, v7, v7 :: v_dual_lshlrev_b32 v7, 2, v9
	v_dual_max_f32 v9, v8, v10 :: v_dual_cndmask_b32 v10, v203, v219
	v_cmp_gt_i32_e32 vcc_lo, 32, v220
	ds_bpermute_b32 v8, v7, v9
	s_waitcnt lgkmcnt(0)
	v_dual_max_f32 v11, v8, v8 :: v_dual_lshlrev_b32 v8, 2, v10
	s_delay_alu instid0(VALU_DEP_1) | instskip(SKIP_4) | instid1(VALU_DEP_1)
	v_dual_max_f32 v10, v9, v11 :: v_dual_cndmask_b32 v11, v203, v220
	v_cmp_gt_i32_e32 vcc_lo, 32, v221
	ds_bpermute_b32 v9, v8, v10
	s_waitcnt lgkmcnt(0)
	v_dual_max_f32 v12, v9, v9 :: v_dual_lshlrev_b32 v9, 2, v11
	v_max_f32_e32 v10, v10, v12
	v_cndmask_b32_e32 v12, v203, v221, vcc_lo
	ds_bpermute_b32 v11, v9, v10
	s_waitcnt lgkmcnt(0)
	v_max_f32_e32 v13, v11, v11
	s_delay_alu instid0(VALU_DEP_1) | instskip(SKIP_2) | instid1(SALU_CYCLE_1)
	v_dual_max_f32 v10, v10, v13 :: v_dual_lshlrev_b32 v11, 2, v12
                                        ; implicit-def: $vgpr13
	ds_bpermute_b32 v12, v11, v10
	s_and_saveexec_b32 s17, s16
	s_xor_b32 s16, exec_lo, s17
	s_cbranch_execz .LBB24_23
; %bb.22:                               ;   in Loop: Header=BB24_13 Depth=1
	v_add_f32_e64 v13, |v4|, |v4|
	s_delay_alu instid0(VALU_DEP_1) | instskip(SKIP_1) | instid1(VALU_DEP_2)
	v_mul_f32_e32 v14, 0x3fb8aa3b, v13
	v_cmp_ngt_f32_e32 vcc_lo, 0xc2ce8ed0, v13
	v_rndne_f32_e32 v15, v14
	v_fma_f32 v16, 0x3fb8aa3b, v13, -v14
	s_delay_alu instid0(VALU_DEP_2) | instskip(NEXT) | instid1(VALU_DEP_2)
	v_sub_f32_e32 v14, v14, v15
	v_fmac_f32_e32 v16, 0x32a5705f, v13
	v_cvt_i32_f32_e32 v15, v15
	s_delay_alu instid0(VALU_DEP_2) | instskip(NEXT) | instid1(VALU_DEP_1)
	v_add_f32_e32 v14, v14, v16
	v_exp_f32_e32 v14, v14
	s_waitcnt_depctr 0xfff
	v_ldexp_f32 v14, v14, v15
	s_delay_alu instid0(VALU_DEP_1) | instskip(SKIP_1) | instid1(VALU_DEP_2)
	v_cndmask_b32_e32 v14, 0, v14, vcc_lo
	v_cmp_nlt_f32_e32 vcc_lo, 0x42b17218, v13
	v_cndmask_b32_e32 v13, 0x7f800000, v14, vcc_lo
	s_delay_alu instid0(VALU_DEP_1) | instskip(NEXT) | instid1(VALU_DEP_1)
	v_add_f32_e32 v13, 1.0, v13
	v_rcp_f32_e32 v13, v13
	s_waitcnt_depctr 0xfff
	v_fma_f32 v13, v13, -2.0, 1.0
.LBB24_23:                              ;   in Loop: Header=BB24_13 Depth=1
	s_and_not1_saveexec_b32 s16, s16
; %bb.24:                               ;   in Loop: Header=BB24_13 Depth=1
	v_mul_f32_e32 v13, v4, v4
	s_delay_alu instid0(VALU_DEP_1) | instskip(NEXT) | instid1(VALU_DEP_1)
	v_fmaak_f32 v14, s11, v13, 0x3ca908c9
	v_fmaak_f32 v14, v13, v14, 0xbd5c1c4e
	s_delay_alu instid0(VALU_DEP_1) | instskip(NEXT) | instid1(VALU_DEP_1)
	v_fmaak_f32 v14, v13, v14, 0x3e088382
	v_fmaak_f32 v14, v13, v14, 0xbeaaaa99
	s_delay_alu instid0(VALU_DEP_1) | instskip(NEXT) | instid1(VALU_DEP_1)
	v_mul_f32_e64 v14, |v4|, v14
	v_fma_f32 v13, v13, v14, |v4|
; %bb.25:                               ;   in Loop: Header=BB24_13 Depth=1
	s_or_b32 exec_lo, exec_lo, s16
	v_cmp_ngt_f32_e64 s16, 0x3f200000, |v5|
                                        ; implicit-def: $vgpr14
	s_delay_alu instid0(VALU_DEP_1) | instskip(NEXT) | instid1(SALU_CYCLE_1)
	s_and_saveexec_b32 s17, s16
	s_xor_b32 s16, exec_lo, s17
	s_cbranch_execz .LBB24_27
; %bb.26:                               ;   in Loop: Header=BB24_13 Depth=1
	v_add_f32_e64 v14, |v5|, |v5|
	s_delay_alu instid0(VALU_DEP_1) | instskip(SKIP_1) | instid1(VALU_DEP_2)
	v_mul_f32_e32 v15, 0x3fb8aa3b, v14
	v_cmp_ngt_f32_e32 vcc_lo, 0xc2ce8ed0, v14
	v_rndne_f32_e32 v16, v15
	v_fma_f32 v17, 0x3fb8aa3b, v14, -v15
	s_delay_alu instid0(VALU_DEP_2) | instskip(NEXT) | instid1(VALU_DEP_2)
	v_sub_f32_e32 v15, v15, v16
	v_fmac_f32_e32 v17, 0x32a5705f, v14
	v_cvt_i32_f32_e32 v16, v16
	s_delay_alu instid0(VALU_DEP_2) | instskip(NEXT) | instid1(VALU_DEP_1)
	v_add_f32_e32 v15, v15, v17
	v_exp_f32_e32 v15, v15
	s_waitcnt_depctr 0xfff
	v_ldexp_f32 v15, v15, v16
	s_delay_alu instid0(VALU_DEP_1) | instskip(SKIP_1) | instid1(VALU_DEP_2)
	v_cndmask_b32_e32 v15, 0, v15, vcc_lo
	v_cmp_nlt_f32_e32 vcc_lo, 0x42b17218, v14
	v_cndmask_b32_e32 v14, 0x7f800000, v15, vcc_lo
	s_delay_alu instid0(VALU_DEP_1) | instskip(NEXT) | instid1(VALU_DEP_1)
	v_add_f32_e32 v14, 1.0, v14
	v_rcp_f32_e32 v14, v14
	s_waitcnt_depctr 0xfff
	v_fma_f32 v14, v14, -2.0, 1.0
.LBB24_27:                              ;   in Loop: Header=BB24_13 Depth=1
	s_and_not1_saveexec_b32 s16, s16
; %bb.28:                               ;   in Loop: Header=BB24_13 Depth=1
	v_mul_f32_e32 v14, v5, v5
	s_delay_alu instid0(VALU_DEP_1) | instskip(NEXT) | instid1(VALU_DEP_1)
	v_fmaak_f32 v15, s11, v14, 0x3ca908c9
	v_fmaak_f32 v15, v14, v15, 0xbd5c1c4e
	s_delay_alu instid0(VALU_DEP_1) | instskip(NEXT) | instid1(VALU_DEP_1)
	v_fmaak_f32 v15, v14, v15, 0x3e088382
	v_fmaak_f32 v15, v14, v15, 0xbeaaaa99
	s_delay_alu instid0(VALU_DEP_1) | instskip(NEXT) | instid1(VALU_DEP_1)
	v_mul_f32_e64 v15, |v5|, v15
	v_fma_f32 v14, v14, v15, |v5|
; %bb.29:                               ;   in Loop: Header=BB24_13 Depth=1
	s_or_b32 exec_lo, exec_lo, s16
	s_mul_hi_i32 s17, s4, s5
	s_mul_i32 s16, s4, s5
	s_waitcnt lgkmcnt(0)
	s_lshl_b64 s[16:17], s[16:17], 2
	s_barrier
	v_add_co_u32 v19, vcc_lo, v213, s16
	v_add_co_ci_u32_e32 v20, vcc_lo, s17, v214, vcc_lo
	buffer_gl0_inv
	v_cvt_f32_f16_e32 v2, v2
	s_clause 0x1
	global_load_b128 v[15:18], v[19:20], off
	global_load_b128 v[19:22], v[19:20], off offset:512
	v_cvt_f32_f16_e32 v3, v3
	v_bfi_b32 v4, 0x7fffffff, v13, v4
	v_bfi_b32 v5, 0x7fffffff, v14, v5
	s_or_b32 s16, s4, 8
	v_add_nc_u32_e32 v223, 0x800, v212
	s_mul_hi_i32 s17, s16, s5
	s_delay_alu instid0(VALU_DEP_2) | instskip(SKIP_1) | instid1(SALU_CYCLE_1)
	v_dual_fmac_f32 v2, s8, v4 :: v_dual_fmac_f32 v3, s8, v5
	s_mul_i32 s16, s16, s5
	s_lshl_b64 s[16:17], s[16:17], 2
	s_delay_alu instid0(VALU_DEP_1) | instskip(NEXT) | instid1(VALU_DEP_1)
	v_dual_add_f32 v4, 0x40051340, v2 :: v_dual_add_f32 v5, 0x40051340, v3
	v_max3_f32 v4, v161, v4, v5
	ds_bpermute_b32 v5, v6, v4
	s_waitcnt lgkmcnt(0)
	v_dual_max_f32 v6, v12, v12 :: v_dual_max_f32 v5, v5, v5
	s_delay_alu instid0(VALU_DEP_1) | instskip(SKIP_2) | instid1(VALU_DEP_1)
	v_max_f32_e32 v4, v4, v5
	ds_bpermute_b32 v5, v7, v4
	v_max_f32_e32 v7, v10, v10
	v_max_f32_e32 v199, v7, v6
	s_delay_alu instid0(VALU_DEP_1) | instskip(SKIP_1) | instid1(VALU_DEP_1)
	v_sub_f32_e32 v0, v0, v199
	v_sub_f32_e32 v1, v1, v199
	v_mul_f32_e32 v6, 0x3fb8aa3b, v1
	v_dual_sub_f32 v160, v160, v199 :: v_dual_add_nc_u32 v225, 0x1800, v212
	s_waitcnt lgkmcnt(0)
	v_max_f32_e32 v5, v5, v5
	v_cmp_ngt_f32_e32 vcc_lo, 0xc2ce8ed0, v1
	s_delay_alu instid0(VALU_DEP_3) | instskip(NEXT) | instid1(VALU_DEP_3)
	v_mul_f32_e32 v170, 0x3fb8aa3b, v160
	v_max_f32_e32 v4, v4, v5
	s_delay_alu instid0(VALU_DEP_2) | instskip(SKIP_4) | instid1(VALU_DEP_3)
	v_fma_f32 v171, 0x3fb8aa3b, v160, -v170
	ds_bpermute_b32 v5, v8, v4
	v_mul_f32_e32 v8, 0x3fb8aa3b, v0
	v_rndne_f32_e32 v172, v170
	v_fmac_f32_e32 v171, 0x32a5705f, v160
	v_rndne_f32_e32 v10, v8
	s_delay_alu instid0(VALU_DEP_3) | instskip(SKIP_1) | instid1(VALU_DEP_2)
	v_dual_sub_f32 v170, v170, v172 :: v_dual_add_nc_u32 v7, v209, v201
	v_cvt_i32_f32_e32 v172, v172
	v_add_f32_e32 v170, v170, v171
	s_delay_alu instid0(VALU_DEP_1) | instskip(SKIP_2) | instid1(VALU_DEP_1)
	v_exp_f32_e32 v170, v170
	s_waitcnt lgkmcnt(0)
	v_max_f32_e32 v5, v5, v5
	v_max_f32_e32 v4, v4, v5
	s_waitcnt_depctr 0xfff
	v_ldexp_f32 v170, v170, v172
	ds_bpermute_b32 v5, v9, v4
	v_fma_f32 v9, 0x3fb8aa3b, v0, -v8
	v_sub_f32_e32 v8, v8, v10
	v_cvt_i32_f32_e32 v10, v10
	s_delay_alu instid0(VALU_DEP_3) | instskip(SKIP_2) | instid1(VALU_DEP_1)
	v_fmac_f32_e32 v9, 0x32a5705f, v0
	s_waitcnt lgkmcnt(0)
	v_max_f32_e32 v5, v5, v5
	v_max_f32_e32 v4, v4, v5
	ds_bpermute_b32 v5, v11, v4
	s_waitcnt lgkmcnt(0)
	v_max_f32_e32 v5, v5, v5
	s_delay_alu instid0(VALU_DEP_1) | instskip(SKIP_2) | instid1(VALU_DEP_3)
	v_max_f32_e32 v200, v4, v5
	v_fma_f32 v4, 0x3fb8aa3b, v1, -v6
	v_rndne_f32_e32 v5, v6
	v_sub_f32_e32 v2, v2, v200
	s_delay_alu instid0(VALU_DEP_3) | instskip(NEXT) | instid1(VALU_DEP_2)
	v_fmac_f32_e32 v4, 0x32a5705f, v1
	v_mul_f32_e32 v11, 0x3fb8aa3b, v2
	v_sub_f32_e32 v3, v3, v200
	v_sub_f32_e32 v161, v161, v200
	s_delay_alu instid0(VALU_DEP_3) | instskip(NEXT) | instid1(VALU_DEP_2)
	v_rndne_f32_e32 v13, v11
	v_dual_mul_f32 v12, 0x3fb8aa3b, v3 :: v_dual_mul_f32 v173, 0x3fb8aa3b, v161
	s_delay_alu instid0(VALU_DEP_1)
	v_rndne_f32_e32 v23, v12
	v_sub_f32_e32 v6, v6, v5
	v_fma_f32 v14, 0x3fb8aa3b, v3, -v12
	v_cvt_i32_f32_e32 v5, v5
	v_fma_f32 v174, 0x3fb8aa3b, v161, -v173
	v_rndne_f32_e32 v175, v173
	v_add_f32_e32 v4, v6, v4
	v_fmac_f32_e32 v14, 0x32a5705f, v3
	v_add_f32_e32 v8, v8, v9
	v_sub_f32_e32 v9, v11, v13
	v_fma_f32 v6, 0x3fb8aa3b, v2, -v11
	v_exp_f32_e32 v4, v4
	v_dual_sub_f32 v11, v12, v23 :: v_dual_add_nc_u32 v224, 0x1000, v212
	v_dual_sub_f32 v171, v173, v175 :: v_dual_fmac_f32 v174, 0x32a5705f, v161
	v_cvt_i32_f32_e32 v172, v175
	s_delay_alu instid0(VALU_DEP_2) | instskip(SKIP_3) | instid1(VALU_DEP_1)
	v_add_f32_e32 v171, v171, v174
	s_waitcnt_depctr 0xfff
	v_ldexp_f32 v4, v4, v5
	v_exp_f32_e32 v171, v171
	v_cndmask_b32_e32 v4, 0, v4, vcc_lo
	v_cmp_ngt_f32_e32 vcc_lo, 0xc2ce8ed0, v0
	v_fmac_f32_e32 v6, 0x32a5705f, v2
	s_delay_alu instid0(VALU_DEP_1) | instskip(SKIP_2) | instid1(TRANS32_DEP_2)
	v_add_f32_e32 v6, v9, v6
	v_add_f32_e32 v9, v11, v14
	v_exp_f32_e32 v8, v8
	v_ldexp_f32 v171, v171, v172
	s_delay_alu instid0(VALU_DEP_3) | instskip(NEXT) | instid1(VALU_DEP_2)
	v_exp_f32_e32 v6, v6
	v_exp_f32_e32 v9, v9
	s_delay_alu instid0(TRANS32_DEP_3) | instskip(SKIP_2) | instid1(VALU_DEP_3)
	v_ldexp_f32 v5, v8, v10
	v_cvt_i32_f32_e32 v8, v13
	v_cvt_i32_f32_e32 v10, v23
	v_cndmask_b32_e32 v5, 0, v5, vcc_lo
	v_cmp_nlt_f32_e32 vcc_lo, 0x42b17218, v1
	s_delay_alu instid0(TRANS32_DEP_2) | instid1(VALU_DEP_4)
	v_ldexp_f32 v6, v6, v8
	s_delay_alu instid0(TRANS32_DEP_1) | instid1(VALU_DEP_4)
	v_ldexp_f32 v8, v9, v10
	v_cndmask_b32_e32 v228, 0x7f800000, v4, vcc_lo
	v_cmp_ngt_f32_e32 vcc_lo, 0xc2ce8ed0, v2
	s_delay_alu instid0(VALU_DEP_4)
	v_cndmask_b32_e32 v1, 0, v6, vcc_lo
	v_cmp_ngt_f32_e32 vcc_lo, 0xc2ce8ed0, v3
	v_cndmask_b32_e32 v4, 0, v8, vcc_lo
	v_cmp_nlt_f32_e32 vcc_lo, 0x42b17218, v0
	v_cvt_f16_f32_e64 v0, v228
	v_cndmask_b32_e32 v229, 0x7f800000, v5, vcc_lo
	v_cmp_nlt_f32_e32 vcc_lo, 0x42b17218, v2
	v_cndmask_b32_e32 v226, 0x7f800000, v1, vcc_lo
	v_cmp_nlt_f32_e32 vcc_lo, 0x42b17218, v3
	s_delay_alu instid0(VALU_DEP_4) | instskip(NEXT) | instid1(VALU_DEP_3)
	v_cvt_f16_f32_e64 v1, v229
	v_cvt_f16_f32_e64 v2, v226
	v_cndmask_b32_e32 v227, 0x7f800000, v4, vcc_lo
	v_add_co_u32 v32, vcc_lo, v213, s16
	v_add_co_ci_u32_e32 v33, vcc_lo, s17, v214, vcc_lo
	s_delay_alu instid0(VALU_DEP_3) | instskip(SKIP_2) | instid1(SALU_CYCLE_1)
	v_cvt_f16_f32_e64 v3, v227
	v_pack_b32_f16 v1, v1, v2
	s_or_b32 s16, s4, 16
	s_mul_hi_i32 s17, s16, s5
	s_delay_alu instid0(VALU_DEP_2)
	v_pack_b32_f16 v0, v0, v3
	s_mul_i32 s16, s16, s5
	ds_store_2addr_b32 v7, v1, v0 offset1:32
	s_waitcnt vmcnt(1)
	ds_store_b128 v210, v[15:18]
	s_waitcnt vmcnt(0)
	ds_store_b128 v211, v[19:22]
	s_waitcnt lgkmcnt(0)
	s_barrier
	buffer_gl0_inv
	ds_load_2addr_b64 v[88:91], v212 offset1:32
	ds_load_2addr_b64 v[92:95], v212 offset0:64 offset1:96
	ds_load_b128 v[52:55], v209
	ds_load_b128 v[0:3], v209 offset:16
	ds_load_2addr_b64 v[80:83], v212 offset0:128 offset1:160
	ds_load_2addr_b64 v[84:87], v212 offset0:192 offset1:224
	ds_load_2addr_b64 v[72:75], v223 offset1:32
	ds_load_2addr_b64 v[76:79], v223 offset0:64 offset1:96
	ds_load_2addr_b64 v[60:63], v223 offset0:128 offset1:160
	ds_load_2addr_b64 v[68:71], v223 offset0:192 offset1:224
	ds_load_2addr_b64 v[36:39], v224 offset1:32
	ds_load_2addr_b64 v[44:47], v224 offset0:64 offset1:96
	;; [unrolled: 4-line block ×3, first 2 shown]
	ds_load_2addr_b64 v[8:11], v225 offset0:128 offset1:160
	ds_load_2addr_b64 v[4:7], v225 offset0:192 offset1:224
	s_waitcnt lgkmcnt(0)
	s_barrier
	buffer_gl0_inv
	s_clause 0x1
	global_load_b128 v[24:27], v[32:33], off
	global_load_b128 v[32:35], v[32:33], off offset:512
	s_lshl_b64 s[16:17], s[16:17], 2
	s_waitcnt vmcnt(1)
	ds_store_b128 v210, v[24:27]
	s_waitcnt vmcnt(0)
	ds_store_b128 v211, v[32:35]
	v_add_co_u32 v166, vcc_lo, v213, s16
	v_add_co_ci_u32_e32 v167, vcc_lo, s17, v214, vcc_lo
	s_waitcnt lgkmcnt(0)
	s_barrier
	buffer_gl0_inv
	ds_load_2addr_b64 v[140:143], v212 offset1:32
	ds_load_2addr_b64 v[136:139], v212 offset0:64 offset1:96
	ds_load_b128 v[104:107], v209 offset:32
	ds_load_b128 v[24:27], v209 offset:48
	ds_load_2addr_b64 v[132:135], v212 offset0:128 offset1:160
	ds_load_2addr_b64 v[128:131], v212 offset0:192 offset1:224
	ds_load_2addr_b64 v[124:127], v223 offset1:32
	ds_load_2addr_b64 v[120:123], v223 offset0:64 offset1:96
	ds_load_2addr_b64 v[116:119], v223 offset0:128 offset1:160
	ds_load_2addr_b64 v[112:115], v223 offset0:192 offset1:224
	ds_load_2addr_b64 v[108:111], v224 offset1:32
	ds_load_2addr_b64 v[100:103], v224 offset0:64 offset1:96
	;; [unrolled: 4-line block ×3, first 2 shown]
	ds_load_2addr_b64 v[40:43], v225 offset0:128 offset1:160
	ds_load_2addr_b64 v[32:35], v225 offset0:192 offset1:224
	s_waitcnt lgkmcnt(0)
	s_barrier
	buffer_gl0_inv
	s_clause 0x1
	global_load_b128 v[162:165], v[166:167], off
	global_load_b128 v[166:169], v[166:167], off offset:512
	v_cmp_ngt_f32_e32 vcc_lo, 0xc2ce8ed0, v160
	s_or_b32 s16, s4, 24
	s_waitcnt vmcnt(1)
	ds_store_b128 v210, v[162:165]
	s_waitcnt vmcnt(0)
	ds_store_b128 v211, v[166:169]
	v_cndmask_b32_e32 v170, 0, v170, vcc_lo
	v_cmp_nlt_f32_e32 vcc_lo, 0x42b17218, v160
	s_mul_hi_i32 s17, s16, s5
	s_mul_i32 s16, s16, s5
	s_waitcnt lgkmcnt(0)
	s_lshl_b64 s[16:17], s[16:17], 2
	v_cndmask_b32_e32 v231, 0x7f800000, v170, vcc_lo
	v_cmp_ngt_f32_e32 vcc_lo, 0xc2ce8ed0, v161
	s_barrier
	buffer_gl0_inv
	v_cvt_f16_f32_e64 v170, v231
	v_cndmask_b32_e32 v160, 0, v171, vcc_lo
	v_cmp_nlt_f32_e32 vcc_lo, 0x42b17218, v161
	s_delay_alu instid0(VALU_DEP_3) | instskip(SKIP_1) | instid1(VALU_DEP_4)
	v_pk_mul_f16 v154, v170, v154 op_sel_hi:[0,1]
	v_pk_mul_f16 v155, v170, v155 op_sel_hi:[0,1]
	v_cndmask_b32_e32 v230, 0x7f800000, v160, vcc_lo
	v_pk_mul_f16 v152, v170, v152 op_sel_hi:[0,1]
	v_pk_mul_f16 v153, v170, v153 op_sel_hi:[0,1]
	;; [unrolled: 1-line block ×4, first 2 shown]
	v_cvt_f16_f32_e64 v160, v230
	v_pk_fma_f16 v154, v92, v52, v154 op_sel_hi:[1,0,1]
	v_add_co_u32 v172, vcc_lo, v213, s16
	v_add_co_ci_u32_e32 v173, vcc_lo, s17, v214, vcc_lo
	s_delay_alu instid0(VALU_DEP_4)
	v_pk_mul_f16 v146, v160, v146 op_sel_hi:[0,1]
	v_pk_mul_f16 v147, v160, v147 op_sel_hi:[0,1]
	;; [unrolled: 1-line block ×7, first 2 shown]
	v_pk_fma_f16 v92, v92, v52, v146 op_sel:[0,1,0]
	v_pk_fma_f16 v146, v93, v52, v155 op_sel_hi:[1,0,1]
	v_pk_fma_f16 v93, v93, v52, v147 op_sel:[0,1,0]
	v_pk_fma_f16 v147, v94, v52, v152 op_sel_hi:[1,0,1]
	;; [unrolled: 2-line block ×3, first 2 shown]
	v_pk_fma_f16 v95, v95, v52, v144 op_sel:[0,1,0]
	v_pk_mul_f16 v144, v88, v52 op_sel_hi:[1,0]
	v_pk_mul_f16 v88, v88, v52 op_sel:[0,1]
	v_pk_fma_f16 v151, v89, v52, v151 op_sel:[0,1,0]
	v_pk_fma_f16 v152, v90, v52, v158 op_sel_hi:[1,0,1]
	v_pk_fma_f16 v90, v90, v52, v148 op_sel:[0,1,0]
	v_pk_fma_f16 v148, v91, v52, v159 op_sel_hi:[1,0,1]
	v_pk_fma_f16 v91, v91, v52, v149 op_sel:[0,1,0]
	v_pk_mul_f16 v52, v89, v52 op_sel_hi:[1,0]
	v_pk_fma_f16 v89, v84, v53, v154 op_sel_hi:[1,0,1]
	v_pk_fma_f16 v84, v84, v53, v92 op_sel:[0,1,0]
	v_pk_fma_f16 v92, v85, v53, v146 op_sel_hi:[1,0,1]
	v_pk_fma_f16 v85, v85, v53, v93 op_sel:[0,1,0]
	;; [unrolled: 2-line block ×4, first 2 shown]
	v_pk_fma_f16 v88, v160, v150, v88 op_sel_hi:[0,1,1]
	v_pk_fma_f16 v95, v170, v156, v144 op_sel_hi:[0,1,1]
	;; [unrolled: 1-line block ×3, first 2 shown]
	v_pk_fma_f16 v144, v81, v53, v151 op_sel:[0,1,0]
	v_pk_fma_f16 v145, v82, v53, v152 op_sel_hi:[1,0,1]
	v_pk_fma_f16 v82, v82, v53, v90 op_sel:[0,1,0]
	v_pk_fma_f16 v90, v83, v53, v148 op_sel_hi:[1,0,1]
	;; [unrolled: 2-line block ×28, first 2 shown]
	v_pk_fma_f16 v189, v28, v1, v38 op_sel_hi:[1,0,1]
	v_pk_fma_f16 v190, v28, v1, v39 op_sel:[0,1,0]
	v_pk_fma_f16 v191, v29, v1, v44 op_sel_hi:[1,0,1]
	v_pk_fma_f16 v234, v29, v1, v45 op_sel:[0,1,0]
	;; [unrolled: 2-line block ×4, first 2 shown]
	ds_load_2addr_b64 v[184:187], v212 offset1:32
	ds_load_2addr_b64 v[176:179], v212 offset0:64 offset1:96
	ds_load_b128 v[80:83], v209 offset:64
	ds_load_b128 v[28:31], v209 offset:80
	ds_load_2addr_b64 v[168:171], v212 offset0:128 offset1:160
	ds_load_2addr_b64 v[160:163], v212 offset0:192 offset1:224
	ds_load_2addr_b64 v[152:155], v223 offset1:32
	ds_load_2addr_b64 v[144:147], v223 offset0:64 offset1:96
	ds_load_2addr_b64 v[92:95], v223 offset0:128 offset1:160
	ds_load_2addr_b64 v[88:91], v223 offset0:192 offset1:224
	ds_load_2addr_b64 v[84:87], v224 offset1:32
	ds_load_2addr_b64 v[76:79], v224 offset0:64 offset1:96
	;; [unrolled: 4-line block ×3, first 2 shown]
	ds_load_2addr_b64 v[44:47], v225 offset0:128 offset1:160
	ds_load_2addr_b64 v[36:39], v225 offset0:192 offset1:224
	s_waitcnt lgkmcnt(0)
	s_barrier
	buffer_gl0_inv
	s_clause 0x1
	global_load_b128 v[148:151], v[172:173], off
	global_load_b128 v[156:159], v[172:173], off offset:512
	v_pk_fma_f16 v164, v21, v1, v174 op_sel:[0,1,0]
	v_pk_fma_f16 v165, v22, v1, v175 op_sel_hi:[1,0,1]
	v_pk_fma_f16 v22, v22, v1, v180 op_sel:[0,1,0]
	v_pk_fma_f16 v166, v23, v1, v181 op_sel_hi:[1,0,1]
	;; [unrolled: 2-line block ×9, first 2 shown]
	v_pk_fma_f16 v23, v16, v2, v189 op_sel_hi:[1,0,1]
	v_pk_fma_f16 v16, v16, v2, v190 op_sel:[0,1,0]
	v_pk_fma_f16 v165, v18, v2, v235 op_sel_hi:[1,0,1]
	v_pk_fma_f16 v18, v18, v2, v236 op_sel:[0,1,0]
	;; [unrolled: 2-line block ×3, first 2 shown]
	v_pk_fma_f16 v1, v9, v3, v1 op_sel:[0,1,0]
	v_pk_fma_f16 v2, v10, v3, v21 op_sel_hi:[1,0,1]
	v_pk_fma_f16 v10, v10, v3, v14 op_sel:[0,1,0]
	v_pk_fma_f16 v13, v11, v3, v22 op_sel_hi:[1,0,1]
	;; [unrolled: 2-line block ×5, first 2 shown]
	v_pk_fma_f16 v14, v4, v3, v23 op_sel_hi:[1,0,1]
	v_pk_fma_f16 v4, v4, v3, v16 op_sel:[0,1,0]
	v_pk_fma_f16 v16, v6, v3, v165 op_sel_hi:[1,0,1]
	v_pk_fma_f16 v6, v6, v3, v18 op_sel:[0,1,0]
	;; [unrolled: 2-line block ×23, first 2 shown]
	s_or_b32 s16, s4, 32
	v_pk_fma_f16 v13, v120, v106, v13 op_sel_hi:[1,0,1]
	s_mul_hi_i32 s17, s16, s5
	s_mul_i32 s16, s16, s5
	v_pk_fma_f16 v4, v120, v106, v4 op_sel:[0,1,0]
	v_pk_fma_f16 v14, v121, v106, v14 op_sel_hi:[1,0,1]
	v_pk_fma_f16 v5, v121, v106, v5 op_sel:[0,1,0]
	v_pk_fma_f16 v15, v122, v106, v15 op_sel_hi:[1,0,1]
	v_pk_fma_f16 v6, v122, v106, v6 op_sel:[0,1,0]
	v_pk_fma_f16 v9, v123, v106, v9 op_sel_hi:[1,0,1]
	v_pk_fma_f16 v3, v123, v106, v3 op_sel:[0,1,0]
	v_pk_fma_f16 v7, v116, v107, v7 op_sel_hi:[1,0,1]
	v_pk_fma_f16 v8, v116, v107, v8 op_sel:[0,1,0]
	v_pk_fma_f16 v0, v117, v107, v0 op_sel_hi:[1,0,1]
	v_pk_fma_f16 v1, v117, v107, v1 op_sel:[0,1,0]
	v_pk_fma_f16 v2, v118, v107, v2 op_sel_hi:[1,0,1]
	v_pk_fma_f16 v10, v118, v107, v10 op_sel:[0,1,0]
	v_pk_fma_f16 v12, v119, v107, v12 op_sel_hi:[1,0,1]
	v_pk_fma_f16 v11, v119, v107, v11 op_sel:[0,1,0]
	s_lshl_b64 s[16:17], s[16:17], 2
	v_pk_fma_f16 v13, v112, v107, v13 op_sel_hi:[1,0,1]
	v_add_co_u32 v232, vcc_lo, v213, s16
	v_add_co_ci_u32_e32 v233, vcc_lo, s17, v214, vcc_lo
	v_pk_fma_f16 v4, v112, v107, v4 op_sel:[0,1,0]
	v_pk_fma_f16 v14, v113, v107, v14 op_sel_hi:[1,0,1]
	v_pk_fma_f16 v5, v113, v107, v5 op_sel:[0,1,0]
	v_pk_fma_f16 v15, v114, v107, v15 op_sel_hi:[1,0,1]
	;; [unrolled: 2-line block ×31, first 2 shown]
	s_waitcnt vmcnt(1)
	ds_store_b128 v210, v[148:151]
	s_waitcnt vmcnt(0)
	ds_store_b128 v211, v[156:159]
	s_waitcnt lgkmcnt(0)
	s_barrier
	buffer_gl0_inv
	ds_load_2addr_b64 v[188:191], v212 offset1:32
	ds_load_2addr_b64 v[180:183], v212 offset0:64 offset1:96
	ds_load_b128 v[128:131], v209 offset:96
	ds_load_b128 v[0:3], v209 offset:112
	ds_load_2addr_b64 v[172:175], v212 offset0:128 offset1:160
	ds_load_2addr_b64 v[164:167], v212 offset0:192 offset1:224
	ds_load_2addr_b64 v[156:159], v223 offset1:32
	ds_load_2addr_b64 v[148:151], v223 offset0:64 offset1:96
	ds_load_2addr_b64 v[140:143], v223 offset0:128 offset1:160
	ds_load_2addr_b64 v[136:139], v223 offset0:192 offset1:224
	ds_load_2addr_b64 v[132:135], v224 offset1:32
	ds_load_2addr_b64 v[124:127], v224 offset0:64 offset1:96
	;; [unrolled: 4-line block ×3, first 2 shown]
	ds_load_2addr_b64 v[8:11], v225 offset0:128 offset1:160
	ds_load_2addr_b64 v[4:7], v225 offset0:192 offset1:224
	s_waitcnt lgkmcnt(0)
	s_barrier
	buffer_gl0_inv
	s_clause 0x1
	global_load_b128 v[96:99], v[232:233], off
	global_load_b128 v[100:103], v[232:233], off offset:512
	v_pk_fma_f16 v43, v43, v27, v59 op_sel:[0,1,0]
	v_pk_fma_f16 v57, v32, v27, v104 op_sel_hi:[1,0,1]
	v_pk_fma_f16 v32, v32, v27, v48 op_sel:[0,1,0]
	v_pk_fma_f16 v48, v33, v27, v64 op_sel_hi:[1,0,1]
	;; [unrolled: 2-line block ×24, first 2 shown]
	v_pk_fma_f16 v43, v155, v82, v43 op_sel:[0,1,0]
	s_or_b32 s16, s4, 40
	v_pk_fma_f16 v51, v144, v82, v51 op_sel_hi:[1,0,1]
	s_mul_hi_i32 s17, s16, s5
	s_mul_i32 s16, s16, s5
	v_pk_fma_f16 v32, v144, v82, v32 op_sel:[0,1,0]
	v_pk_fma_f16 v48, v145, v82, v48 op_sel_hi:[1,0,1]
	v_pk_fma_f16 v33, v145, v82, v33 op_sel:[0,1,0]
	v_pk_fma_f16 v49, v146, v82, v49 op_sel_hi:[1,0,1]
	;; [unrolled: 2-line block ×7, first 2 shown]
	v_pk_fma_f16 v43, v95, v83, v43 op_sel:[0,1,0]
	s_lshl_b64 s[16:17], s[16:17], 2
	v_pk_fma_f16 v51, v88, v83, v51 op_sel_hi:[1,0,1]
	v_add_co_u32 v232, vcc_lo, v213, s16
	v_add_co_ci_u32_e32 v233, vcc_lo, s17, v214, vcc_lo
	v_pk_fma_f16 v32, v88, v83, v32 op_sel:[0,1,0]
	v_pk_fma_f16 v48, v89, v83, v48 op_sel_hi:[1,0,1]
	v_pk_fma_f16 v33, v89, v83, v33 op_sel:[0,1,0]
	v_pk_fma_f16 v49, v90, v83, v49 op_sel_hi:[1,0,1]
	;; [unrolled: 2-line block ×42, first 2 shown]
	v_pk_fma_f16 v38, v182, v128, v38 op_sel:[0,1,0]
	s_waitcnt vmcnt(1)
	ds_store_b128 v210, v[96:99]
	s_waitcnt vmcnt(0)
	ds_store_b128 v211, v[100:103]
	s_waitcnt lgkmcnt(0)
	s_barrier
	buffer_gl0_inv
	ds_load_2addr_b64 v[116:119], v212 offset1:32
	ds_load_2addr_b64 v[112:115], v212 offset0:64 offset1:96
	ds_load_b128 v[80:83], v209 offset:128
	ds_load_b128 v[24:27], v209 offset:144
	ds_load_2addr_b64 v[108:111], v212 offset0:128 offset1:160
	ds_load_2addr_b64 v[104:107], v212 offset0:192 offset1:224
	ds_load_2addr_b64 v[100:103], v223 offset1:32
	ds_load_2addr_b64 v[96:99], v223 offset0:64 offset1:96
	ds_load_2addr_b64 v[92:95], v223 offset0:128 offset1:160
	ds_load_2addr_b64 v[88:91], v223 offset0:192 offset1:224
	ds_load_2addr_b64 v[84:87], v224 offset1:32
	ds_load_2addr_b64 v[76:79], v224 offset0:64 offset1:96
	ds_load_2addr_b64 v[68:71], v224 offset0:128 offset1:160
	ds_load_2addr_b64 v[64:67], v224 offset0:192 offset1:224
	ds_load_2addr_b64 v[56:59], v225 offset1:32
	ds_load_2addr_b64 v[48:51], v225 offset0:64 offset1:96
	ds_load_2addr_b64 v[40:43], v225 offset0:128 offset1:160
	ds_load_2addr_b64 v[32:35], v225 offset0:192 offset1:224
	s_waitcnt lgkmcnt(0)
	s_barrier
	buffer_gl0_inv
	s_clause 0x1
	global_load_b128 v[144:147], v[232:233], off
	global_load_b128 v[152:155], v[232:233], off offset:512
	v_pk_fma_f16 v54, v183, v128, v54 op_sel_hi:[1,0,1]
	v_pk_fma_f16 v28, v183, v128, v28 op_sel:[0,1,0]
	v_pk_fma_f16 v29, v172, v129, v29 op_sel_hi:[1,0,1]
	v_pk_fma_f16 v30, v172, v129, v30 op_sel:[0,1,0]
	;; [unrolled: 2-line block ×13, first 2 shown]
	s_or_b32 s16, s4, 48
	v_pk_fma_f16 v55, v148, v130, v55 op_sel_hi:[1,0,1]
	s_mul_hi_i32 s17, s16, s5
	s_mul_i32 s16, s16, s5
	v_pk_fma_f16 v36, v148, v130, v36 op_sel:[0,1,0]
	v_pk_fma_f16 v52, v149, v130, v52 op_sel_hi:[1,0,1]
	v_pk_fma_f16 v37, v149, v130, v37 op_sel:[0,1,0]
	v_pk_fma_f16 v53, v150, v130, v53 op_sel_hi:[1,0,1]
	;; [unrolled: 2-line block ×7, first 2 shown]
	v_pk_fma_f16 v47, v143, v131, v47 op_sel:[0,1,0]
	s_lshl_b64 s[16:17], s[16:17], 2
	v_pk_fma_f16 v55, v136, v131, v55 op_sel_hi:[1,0,1]
	v_add_co_u32 v168, vcc_lo, v213, s16
	v_add_co_ci_u32_e32 v169, vcc_lo, s17, v214, vcc_lo
	v_pk_fma_f16 v36, v136, v131, v36 op_sel:[0,1,0]
	v_pk_fma_f16 v52, v137, v131, v52 op_sel_hi:[1,0,1]
	v_pk_fma_f16 v37, v137, v131, v37 op_sel:[0,1,0]
	v_pk_fma_f16 v53, v138, v131, v53 op_sel_hi:[1,0,1]
	;; [unrolled: 2-line block ×50, first 2 shown]
	s_waitcnt vmcnt(1)
	ds_store_b128 v210, v[144:147]
	s_waitcnt vmcnt(0)
	ds_store_b128 v211, v[152:155]
	s_waitcnt lgkmcnt(0)
	s_barrier
	buffer_gl0_inv
	ds_load_2addr_b64 v[164:167], v212 offset1:32
	ds_load_2addr_b64 v[160:163], v212 offset0:64 offset1:96
	ds_load_b128 v[128:131], v209 offset:160
	ds_load_b128 v[28:31], v209 offset:176
	ds_load_2addr_b64 v[156:159], v212 offset0:128 offset1:160
	ds_load_2addr_b64 v[152:155], v212 offset0:192 offset1:224
	ds_load_2addr_b64 v[148:151], v223 offset1:32
	ds_load_2addr_b64 v[144:147], v223 offset0:64 offset1:96
	ds_load_2addr_b64 v[140:143], v223 offset0:128 offset1:160
	ds_load_2addr_b64 v[136:139], v223 offset0:192 offset1:224
	ds_load_2addr_b64 v[132:135], v224 offset1:32
	ds_load_2addr_b64 v[124:127], v224 offset0:64 offset1:96
	;; [unrolled: 4-line block ×3, first 2 shown]
	ds_load_2addr_b64 v[44:47], v225 offset0:128 offset1:160
	ds_load_2addr_b64 v[36:39], v225 offset0:192 offset1:224
	s_waitcnt lgkmcnt(0)
	s_barrier
	buffer_gl0_inv
	s_clause 0x1
	global_load_b128 v[185:188], v[168:169], off
	global_load_b128 v[232:235], v[168:169], off offset:512
	v_add_f32_e32 v168, v229, v228
	v_pk_fma_f16 v6, v106, v81, v6 op_sel:[0,1,0]
	v_pk_fma_f16 v14, v107, v81, v14 op_sel_hi:[1,0,1]
	v_pk_fma_f16 v0, v107, v81, v0 op_sel:[0,1,0]
	s_or_b32 s16, s4, 56
	v_pk_fma_f16 v1, v100, v82, v1 op_sel_hi:[1,0,1]
	s_mul_hi_i32 s17, s16, s5
	s_mul_i32 s16, s16, s5
	v_pk_fma_f16 v2, v100, v82, v2 op_sel:[0,1,0]
	v_pk_fma_f16 v3, v101, v82, v3 op_sel_hi:[1,0,1]
	v_pk_fma_f16 v7, v101, v82, v7 op_sel:[0,1,0]
	v_pk_fma_f16 v8, v102, v82, v8 op_sel_hi:[1,0,1]
	;; [unrolled: 2-line block ×7, first 2 shown]
	v_pk_fma_f16 v0, v99, v82, v0 op_sel:[0,1,0]
	s_lshl_b64 s[16:17], s[16:17], 2
	v_pk_fma_f16 v1, v92, v83, v1 op_sel_hi:[1,0,1]
	v_add_co_u32 v189, vcc_lo, v213, s16
	v_add_co_ci_u32_e32 v190, vcc_lo, s17, v214, vcc_lo
	v_pk_fma_f16 v2, v92, v83, v2 op_sel:[0,1,0]
	v_pk_fma_f16 v3, v93, v83, v3 op_sel_hi:[1,0,1]
	v_pk_fma_f16 v7, v93, v83, v7 op_sel:[0,1,0]
	v_pk_fma_f16 v8, v94, v83, v8 op_sel_hi:[1,0,1]
	;; [unrolled: 2-line block ×7, first 2 shown]
	v_pk_fma_f16 v0, v91, v83, v0 op_sel:[0,1,0]
	v_fmac_f32_e32 v168, v217, v231
	v_add_f32_e32 v169, v226, v227
	v_pk_fma_f16 v182, v84, v24, v1 op_sel_hi:[1,0,1]
	v_pk_fma_f16 v183, v84, v24, v2 op_sel:[0,1,0]
	v_pk_fma_f16 v184, v85, v24, v3 op_sel_hi:[1,0,1]
	v_pk_fma_f16 v191, v85, v24, v7 op_sel:[0,1,0]
	;; [unrolled: 2-line block ×11, first 2 shown]
	v_pk_fma_f16 v24, v67, v25, v24 op_sel:[0,1,0]
	v_fmac_f32_e32 v169, v216, v230
	s_waitcnt vmcnt(1)
	ds_store_b128 v210, v[185:188]
	s_waitcnt vmcnt(0)
	ds_store_b128 v211, v[232:235]
	s_waitcnt lgkmcnt(0)
	s_barrier
	buffer_gl0_inv
	ds_load_2addr_b64 v[4:7], v212 offset1:32
	ds_load_2addr_b64 v[8:11], v212 offset0:64 offset1:96
	ds_load_b128 v[12:15], v209 offset:192
	ds_load_b128 v[0:3], v209 offset:208
	ds_load_2addr_b64 v[16:19], v212 offset0:128 offset1:160
	ds_load_2addr_b64 v[20:23], v212 offset0:192 offset1:224
	ds_load_2addr_b64 v[76:79], v223 offset1:32
	ds_load_2addr_b64 v[80:83], v223 offset0:64 offset1:96
	ds_load_2addr_b64 v[84:87], v223 offset0:128 offset1:160
	ds_load_2addr_b64 v[88:91], v223 offset0:192 offset1:224
	ds_load_2addr_b64 v[92:95], v224 offset1:32
	ds_load_2addr_b64 v[96:99], v224 offset0:64 offset1:96
	;; [unrolled: 4-line block ×3, first 2 shown]
	ds_load_2addr_b64 v[116:119], v225 offset0:128 offset1:160
	ds_load_2addr_b64 v[170:173], v225 offset0:192 offset1:224
	s_waitcnt lgkmcnt(0)
	s_barrier
	buffer_gl0_inv
	s_clause 0x1
	global_load_b128 v[174:177], v[189:190], off
	global_load_b128 v[178:181], v[189:190], off offset:512
	v_pk_fma_f16 v185, v71, v25, v227 op_sel_hi:[1,0,1]
	v_pk_fma_f16 v71, v71, v25, v228 op_sel:[0,1,0]
	v_pk_fma_f16 v186, v64, v25, v229 op_sel_hi:[1,0,1]
	v_pk_fma_f16 v64, v64, v25, v231 op_sel:[0,1,0]
	;; [unrolled: 2-line block ×4, first 2 shown]
	v_pk_fma_f16 v189, v67, v25, v240 op_sel_hi:[1,0,1]
	v_pk_fma_f16 v25, v56, v26, v182 op_sel_hi:[1,0,1]
	v_pk_fma_f16 v56, v56, v26, v68 op_sel:[0,1,0]
	v_pk_fma_f16 v67, v57, v26, v183 op_sel_hi:[1,0,1]
	v_pk_fma_f16 v57, v57, v26, v69 op_sel:[0,1,0]
	;; [unrolled: 2-line block ×142, first 2 shown]
	v_pk_fma_f16 v88, v172, v3, v16 op_sel_hi:[1,0,1]
	s_waitcnt vmcnt(1)
	ds_store_b128 v210, v[174:177]
	s_waitcnt vmcnt(0)
	ds_store_b128 v211, v[178:181]
	s_waitcnt lgkmcnt(0)
	s_barrier
	buffer_gl0_inv
	ds_load_2addr_b64 v[4:7], v212 offset1:32
	ds_load_2addr_b64 v[8:11], v212 offset0:64 offset1:96
	ds_load_b128 v[12:15], v209 offset:224
	ds_load_b128 v[16:19], v209 offset:240
	ds_load_2addr_b64 v[20:23], v212 offset0:128 offset1:160
	ds_load_2addr_b64 v[24:27], v212 offset0:192 offset1:224
	ds_load_2addr_b64 v[28:31], v223 offset1:32
	ds_load_2addr_b64 v[32:35], v223 offset0:64 offset1:96
	ds_load_2addr_b64 v[36:39], v223 offset0:128 offset1:160
	ds_load_2addr_b64 v[40:43], v223 offset0:192 offset1:224
	ds_load_2addr_b64 v[44:47], v224 offset1:32
	ds_load_2addr_b64 v[48:51], v224 offset0:64 offset1:96
	;; [unrolled: 4-line block ×3, first 2 shown]
	ds_load_2addr_b64 v[68:71], v225 offset0:128 offset1:160
	ds_load_2addr_b64 v[72:75], v225 offset0:192 offset1:224
	v_pk_fma_f16 v76, v172, v3, v76 op_sel:[0,1,0]
	v_pk_fma_f16 v77, v173, v3, v77 op_sel_hi:[1,0,1]
	v_pk_fma_f16 v0, v173, v3, v0 op_sel:[0,1,0]
	s_waitcnt lgkmcnt(0)
	v_pk_fma_f16 v1, v4, v12, v1 op_sel_hi:[1,0,1]
	v_pk_fma_f16 v2, v4, v12, v2 op_sel:[0,1,0]
	v_pk_fma_f16 v3, v5, v12, v78 op_sel_hi:[1,0,1]
	v_pk_fma_f16 v4, v5, v12, v79 op_sel:[0,1,0]
	;; [unrolled: 2-line block ×24, first 2 shown]
	s_barrier
	buffer_gl0_inv
	s_load_b32 s16, s[2:3], 0x4
	v_pk_fma_f16 v1, v36, v15, v1 op_sel_hi:[1,0,1]
	v_pk_fma_f16 v2, v36, v15, v2 op_sel:[0,1,0]
	v_pk_fma_f16 v3, v37, v15, v3 op_sel_hi:[1,0,1]
	v_pk_fma_f16 v4, v37, v15, v4 op_sel:[0,1,0]
	v_pk_fma_f16 v5, v38, v15, v5 op_sel_hi:[1,0,1]
	v_pk_fma_f16 v6, v38, v15, v6 op_sel:[0,1,0]
	v_pk_fma_f16 v11, v39, v15, v11 op_sel_hi:[1,0,1]
	v_pk_fma_f16 v7, v39, v15, v7 op_sel:[0,1,0]
	v_pk_fma_f16 v12, v40, v15, v12 op_sel_hi:[1,0,1]
	v_pk_fma_f16 v8, v40, v15, v8 op_sel:[0,1,0]
	v_pk_fma_f16 v13, v41, v15, v13 op_sel_hi:[1,0,1]
	v_pk_fma_f16 v9, v41, v15, v9 op_sel:[0,1,0]
	v_pk_fma_f16 v14, v42, v15, v20 op_sel_hi:[1,0,1]
	v_pk_fma_f16 v10, v42, v15, v10 op_sel:[0,1,0]
	v_pk_fma_f16 v20, v43, v15, v21 op_sel_hi:[1,0,1]
	v_pk_fma_f16 v0, v43, v15, v0 op_sel:[0,1,0]
	v_pk_fma_f16 v1, v44, v16, v1 op_sel_hi:[1,0,1]
	v_pk_fma_f16 v2, v44, v16, v2 op_sel:[0,1,0]
	v_pk_fma_f16 v3, v45, v16, v3 op_sel_hi:[1,0,1]
	v_pk_fma_f16 v4, v45, v16, v4 op_sel:[0,1,0]
	v_pk_fma_f16 v5, v46, v16, v5 op_sel_hi:[1,0,1]
	v_pk_fma_f16 v6, v46, v16, v6 op_sel:[0,1,0]
	v_pk_fma_f16 v11, v47, v16, v11 op_sel_hi:[1,0,1]
	v_pk_fma_f16 v7, v47, v16, v7 op_sel:[0,1,0]
	v_pk_fma_f16 v12, v48, v16, v12 op_sel_hi:[1,0,1]
	v_pk_fma_f16 v8, v48, v16, v8 op_sel:[0,1,0]
	v_pk_fma_f16 v13, v49, v16, v13 op_sel_hi:[1,0,1]
	v_pk_fma_f16 v9, v49, v16, v9 op_sel:[0,1,0]
	v_pk_fma_f16 v14, v50, v16, v14 op_sel_hi:[1,0,1]
	v_pk_fma_f16 v10, v50, v16, v10 op_sel:[0,1,0]
	v_pk_fma_f16 v15, v51, v16, v20 op_sel_hi:[1,0,1]
	v_pk_fma_f16 v0, v51, v16, v0 op_sel:[0,1,0]
	v_pk_fma_f16 v1, v52, v17, v1 op_sel_hi:[1,0,1]
	v_pk_fma_f16 v2, v52, v17, v2 op_sel:[0,1,0]
	v_pk_fma_f16 v3, v53, v17, v3 op_sel_hi:[1,0,1]
	v_pk_fma_f16 v4, v53, v17, v4 op_sel:[0,1,0]
	v_pk_fma_f16 v5, v54, v17, v5 op_sel_hi:[1,0,1]
	v_pk_fma_f16 v6, v54, v17, v6 op_sel:[0,1,0]
	v_pk_fma_f16 v11, v55, v17, v11 op_sel_hi:[1,0,1]
	v_pk_fma_f16 v7, v55, v17, v7 op_sel:[0,1,0]
	v_pk_fma_f16 v12, v56, v17, v12 op_sel_hi:[1,0,1]
	v_pk_fma_f16 v8, v56, v17, v8 op_sel:[0,1,0]
	v_pk_fma_f16 v13, v57, v17, v13 op_sel_hi:[1,0,1]
	v_pk_fma_f16 v9, v57, v17, v9 op_sel:[0,1,0]
	v_pk_fma_f16 v14, v58, v17, v14 op_sel_hi:[1,0,1]
	v_pk_fma_f16 v10, v58, v17, v10 op_sel:[0,1,0]
	v_pk_fma_f16 v15, v59, v17, v15 op_sel_hi:[1,0,1]
	v_pk_fma_f16 v0, v59, v17, v0 op_sel:[0,1,0]
	v_pk_fma_f16 v1, v60, v18, v1 op_sel_hi:[1,0,1]
	v_pk_fma_f16 v2, v60, v18, v2 op_sel:[0,1,0]
	v_pk_fma_f16 v3, v61, v18, v3 op_sel_hi:[1,0,1]
	v_pk_fma_f16 v4, v61, v18, v4 op_sel:[0,1,0]
	v_pk_fma_f16 v5, v62, v18, v5 op_sel_hi:[1,0,1]
	v_pk_fma_f16 v6, v62, v18, v6 op_sel:[0,1,0]
	v_pk_fma_f16 v11, v63, v18, v11 op_sel_hi:[1,0,1]
	v_pk_fma_f16 v7, v63, v18, v7 op_sel:[0,1,0]
	v_pk_fma_f16 v12, v64, v18, v12 op_sel_hi:[1,0,1]
	v_pk_fma_f16 v8, v64, v18, v8 op_sel:[0,1,0]
	v_pk_fma_f16 v13, v65, v18, v13 op_sel_hi:[1,0,1]
	v_pk_fma_f16 v9, v65, v18, v9 op_sel:[0,1,0]
	v_pk_fma_f16 v14, v66, v18, v14 op_sel_hi:[1,0,1]
	v_pk_fma_f16 v10, v66, v18, v10 op_sel:[0,1,0]
	v_pk_fma_f16 v15, v67, v18, v15 op_sel_hi:[1,0,1]
	v_pk_fma_f16 v0, v67, v18, v0 op_sel:[0,1,0]
	s_waitcnt lgkmcnt(0)
	s_lshl_b32 s16, s16, 6
	v_pk_fma_f16 v156, v68, v19, v1 op_sel_hi:[1,0,1]
	v_pk_fma_f16 v150, v68, v19, v2 op_sel:[0,1,0]
	v_pk_fma_f16 v157, v69, v19, v3 op_sel_hi:[1,0,1]
	v_pk_fma_f16 v151, v69, v19, v4 op_sel:[0,1,0]
	;; [unrolled: 2-line block ×8, first 2 shown]
	s_add_i32 s4, s16, s4
	s_delay_alu instid0(SALU_CYCLE_1)
	s_cmp_ge_i32 s4, s34
	s_cbranch_scc1 .LBB24_31
; %bb.30:                               ;   in Loop: Header=BB24_13 Depth=1
	v_dual_mov_b32 v160, v199 :: v_dual_mov_b32 v161, v200
	v_dual_mov_b32 v217, v168 :: v_dual_mov_b32 v216, v169
	s_branch .LBB24_13
.LBB24_31:
	v_mov_b32_e32 v0, v203
.LBB24_32:
	v_cmp_lt_i32_e32 vcc_lo, v222, v204
	s_cmp_lg_u64 s[24:25], 0
	s_cselect_b32 s2, -1, 0
	s_cmp_eq_u32 s14, 0
	v_cndmask_b32_e32 v1, v0, v222, vcc_lo
	v_cmp_lt_i32_e32 vcc_lo, v218, v204
	s_cselect_b32 s3, -1, 0
	s_delay_alu instid0(SALU_CYCLE_1) | instskip(NEXT) | instid1(VALU_DEP_2)
	s_and_b32 s2, s3, s2
	v_lshlrev_b32_e32 v1, 2, v1
	v_cndmask_b32_e32 v3, v0, v218, vcc_lo
	v_cmp_lt_i32_e32 vcc_lo, v219, v204
	ds_bpermute_b32 v2, v1, v168
	v_lshlrev_b32_e32 v3, 2, v3
	v_cndmask_b32_e32 v5, v0, v219, vcc_lo
	v_cmp_lt_i32_e32 vcc_lo, v220, v204
	s_waitcnt lgkmcnt(0)
	s_delay_alu instid0(VALU_DEP_2)
	v_dual_add_f32 v2, v168, v2 :: v_dual_lshlrev_b32 v5, 2, v5
	ds_bpermute_b32 v1, v1, v169
	ds_bpermute_b32 v4, v3, v2
	s_waitcnt lgkmcnt(0)
	v_dual_add_f32 v2, v2, v4 :: v_dual_add_f32 v1, v169, v1
	ds_bpermute_b32 v3, v3, v1
	s_waitcnt lgkmcnt(0)
	v_add_f32_e32 v1, v1, v3
	ds_bpermute_b32 v3, v5, v2
	ds_bpermute_b32 v4, v5, v1
	v_cndmask_b32_e32 v5, v0, v220, vcc_lo
	v_cmp_lt_i32_e32 vcc_lo, v221, v204
	s_delay_alu instid0(VALU_DEP_2) | instskip(SKIP_3) | instid1(VALU_DEP_1)
	v_lshlrev_b32_e32 v5, 2, v5
	v_cndmask_b32_e32 v0, v0, v221, vcc_lo
	s_and_b32 vcc_lo, exec_lo, s2
	s_mov_b32 s2, 0
	v_lshlrev_b32_e32 v0, 2, v0
	s_waitcnt lgkmcnt(0)
	v_dual_add_f32 v2, v2, v3 :: v_dual_add_f32 v1, v1, v4
	ds_bpermute_b32 v3, v5, v2
	ds_bpermute_b32 v4, v5, v1
	s_waitcnt lgkmcnt(0)
	v_dual_add_f32 v2, v2, v3 :: v_dual_add_f32 v1, v1, v4
	ds_bpermute_b32 v3, v0, v2
	v_add_nc_u32_e32 v4, s15, v202
	ds_bpermute_b32 v0, v0, v1
	s_waitcnt lgkmcnt(0)
	v_dual_add_f32 v2, v2, v3 :: v_dual_add_f32 v3, v1, v0
	s_cbranch_vccnz .LBB24_34
; %bb.33:
	s_delay_alu instid0(VALU_DEP_1) | instskip(NEXT) | instid1(VALU_DEP_2)
	v_dual_mov_b32 v0, v2 :: v_dual_add_nc_u32 v5, s15, v202
	v_mov_b32_e32 v1, v3
	s_and_not1_b32 vcc_lo, exec_lo, s2
	s_cbranch_vccz .LBB24_35
	s_branch .LBB24_36
.LBB24_34:
                                        ; implicit-def: $vgpr5
                                        ; implicit-def: $vgpr0_vgpr1
.LBB24_35:
	v_ashrrev_i32_e32 v5, 31, v4
	s_delay_alu instid0(VALU_DEP_1) | instskip(NEXT) | instid1(VALU_DEP_1)
	v_lshlrev_b64 v[0:1], 2, v[4:5]
	v_add_co_u32 v0, vcc_lo, s24, v0
	s_delay_alu instid0(VALU_DEP_2)
	v_add_co_ci_u32_e32 v1, vcc_lo, s25, v1, vcc_lo
	global_load_b64 v[0:1], v[0:1], off
	v_max_f32_e32 v5, v199, v199
	s_waitcnt vmcnt(0)
	v_dual_max_f32 v7, v200, v200 :: v_dual_max_f32 v8, v1, v1
	v_max_f32_e32 v6, v0, v0
	s_delay_alu instid0(VALU_DEP_1) | instskip(NEXT) | instid1(VALU_DEP_1)
	v_dual_max_f32 v7, v7, v8 :: v_dual_max_f32 v6, v5, v6
	v_dual_sub_f32 v8, v200, v7 :: v_dual_sub_f32 v5, v199, v6
	v_dual_sub_f32 v0, v0, v6 :: v_dual_sub_f32 v1, v1, v7
	s_delay_alu instid0(VALU_DEP_2) | instskip(NEXT) | instid1(VALU_DEP_2)
	v_dual_mov_b32 v200, v7 :: v_dual_mul_f32 v11, 0x3fb8aa3b, v8
	v_dual_mul_f32 v9, 0x3fb8aa3b, v5 :: v_dual_mul_f32 v10, 0x3fb8aa3b, v0
	s_delay_alu instid0(VALU_DEP_3) | instskip(SKIP_1) | instid1(VALU_DEP_4)
	v_mul_f32_e32 v12, 0x3fb8aa3b, v1
	v_cmp_ngt_f32_e32 vcc_lo, 0xc2ce8ed0, v5
	v_fma_f32 v17, 0x3fb8aa3b, v8, -v11
	s_delay_alu instid0(VALU_DEP_4)
	v_fma_f32 v13, 0x3fb8aa3b, v5, -v9
	v_rndne_f32_e32 v14, v9
	v_rndne_f32_e32 v16, v10
	;; [unrolled: 1-line block ×3, first 2 shown]
	v_fma_f32 v15, 0x3fb8aa3b, v0, -v10
	v_fmac_f32_e32 v13, 0x32a5705f, v5
	v_sub_f32_e32 v9, v9, v14
	v_fma_f32 v19, 0x3fb8aa3b, v1, -v12
	v_sub_f32_e32 v12, v12, v20
	v_sub_f32_e32 v10, v10, v16
	v_rndne_f32_e32 v18, v11
	v_add_f32_e32 v9, v9, v13
	v_cvt_i32_f32_e32 v13, v14
	v_cvt_i32_f32_e32 v14, v16
	;; [unrolled: 1-line block ×3, first 2 shown]
	v_mov_b32_e32 v199, v6
	v_exp_f32_e32 v9, v9
	s_waitcnt_depctr 0xfff
	v_ldexp_f32 v9, v9, v13
	s_delay_alu instid0(VALU_DEP_1) | instskip(SKIP_2) | instid1(VALU_DEP_1)
	v_cndmask_b32_e32 v9, 0, v9, vcc_lo
	v_cmp_ngt_f32_e32 vcc_lo, 0xc2ce8ed0, v0
	v_fmac_f32_e32 v19, 0x32a5705f, v1
	v_dual_fmac_f32 v15, 0x32a5705f, v0 :: v_dual_add_f32 v12, v12, v19
	s_delay_alu instid0(VALU_DEP_1) | instskip(SKIP_1) | instid1(VALU_DEP_3)
	v_dual_fmac_f32 v17, 0x32a5705f, v8 :: v_dual_add_f32 v10, v10, v15
	v_cvt_i32_f32_e32 v15, v18
	v_exp_f32_e32 v12, v12
	s_delay_alu instid0(VALU_DEP_2) | instskip(SKIP_4) | instid1(VALU_DEP_1)
	v_exp_f32_e32 v10, v10
	s_waitcnt_depctr 0xfff
	v_ldexp_f32 v12, v12, v16
	v_sub_f32_e32 v11, v11, v18
	v_ldexp_f32 v10, v10, v14
	v_dual_add_f32 v11, v11, v17 :: v_dual_cndmask_b32 v10, 0, v10
	v_cmp_ngt_f32_e32 vcc_lo, 0xc2ce8ed0, v8
	s_delay_alu instid0(VALU_DEP_2) | instskip(SKIP_2) | instid1(VALU_DEP_1)
	v_exp_f32_e32 v11, v11
	s_waitcnt_depctr 0xfff
	v_ldexp_f32 v11, v11, v15
	v_cndmask_b32_e32 v11, 0, v11, vcc_lo
	v_cmp_ngt_f32_e32 vcc_lo, 0xc2ce8ed0, v1
	v_cndmask_b32_e32 v12, 0, v12, vcc_lo
	v_cmp_nlt_f32_e32 vcc_lo, 0x42b17218, v5
	v_mov_b32_e32 v5, v4
	v_cndmask_b32_e32 v9, 0x7f800000, v9, vcc_lo
	v_cmp_nlt_f32_e32 vcc_lo, 0x42b17218, v0
	s_delay_alu instid0(VALU_DEP_2) | instskip(SKIP_2) | instid1(VALU_DEP_3)
	v_cvt_f16_f32_e32 v4, v9
	v_cndmask_b32_e32 v0, 0x7f800000, v10, vcc_lo
	v_cmp_nlt_f32_e32 vcc_lo, 0x42b17218, v8
	v_pk_mul_f16 v156, v4, v156 op_sel_hi:[0,1]
	s_delay_alu instid0(VALU_DEP_3)
	v_fmac_f32_e32 v0, v2, v9
	v_cndmask_b32_e32 v8, 0x7f800000, v11, vcc_lo
	v_cmp_nlt_f32_e32 vcc_lo, 0x42b17218, v1
	v_pk_mul_f16 v157, v4, v157 op_sel_hi:[0,1]
	v_pk_mul_f16 v158, v4, v158 op_sel_hi:[0,1]
	;; [unrolled: 1-line block ×3, first 2 shown]
	v_cvt_f16_f32_e32 v2, v8
	v_cndmask_b32_e32 v1, 0x7f800000, v12, vcc_lo
	v_pk_mul_f16 v154, v4, v154 op_sel_hi:[0,1]
	v_pk_mul_f16 v155, v4, v155 op_sel_hi:[0,1]
	;; [unrolled: 1-line block ×4, first 2 shown]
	v_fmac_f32_e32 v1, v3, v8
	v_pk_mul_f16 v150, v2, v150 op_sel_hi:[0,1]
	v_pk_mul_f16 v151, v2, v151 op_sel_hi:[0,1]
	;; [unrolled: 1-line block ×8, first 2 shown]
	v_dual_mov_b32 v2, v0 :: v_dual_mov_b32 v3, v1
.LBB24_36:
	s_load_b32 s1, s[0:1], 0xd4
	v_mov_b32_e32 v6, 1.0
	s_waitcnt lgkmcnt(0)
	s_cmp_lg_u32 s1, 1
	s_cselect_b32 s3, -1, 0
	s_cmp_eq_u32 s1, 1
	s_cselect_b32 s2, -1, 0
	s_and_b32 vcc_lo, exec_lo, s3
	s_cbranch_vccnz .LBB24_38
; %bb.37:
	v_div_scale_f32 v4, null, v2, v2, 1.0
	s_delay_alu instid0(VALU_DEP_1) | instskip(SKIP_2) | instid1(VALU_DEP_1)
	v_rcp_f32_e32 v6, v4
	s_waitcnt_depctr 0xfff
	v_fma_f32 v7, -v4, v6, 1.0
	v_fmac_f32_e32 v6, v7, v6
	v_div_scale_f32 v7, vcc_lo, 1.0, v2, 1.0
	s_delay_alu instid0(VALU_DEP_1) | instskip(NEXT) | instid1(VALU_DEP_1)
	v_mul_f32_e32 v8, v7, v6
	v_fma_f32 v9, -v4, v8, v7
	s_delay_alu instid0(VALU_DEP_1) | instskip(NEXT) | instid1(VALU_DEP_1)
	v_fmac_f32_e32 v8, v9, v6
	v_fma_f32 v4, -v4, v8, v7
	s_delay_alu instid0(VALU_DEP_1) | instskip(NEXT) | instid1(VALU_DEP_1)
	v_div_fmas_f32 v4, v4, v6, v8
	v_div_fixup_f32 v6, v4, v2, 1.0
.LBB24_38:
	v_mad_u64_u32 v[7:8], null, s12, s6, v[192:193]
	v_lshrrev_b32_e32 v2, 16, v157
	v_cvt_f32_f16_e64 v10, v157
	v_lshrrev_b32_e32 v11, 16, v156
	v_mov_b32_e32 v20, 0
	v_cvt_f32_f16_e64 v15, v158
	v_cvt_f32_f16_e32 v2, v2
	v_mad_u64_u32 v[8:9], null, v7, s7, v[5:6]
	v_mul_f32_e32 v9, v6, v10
	v_cvt_f32_f16_e64 v7, v156
	v_lshrrev_b32_e32 v12, 16, v159
	v_mov_b32_e32 v16, v20
	v_cvt_f32_f16_e64 v13, v159
	v_lshrrev_b32_e32 v14, 16, v158
	v_mad_u64_u32 v[4:5], null, s1, v8, s[14:15]
	v_cvt_f32_f16_e32 v8, v11
	v_mul_f32_e32 v7, v6, v7
	v_mul_f32_e32 v11, v6, v15
	v_lshrrev_b32_e32 v5, 16, v155
	v_cvt_f32_f16_e32 v12, v12
	v_mul_f32_e32 v13, v6, v13
	v_lshl_add_u32 v19, v4, 9, v201
	v_mul_f32_e32 v10, v6, v2
	v_lshrrev_b32_e32 v2, 16, v154
	v_cvt_f32_f16_e32 v5, v5
	v_cvt_f32_f16_e32 v21, v14
	v_add_nc_u32_e32 v15, 0x80, v19
	v_lshlrev_b64 v[17:18], 2, v[19:20]
	v_mul_f32_e32 v8, v6, v8
	v_cvt_f32_f16_e32 v2, v2
	v_mul_f32_e32 v14, v6, v12
	v_lshlrev_b64 v[15:16], 2, v[15:16]
	v_mul_f32_e32 v12, v6, v21
	v_add_co_u32 v23, s0, s28, v17
	s_delay_alu instid0(VALU_DEP_1) | instskip(NEXT) | instid1(VALU_DEP_4)
	v_add_co_ci_u32_e64 v24, s0, s29, v18, s0
	v_add_co_u32 v25, s0, s28, v15
	s_delay_alu instid0(VALU_DEP_1)
	v_add_co_ci_u32_e64 v26, s0, s29, v16, s0
	v_add_nc_u32_e32 v15, 0x100, v19
	v_dual_mov_b32 v16, v20 :: v_dual_add_nc_u32 v19, 0x180, v19
	v_mul_f32_e32 v18, v6, v5
	v_lshrrev_b32_e32 v5, 16, v152
	v_cvt_f32_f16_e64 v27, v154
	s_delay_alu instid0(VALU_DEP_4)
	v_lshlrev_b64 v[29:30], 2, v[19:20]
	v_lshlrev_b64 v[21:22], 2, v[15:16]
	v_mul_f32_e32 v16, v6, v2
	v_lshrrev_b32_e32 v2, 16, v153
	v_cvt_f32_f16_e32 v5, v5
	v_cvt_f32_f16_e64 v17, v155
	v_mul_f32_e32 v15, v6, v27
	v_add_co_u32 v27, s0, s28, v21
	v_cvt_f32_f16_e32 v2, v2
	v_cvt_f32_f16_e64 v21, v153
	v_cvt_f32_f16_e64 v31, v152
	v_cmp_eq_u32_e32 vcc_lo, 0, v193
	v_add_co_ci_u32_e64 v28, s0, s29, v22, s0
	v_mul_f32_e32 v20, v6, v5
	v_add_co_u32 v5, s0, s28, v29
	v_mul_f32_e32 v17, v6, v17
	v_mul_f32_e32 v22, v6, v2
	;; [unrolled: 1-line block ×4, first 2 shown]
	v_add_co_ci_u32_e64 v6, s0, s29, v30, s0
	s_and_b32 s0, vcc_lo, s3
	s_clause 0x3
	global_store_b128 v[23:24], v[7:10], off
	global_store_b128 v[25:26], v[11:14], off
	;; [unrolled: 1-line block ×4, first 2 shown]
	s_and_saveexec_b32 s3, s0
	s_cbranch_execz .LBB24_40
; %bb.39:
	v_ashrrev_i32_e32 v5, 31, v4
	v_dual_mov_b32 v7, v199 :: v_dual_mov_b32 v8, v0
	s_delay_alu instid0(VALU_DEP_2) | instskip(NEXT) | instid1(VALU_DEP_1)
	v_lshlrev_b64 v[5:6], 3, v[4:5]
	v_add_co_u32 v5, vcc_lo, s30, v5
	s_delay_alu instid0(VALU_DEP_2)
	v_add_co_ci_u32_e32 v6, vcc_lo, s31, v6, vcc_lo
	global_store_b64 v[5:6], v[7:8], off
.LBB24_40:
	s_or_b32 exec_lo, exec_lo, s3
	v_mov_b32_e32 v0, 1.0
	s_and_not1_b32 vcc_lo, exec_lo, s2
	s_cbranch_vccnz .LBB24_42
; %bb.41:
	v_div_scale_f32 v0, null, v3, v3, 1.0
	s_delay_alu instid0(VALU_DEP_1) | instskip(SKIP_2) | instid1(VALU_DEP_1)
	v_rcp_f32_e32 v2, v0
	s_waitcnt_depctr 0xfff
	v_fma_f32 v5, -v0, v2, 1.0
	v_fmac_f32_e32 v2, v5, v2
	v_div_scale_f32 v5, vcc_lo, 1.0, v3, 1.0
	s_delay_alu instid0(VALU_DEP_1) | instskip(NEXT) | instid1(VALU_DEP_1)
	v_mul_f32_e32 v6, v5, v2
	v_fma_f32 v7, -v0, v6, v5
	s_delay_alu instid0(VALU_DEP_1) | instskip(NEXT) | instid1(VALU_DEP_1)
	v_fmac_f32_e32 v6, v7, v2
	v_fma_f32 v0, -v0, v6, v5
	s_delay_alu instid0(VALU_DEP_1) | instskip(NEXT) | instid1(VALU_DEP_1)
	v_div_fmas_f32 v0, v0, v2, v6
	v_div_fixup_f32 v0, v0, v3, 1.0
.LBB24_42:
	v_lshrrev_b32_e32 v3, 16, v151
	v_cvt_f32_f16_e64 v6, v150
	v_add_nc_u32_e32 v2, s1, v4
	v_cvt_f32_f16_e64 v4, v151
	v_lshrrev_b32_e32 v5, 16, v150
	v_mov_b32_e32 v16, 0
	v_cvt_f32_f16_e32 v10, v3
	v_mul_f32_e32 v3, v0, v6
	v_lshl_add_u32 v15, v2, 9, v201
	v_cvt_f32_f16_e32 v11, v5
	v_mul_f32_e32 v5, v0, v4
	v_lshrrev_b32_e32 v9, 16, v149
	v_mul_f32_e32 v6, v0, v10
	v_lshlrev_b64 v[7:8], 2, v[15:16]
	v_lshrrev_b32_e32 v10, 16, v148
	v_cvt_f32_f16_e64 v13, v149
	v_cvt_f32_f16_e32 v9, v9
	v_mul_f32_e32 v4, v0, v11
	v_cvt_f32_f16_e64 v17, v148
	v_add_co_u32 v19, vcc_lo, s28, v7
	v_add_nc_u32_e32 v7, 0x80, v15
	v_add_co_ci_u32_e32 v20, vcc_lo, s29, v8, vcc_lo
	v_mov_b32_e32 v8, v16
	v_cvt_f32_f16_e32 v14, v10
	v_mul_f32_e32 v10, v0, v9
	v_mul_f32_e32 v9, v0, v13
	v_lshrrev_b32_e32 v13, 16, v147
	v_lshlrev_b64 v[11:12], 2, v[7:8]
	v_mul_f32_e32 v8, v0, v14
	v_mul_f32_e32 v7, v0, v17
	v_lshrrev_b32_e32 v14, 16, v146
	v_cvt_f32_f16_e32 v13, v13
	v_cvt_f32_f16_e64 v17, v147
	v_add_co_u32 v21, vcc_lo, s28, v11
	v_add_co_ci_u32_e32 v22, vcc_lo, s29, v12, vcc_lo
	v_add_nc_u32_e32 v11, 0x100, v15
	v_dual_mov_b32 v12, v16 :: v_dual_add_nc_u32 v15, 0x180, v15
	v_cvt_f32_f16_e32 v23, v14
	v_mul_f32_e32 v14, v0, v13
	v_mul_f32_e32 v13, v0, v17
	v_lshrrev_b32_e32 v25, 16, v144
	v_lshlrev_b64 v[17:18], 2, v[11:12]
	v_lshrrev_b32_e32 v26, 16, v145
	v_cvt_f32_f16_e64 v24, v146
	v_mul_f32_e32 v12, v0, v23
	v_cvt_f32_f16_e64 v27, v144
	v_cvt_f32_f16_e64 v29, v145
	v_add_co_u32 v23, vcc_lo, s28, v17
	v_cvt_f32_f16_e32 v17, v25
	v_cvt_f32_f16_e32 v28, v26
	v_lshlrev_b64 v[25:26], 2, v[15:16]
	v_mul_f32_e32 v11, v0, v24
	v_add_co_ci_u32_e32 v24, vcc_lo, s29, v18, vcc_lo
	v_mul_f32_e32 v18, v0, v17
	v_mul_f32_e32 v17, v0, v27
	v_add_co_u32 v25, vcc_lo, s28, v25
	v_mul_f32_e32 v16, v0, v28
	v_mul_f32_e32 v15, v0, v29
	v_add_co_ci_u32_e32 v26, vcc_lo, s29, v26, vcc_lo
	s_clause 0x3
	global_store_b128 v[19:20], v[3:6], off
	global_store_b128 v[21:22], v[7:10], off
	global_store_b128 v[23:24], v[11:14], off
	global_store_b128 v[25:26], v[15:18], off
	s_and_saveexec_b32 s1, s0
	s_cbranch_execz .LBB24_44
; %bb.43:
	v_ashrrev_i32_e32 v3, 31, v2
	v_mov_b32_e32 v0, v200
	s_delay_alu instid0(VALU_DEP_2) | instskip(NEXT) | instid1(VALU_DEP_1)
	v_lshlrev_b64 v[2:3], 3, v[2:3]
	v_add_co_u32 v2, vcc_lo, s30, v2
	s_delay_alu instid0(VALU_DEP_2)
	v_add_co_ci_u32_e32 v3, vcc_lo, s31, v3, vcc_lo
	global_store_b64 v[2:3], v[0:1], off
.LBB24_44:
	s_nop 0
	s_sendmsg sendmsg(MSG_DEALLOC_VGPRS)
	s_endpgm
	.section	.rodata,"a",@progbits
	.p2align	6, 0x0
	.amdhsa_kernel _ZL15flash_attn_tileILi576ELi512ELi1ELi16ELb1EEvPKcS1_S1_S1_S1_PKiPfP15HIP_vector_typeIfLj2EEffffjfiS5_IjLj3EEiiiiiiiiiiiliiliiiiil
		.amdhsa_group_segment_fixed_size 29696
		.amdhsa_private_segment_fixed_size 0
		.amdhsa_kernarg_size 464
		.amdhsa_user_sgpr_count 13
		.amdhsa_user_sgpr_dispatch_ptr 0
		.amdhsa_user_sgpr_queue_ptr 0
		.amdhsa_user_sgpr_kernarg_segment_ptr 1
		.amdhsa_user_sgpr_dispatch_id 0
		.amdhsa_user_sgpr_private_segment_size 0
		.amdhsa_wavefront_size32 1
		.amdhsa_uses_dynamic_stack 0
		.amdhsa_enable_private_segment 0
		.amdhsa_system_sgpr_workgroup_id_x 1
		.amdhsa_system_sgpr_workgroup_id_y 1
		.amdhsa_system_sgpr_workgroup_id_z 1
		.amdhsa_system_sgpr_workgroup_info 0
		.amdhsa_system_vgpr_workitem_id 1
		.amdhsa_next_free_vgpr 241
		.amdhsa_next_free_sgpr 40
		.amdhsa_reserve_vcc 1
		.amdhsa_float_round_mode_32 0
		.amdhsa_float_round_mode_16_64 0
		.amdhsa_float_denorm_mode_32 3
		.amdhsa_float_denorm_mode_16_64 3
		.amdhsa_dx10_clamp 1
		.amdhsa_ieee_mode 1
		.amdhsa_fp16_overflow 0
		.amdhsa_workgroup_processor_mode 1
		.amdhsa_memory_ordered 1
		.amdhsa_forward_progress 0
		.amdhsa_shared_vgpr_count 0
		.amdhsa_exception_fp_ieee_invalid_op 0
		.amdhsa_exception_fp_denorm_src 0
		.amdhsa_exception_fp_ieee_div_zero 0
		.amdhsa_exception_fp_ieee_overflow 0
		.amdhsa_exception_fp_ieee_underflow 0
		.amdhsa_exception_fp_ieee_inexact 0
		.amdhsa_exception_int_div_zero 0
	.end_amdhsa_kernel
	.section	.text._ZL15flash_attn_tileILi576ELi512ELi1ELi16ELb1EEvPKcS1_S1_S1_S1_PKiPfP15HIP_vector_typeIfLj2EEffffjfiS5_IjLj3EEiiiiiiiiiiiliiliiiiil,"axG",@progbits,_ZL15flash_attn_tileILi576ELi512ELi1ELi16ELb1EEvPKcS1_S1_S1_S1_PKiPfP15HIP_vector_typeIfLj2EEffffjfiS5_IjLj3EEiiiiiiiiiiiliiliiiiil,comdat
.Lfunc_end24:
	.size	_ZL15flash_attn_tileILi576ELi512ELi1ELi16ELb1EEvPKcS1_S1_S1_S1_PKiPfP15HIP_vector_typeIfLj2EEffffjfiS5_IjLj3EEiiiiiiiiiiiliiliiiiil, .Lfunc_end24-_ZL15flash_attn_tileILi576ELi512ELi1ELi16ELb1EEvPKcS1_S1_S1_S1_PKiPfP15HIP_vector_typeIfLj2EEffffjfiS5_IjLj3EEiiiiiiiiiiiliiliiiiil
                                        ; -- End function
	.section	.AMDGPU.csdata,"",@progbits
; Kernel info:
; codeLenInByte = 43816
; NumSgprs: 42
; NumVgprs: 241
; ScratchSize: 0
; MemoryBound: 0
; FloatMode: 240
; IeeeMode: 1
; LDSByteSize: 29696 bytes/workgroup (compile time only)
; SGPRBlocks: 5
; VGPRBlocks: 30
; NumSGPRsForWavesPerEU: 42
; NumVGPRsForWavesPerEU: 241
; Occupancy: 5
; WaveLimiterHint : 1
; COMPUTE_PGM_RSRC2:SCRATCH_EN: 0
; COMPUTE_PGM_RSRC2:USER_SGPR: 13
; COMPUTE_PGM_RSRC2:TRAP_HANDLER: 0
; COMPUTE_PGM_RSRC2:TGID_X_EN: 1
; COMPUTE_PGM_RSRC2:TGID_Y_EN: 1
; COMPUTE_PGM_RSRC2:TGID_Z_EN: 1
; COMPUTE_PGM_RSRC2:TIDIG_COMP_CNT: 1
	.section	.text._ZL15flash_attn_tileILi576ELi512ELi8ELi4ELb1EEvPKcS1_S1_S1_S1_PKiPfP15HIP_vector_typeIfLj2EEffffjfiS5_IjLj3EEiiiiiiiiiiiliiliiiiil,"axG",@progbits,_ZL15flash_attn_tileILi576ELi512ELi8ELi4ELb1EEvPKcS1_S1_S1_S1_PKiPfP15HIP_vector_typeIfLj2EEffffjfiS5_IjLj3EEiiiiiiiiiiiliiliiiiil,comdat
	.globl	_ZL15flash_attn_tileILi576ELi512ELi8ELi4ELb1EEvPKcS1_S1_S1_S1_PKiPfP15HIP_vector_typeIfLj2EEffffjfiS5_IjLj3EEiiiiiiiiiiiliiliiiiil ; -- Begin function _ZL15flash_attn_tileILi576ELi512ELi8ELi4ELb1EEvPKcS1_S1_S1_S1_PKiPfP15HIP_vector_typeIfLj2EEffffjfiS5_IjLj3EEiiiiiiiiiiiliiliiiiil
	.p2align	8
	.type	_ZL15flash_attn_tileILi576ELi512ELi8ELi4ELb1EEvPKcS1_S1_S1_S1_PKiPfP15HIP_vector_typeIfLj2EEffffjfiS5_IjLj3EEiiiiiiiiiiiliiliiiiil,@function
_ZL15flash_attn_tileILi576ELi512ELi8ELi4ELb1EEvPKcS1_S1_S1_S1_PKiPfP15HIP_vector_typeIfLj2EEffffjfiS5_IjLj3EEiiiiiiiiiiiliiliiiiil: ; @_ZL15flash_attn_tileILi576ELi512ELi8ELi4ELb1EEvPKcS1_S1_S1_S1_PKiPfP15HIP_vector_typeIfLj2EEffffjfiS5_IjLj3EEiiiiiiiiiiiliiliiiiil
; %bb.0:
	s_clause 0x1
	s_load_b128 s[4:7], s[0:1], 0x5c
	s_load_b64 s[34:35], s[0:1], 0x80
	s_mov_b64 s[36:37], 0
	s_waitcnt lgkmcnt(0)
	s_ashr_i32 s2, s7, 31
	s_delay_alu instid0(SALU_CYCLE_1) | instskip(NEXT) | instid1(SALU_CYCLE_1)
	s_lshr_b32 s2, s2, 30
	s_add_i32 s2, s7, s2
	s_delay_alu instid0(SALU_CYCLE_1) | instskip(NEXT) | instid1(SALU_CYCLE_1)
	s_ashr_i32 s2, s2, 2
	v_cvt_f32_u32_e32 v1, s2
	s_sub_i32 s8, 0, s2
	s_delay_alu instid0(VALU_DEP_1) | instskip(SKIP_2) | instid1(VALU_DEP_1)
	v_rcp_iflag_f32_e32 v1, v1
	s_waitcnt_depctr 0xfff
	v_mul_f32_e32 v1, 0x4f7ffffe, v1
	v_cvt_u32_f32_e32 v1, v1
	s_delay_alu instid0(VALU_DEP_1) | instskip(NEXT) | instid1(VALU_DEP_1)
	v_readfirstlane_b32 s3, v1
	s_mul_i32 s8, s8, s3
	s_delay_alu instid0(SALU_CYCLE_1) | instskip(NEXT) | instid1(SALU_CYCLE_1)
	s_mul_hi_u32 s8, s3, s8
	s_add_i32 s3, s3, s8
	s_delay_alu instid0(SALU_CYCLE_1) | instskip(NEXT) | instid1(SALU_CYCLE_1)
	s_mul_hi_u32 s3, s15, s3
	s_mul_i32 s8, s3, s2
	s_add_i32 s9, s3, 1
	s_sub_i32 s8, s15, s8
	s_delay_alu instid0(SALU_CYCLE_1)
	s_sub_i32 s10, s8, s2
	s_cmp_ge_u32 s8, s2
	s_cselect_b32 s3, s9, s3
	s_cselect_b32 s8, s10, s8
	s_add_i32 s9, s3, 1
	s_cmp_ge_u32 s8, s2
	s_cselect_b32 s33, s9, s3
	s_abs_i32 s2, s35
	s_abs_i32 s11, s7
	v_cvt_f32_u32_e32 v1, s2
	s_sub_i32 s8, 0, s2
	s_lshl_b32 s9, s15, 2
	s_mul_i32 s10, s33, s7
	s_delay_alu instid0(VALU_DEP_1) | instskip(SKIP_3) | instid1(VALU_DEP_1)
	v_rcp_iflag_f32_e32 v1, v1
	s_sub_i32 s12, s9, s10
	s_waitcnt_depctr 0xfff
	v_mul_f32_e32 v1, 0x4f7ffffe, v1
	v_cvt_u32_f32_e32 v1, v1
	s_delay_alu instid0(VALU_DEP_1) | instskip(NEXT) | instid1(VALU_DEP_1)
	v_readfirstlane_b32 s3, v1
	s_mul_i32 s8, s8, s3
	s_delay_alu instid0(SALU_CYCLE_1) | instskip(NEXT) | instid1(SALU_CYCLE_1)
	s_mul_hi_u32 s8, s3, s8
	s_add_i32 s3, s3, s8
	s_xor_b32 s8, s7, s35
	s_mul_hi_u32 s3, s11, s3
	s_ashr_i32 s8, s8, 31
	s_mul_i32 s9, s3, s2
	s_add_i32 s10, s3, 1
	s_sub_i32 s9, s11, s9
	s_delay_alu instid0(SALU_CYCLE_1)
	s_sub_i32 s11, s9, s2
	s_cmp_ge_u32 s9, s2
	s_cselect_b32 s3, s10, s3
	s_cselect_b32 s9, s11, s9
	s_add_i32 s10, s3, 1
	s_cmp_ge_u32 s9, s2
	s_cselect_b32 s2, s10, s3
	s_delay_alu instid0(SALU_CYCLE_1) | instskip(NEXT) | instid1(SALU_CYCLE_1)
	s_xor_b32 s2, s2, s8
	s_sub_i32 s15, s2, s8
	s_clause 0x1
	s_load_b512 s[16:31], s[0:1], 0x0
	s_load_b64 s[2:3], s[0:1], 0xb8
	s_abs_i32 s35, s15
	s_delay_alu instid0(SALU_CYCLE_1) | instskip(NEXT) | instid1(VALU_DEP_1)
	v_cvt_f32_u32_e32 v1, s35
	v_rcp_iflag_f32_e32 v1, v1
	s_waitcnt_depctr 0xfff
	v_mul_f32_e32 v1, 0x4f7ffffe, v1
	s_waitcnt lgkmcnt(0)
	s_cmp_eq_u64 s[22:23], 0
	s_delay_alu instid0(VALU_DEP_1) | instskip(NEXT) | instid1(VALU_DEP_1)
	v_cvt_u32_f32_e32 v1, v1
	v_readfirstlane_b32 s38, v1
	s_cbranch_scc1 .LBB25_2
; %bb.1:
	s_abs_i32 s2, s2
	s_abs_i32 s10, s33
	v_cvt_f32_u32_e32 v1, s2
	s_sub_i32 s9, 0, s2
	s_delay_alu instid0(VALU_DEP_1) | instskip(SKIP_2) | instid1(VALU_DEP_1)
	v_rcp_iflag_f32_e32 v1, v1
	s_waitcnt_depctr 0xfff
	v_mul_f32_e32 v1, 0x4f7ffffe, v1
	v_cvt_u32_f32_e32 v1, v1
	s_delay_alu instid0(VALU_DEP_1) | instskip(NEXT) | instid1(VALU_DEP_1)
	v_readfirstlane_b32 s8, v1
	s_mul_i32 s9, s9, s8
	s_delay_alu instid0(SALU_CYCLE_1) | instskip(NEXT) | instid1(SALU_CYCLE_1)
	s_mul_hi_u32 s9, s8, s9
	s_add_i32 s11, s8, s9
	s_load_b64 s[8:9], s[0:1], 0xc8
	s_mul_hi_u32 s11, s10, s11
	s_delay_alu instid0(SALU_CYCLE_1) | instskip(NEXT) | instid1(SALU_CYCLE_1)
	s_mul_i32 s11, s11, s2
	s_sub_i32 s10, s10, s11
	s_ashr_i32 s11, s33, 31
	s_sub_i32 s36, s10, s2
	s_cmp_ge_u32 s10, s2
	s_cselect_b32 s10, s36, s10
	s_delay_alu instid0(SALU_CYCLE_1) | instskip(SKIP_2) | instid1(SALU_CYCLE_1)
	s_sub_i32 s36, s10, s2
	s_cmp_ge_u32 s10, s2
	s_cselect_b32 s2, s36, s10
	s_xor_b32 s2, s2, s11
	s_delay_alu instid0(SALU_CYCLE_1)
	s_sub_i32 s2, s2, s11
	s_waitcnt lgkmcnt(0)
	s_mul_i32 s9, s2, s9
	s_mul_hi_u32 s10, s2, s8
	s_ashr_i32 s11, s2, 31
	s_add_i32 s9, s10, s9
	s_mul_i32 s11, s11, s8
	s_mul_i32 s2, s2, s8
	s_add_i32 s9, s9, s11
	s_add_u32 s36, s22, s2
	s_addc_u32 s37, s23, s9
.LBB25_2:
	v_bfe_u32 v4, v0, 10, 10
	s_load_b128 s[8:11], s[0:1], 0x70
	v_and_b32_e32 v17, 0x3ff, v0
	s_delay_alu instid0(VALU_DEP_2) | instskip(NEXT) | instid1(VALU_DEP_1)
	v_lshl_add_u32 v16, s13, 3, v4
	v_mul_hi_u32 v1, s4, v16
	s_delay_alu instid0(VALU_DEP_1) | instskip(SKIP_3) | instid1(VALU_DEP_1)
	v_add_nc_u32_e32 v1, v16, v1
	s_waitcnt lgkmcnt(0)
	s_mul_i32 s2, s33, s10
	s_mul_i32 s4, s12, s9
	v_lshrrev_b32_e32 v1, s5, v1
	s_ashr_i32 s5, s2, 31
	s_add_u32 s2, s16, s2
	s_addc_u32 s5, s17, s5
	s_ashr_i32 s10, s4, 31
	v_mul_lo_u32 v1, v1, s6
	s_add_u32 s2, s2, s4
	s_addc_u32 s4, s5, s10
	s_ashr_i32 s5, s8, 31
	s_delay_alu instid0(SALU_CYCLE_1) | instskip(SKIP_2) | instid1(VALU_DEP_2)
	v_alignbit_b32 v3, s5, s8, 2
	s_lshr_b32 s5, s5, 2
	s_load_b32 s8, s[0:1], 0x40
	v_sub_nc_u32_e32 v5, v16, v1
	s_delay_alu instid0(VALU_DEP_1) | instskip(NEXT) | instid1(VALU_DEP_1)
	v_mad_u64_u32 v[1:2], null, v3, v5, 0
	v_mad_u64_u32 v[6:7], null, s5, v5, v[2:3]
	v_mul_u32_u24_e32 v3, 0x480, v4
	s_delay_alu instid0(VALU_DEP_2) | instskip(NEXT) | instid1(VALU_DEP_1)
	v_mov_b32_e32 v2, v6
	v_lshlrev_b64 v[0:1], 2, v[1:2]
	v_lshlrev_b32_e32 v2, 4, v17
	s_delay_alu instid0(VALU_DEP_2) | instskip(NEXT) | instid1(VALU_DEP_3)
	v_add_co_u32 v0, vcc_lo, s2, v0
	v_add_co_ci_u32_e32 v1, vcc_lo, s4, v1, vcc_lo
	s_delay_alu instid0(VALU_DEP_2) | instskip(NEXT) | instid1(VALU_DEP_2)
	v_add_co_u32 v0, vcc_lo, v0, v2
	v_add_co_ci_u32_e32 v1, vcc_lo, 0, v1, vcc_lo
	v_lshlrev_b32_e32 v2, 1, v17
	v_cmp_gt_u32_e32 vcc_lo, 16, v17
	s_clause 0x3
	global_load_b128 v[7:10], v[0:1], off
	global_load_b128 v[11:14], v[0:1], off offset:512
	global_load_b128 v[18:21], v[0:1], off offset:1024
	;; [unrolled: 1-line block ×3, first 2 shown]
	v_add_lshl_u32 v6, v3, v2, 2
	s_waitcnt vmcnt(3) lgkmcnt(0)
	v_fma_mixlo_f16 v2, v7, s8, 0
	v_fma_mixlo_f16 v3, v9, s8, 0
	s_waitcnt vmcnt(2)
	v_fma_mixlo_f16 v26, v11, s8, 0
	v_fma_mixlo_f16 v27, v13, s8, 0
	s_waitcnt vmcnt(1)
	;; [unrolled: 3-line block ×3, first 2 shown]
	v_fma_mixlo_f16 v30, v22, s8, 0
	v_fma_mixlo_f16 v31, v24, s8, 0
	v_fma_mixhi_f16 v3, v10, s8, 0
	v_fma_mixhi_f16 v2, v8, s8, 0
	;; [unrolled: 1-line block ×8, first 2 shown]
	ds_store_2addr_b64 v6, v[2:3], v[26:27] offset1:32
	ds_store_2addr_b64 v6, v[28:29], v[30:31] offset0:64 offset1:96
	s_and_saveexec_b32 s2, vcc_lo
	s_cbranch_execz .LBB25_4
; %bb.3:
	global_load_b128 v[7:10], v[0:1], off offset:2048
	s_waitcnt vmcnt(0)
	v_fma_mixlo_f16 v3, v9, s8, 0
	v_fma_mixlo_f16 v2, v7, s8, 0
	s_delay_alu instid0(VALU_DEP_2) | instskip(NEXT) | instid1(VALU_DEP_2)
	v_fma_mixhi_f16 v3, v10, s8, 0
	v_fma_mixhi_f16 v2, v8, s8, 0
	ds_store_b64 v6, v[2:3] offset:1024
.LBB25_4:
	s_or_b32 exec_lo, exec_lo, s2
	s_and_b32 s2, s9, -4
	s_ashr_i32 s5, s9, 31
	v_add_co_u32 v2, s2, v0, s2
	s_delay_alu instid0(VALU_DEP_1)
	v_add_co_ci_u32_e64 v3, s2, s5, v1, s2
	s_mov_b32 s4, s9
	s_clause 0x3
	global_load_b128 v[7:10], v[2:3], off
	global_load_b128 v[11:14], v[2:3], off offset:512
	global_load_b128 v[18:21], v[2:3], off offset:1024
	;; [unrolled: 1-line block ×3, first 2 shown]
	s_lshr_b64 s[4:5], s[4:5], 2
	s_waitcnt vmcnt(3)
	v_fma_mixlo_f16 v26, v7, s8, 0
	v_fma_mixlo_f16 v27, v9, s8, 0
	s_waitcnt vmcnt(2)
	v_fma_mixlo_f16 v28, v11, s8, 0
	v_fma_mixlo_f16 v29, v13, s8, 0
	;; [unrolled: 3-line block ×4, first 2 shown]
	v_fma_mixhi_f16 v27, v10, s8, 0
	v_fma_mixhi_f16 v26, v8, s8, 0
	;; [unrolled: 1-line block ×8, first 2 shown]
	ds_store_2addr_b64 v6, v[26:27], v[28:29] offset0:144 offset1:176
	ds_store_2addr_b64 v6, v[30:31], v[32:33] offset0:208 offset1:240
	s_and_saveexec_b32 s2, vcc_lo
	s_cbranch_execz .LBB25_6
; %bb.5:
	global_load_b128 v[7:10], v[2:3], off offset:2048
	s_waitcnt vmcnt(0)
	v_fma_mixlo_f16 v3, v9, s8, 0
	v_fma_mixlo_f16 v2, v7, s8, 0
	s_delay_alu instid0(VALU_DEP_2) | instskip(NEXT) | instid1(VALU_DEP_2)
	v_fma_mixhi_f16 v3, v10, s8, 0
	v_fma_mixhi_f16 v2, v8, s8, 0
	ds_store_b64 v6, v[2:3] offset:2176
.LBB25_6:
	s_or_b32 exec_lo, exec_lo, s2
	s_lshl_b64 s[10:11], s[4:5], 3
	v_add_nc_u32_e32 v7, 0x800, v6
	v_add_co_u32 v2, s2, v0, s10
	s_delay_alu instid0(VALU_DEP_1)
	v_add_co_ci_u32_e64 v3, s2, s11, v1, s2
	s_clause 0x3
	global_load_b128 v[8:11], v[2:3], off
	global_load_b128 v[12:15], v[2:3], off offset:512
	global_load_b128 v[18:21], v[2:3], off offset:1024
	;; [unrolled: 1-line block ×3, first 2 shown]
	s_waitcnt vmcnt(3)
	v_fma_mixlo_f16 v26, v8, s8, 0
	v_fma_mixlo_f16 v27, v10, s8, 0
	s_waitcnt vmcnt(2)
	v_fma_mixlo_f16 v28, v12, s8, 0
	v_fma_mixlo_f16 v29, v14, s8, 0
	;; [unrolled: 3-line block ×4, first 2 shown]
	v_fma_mixhi_f16 v27, v11, s8, 0
	v_fma_mixhi_f16 v26, v9, s8, 0
	;; [unrolled: 1-line block ×8, first 2 shown]
	ds_store_2addr_b64 v7, v[26:27], v[28:29] offset0:32 offset1:64
	ds_store_2addr_b64 v7, v[30:31], v[32:33] offset0:96 offset1:128
	s_and_saveexec_b32 s2, vcc_lo
	s_cbranch_execz .LBB25_8
; %bb.7:
	global_load_b128 v[8:11], v[2:3], off offset:2048
	s_waitcnt vmcnt(0)
	v_fma_mixlo_f16 v3, v10, s8, 0
	v_fma_mixlo_f16 v2, v8, s8, 0
	s_delay_alu instid0(VALU_DEP_2) | instskip(NEXT) | instid1(VALU_DEP_2)
	v_fma_mixhi_f16 v3, v11, s8, 0
	v_fma_mixhi_f16 v2, v9, s8, 0
	ds_store_b64 v6, v[2:3] offset:3328
.LBB25_8:
	s_or_b32 exec_lo, exec_lo, s2
	v_mad_u64_u32 v[2:3], null, s4, 12, v[0:1]
	v_add_nc_u32_e32 v32, 0xc00, v6
	s_delay_alu instid0(VALU_DEP_2) | instskip(NEXT) | instid1(VALU_DEP_1)
	v_mov_b32_e32 v0, v3
	v_mad_u64_u32 v[8:9], null, s5, 12, v[0:1]
	s_delay_alu instid0(VALU_DEP_1)
	v_mov_b32_e32 v3, v8
	s_clause 0x3
	global_load_b128 v[8:11], v[2:3], off
	global_load_b128 v[12:15], v[2:3], off offset:512
	global_load_b128 v[18:21], v[2:3], off offset:1024
	;; [unrolled: 1-line block ×3, first 2 shown]
	s_waitcnt vmcnt(3)
	v_fma_mixlo_f16 v0, v8, s8, 0
	v_fma_mixlo_f16 v1, v10, s8, 0
	s_waitcnt vmcnt(2)
	v_fma_mixlo_f16 v26, v12, s8, 0
	v_fma_mixlo_f16 v27, v14, s8, 0
	;; [unrolled: 3-line block ×4, first 2 shown]
	v_fma_mixhi_f16 v1, v11, s8, 0
	v_fma_mixhi_f16 v0, v9, s8, 0
	;; [unrolled: 1-line block ×8, first 2 shown]
	ds_store_2addr_b64 v7, v[0:1], v[26:27] offset0:176 offset1:208
	ds_store_2addr_b64 v32, v[28:29], v[30:31] offset0:112 offset1:144
	s_and_saveexec_b32 s2, vcc_lo
	s_cbranch_execz .LBB25_10
; %bb.9:
	global_load_b128 v[0:3], v[2:3], off offset:2048
	s_waitcnt vmcnt(0)
	v_fma_mixlo_f16 v8, v2, s8, 0
	v_fma_mixlo_f16 v7, v0, s8, 0
	s_delay_alu instid0(VALU_DEP_2) | instskip(NEXT) | instid1(VALU_DEP_2)
	v_fma_mixhi_f16 v8, v3, s8, 0
	v_fma_mixhi_f16 v7, v1, s8, 0
	ds_store_b64 v6, v[7:8] offset:4480
.LBB25_10:
	s_or_b32 exec_lo, exec_lo, s2
	s_cmp_eq_u64 s[26:27], 0
	s_waitcnt lgkmcnt(0)
	s_barrier
	buffer_gl0_inv
	s_cbranch_scc1 .LBB25_12
; %bb.11:
	s_load_b32 s2, s[0:1], 0xd0
	s_mov_b32 s5, 0
	s_waitcnt lgkmcnt(0)
	s_mul_i32 s2, s2, s33
	s_delay_alu instid0(SALU_CYCLE_1) | instskip(NEXT) | instid1(SALU_CYCLE_1)
	s_add_i32 s4, s2, s13
	s_lshl_b64 s[4:5], s[4:5], 2
	s_delay_alu instid0(SALU_CYCLE_1)
	s_add_u32 s4, s26, s4
	s_addc_u32 s5, s27, s5
	s_load_b32 s34, s[4:5], 0x0
.LBB25_12:
	v_lshlrev_b32_e32 v31, 2, v17
	v_mbcnt_lo_u32_b32 v32, -1, 0
	s_lshl_b32 s13, s14, 7
	s_waitcnt lgkmcnt(0)
	s_cmp_lt_i32 s13, s34
	s_cbranch_scc1 .LBB25_14
; %bb.13:
	v_mbcnt_lo_u32_b32 v6, -1, 0
	v_mov_b32_e32 v33, 32
	s_mov_b32 s2, 0
	s_mov_b32 s4, 0xfeffffff
	s_delay_alu instid0(VALU_DEP_2)
	v_xor_b32_e32 v47, 16, v6
	v_xor_b32_e32 v15, 8, v6
	;; [unrolled: 1-line block ×5, first 2 shown]
	s_branch .LBB25_15
.LBB25_14:
	s_mov_b32 s2, -1
                                        ; implicit-def: $sgpr4
                                        ; implicit-def: $vgpr6
                                        ; implicit-def: $vgpr33
                                        ; implicit-def: $vgpr47
                                        ; implicit-def: $vgpr15
                                        ; implicit-def: $vgpr14
                                        ; implicit-def: $vgpr13
                                        ; implicit-def: $vgpr12
.LBB25_15:
	s_delay_alu instid0(SALU_CYCLE_1) | instskip(SKIP_3) | instid1(VALU_DEP_4)
	v_cndmask_b32_e64 v0, 0, 1, s2
	v_dual_mov_b32 v3, s4 :: v_dual_mov_b32 v2, s4
	v_mov_b32_e32 v83, s2
	v_dual_mov_b32 v67, s2 :: v_dual_mov_b32 v82, s2
	v_cmp_ne_u32_e32 vcc_lo, 1, v0
	v_dual_mov_b32 v1, s4 :: v_dual_mov_b32 v80, s2
	v_dual_mov_b32 v0, s4 :: v_dual_mov_b32 v81, s2
	;; [unrolled: 1-line block ×11, first 2 shown]
	v_mov_b32_e32 v62, s2
	v_dual_mov_b32 v58, s2 :: v_dual_mov_b32 v61, s2
	v_dual_mov_b32 v56, s2 :: v_dual_mov_b32 v57, s2
	;; [unrolled: 1-line block ×6, first 2 shown]
	s_cbranch_vccnz .LBB25_88
; %bb.16:
	s_clause 0x1
	s_load_b128 s[8:11], s[0:1], 0x98
	s_load_b64 s[4:5], s[0:1], 0x8c
	s_sub_i32 s2, 0, s35
	s_abs_i32 s16, s12
	s_mul_i32 s2, s2, s38
	s_ashr_i32 s22, s15, 31
	s_mul_hi_u32 s2, s38, s2
	s_ashr_i32 s27, s33, 31
	s_add_i32 s38, s38, s2
	s_ashr_i32 s17, s12, 31
	s_mul_hi_u32 s26, s16, s38
	s_ashr_i32 s23, s3, 1
	s_load_b64 s[2:3], s[0:1], 0xa8
	s_mul_i32 s38, s26, s35
	v_lshrrev_b32_e32 v0, 3, v17
	v_dual_mov_b32 v91, 0xfeffffff :: v_dual_and_b32 v12, 28, v31
	v_dual_mov_b32 v48, 0 :: v_dual_lshlrev_b32 v11, 10, v4
	v_mov_b32_e32 v54, 0
	s_waitcnt lgkmcnt(0)
	s_mul_i32 s39, s27, s8
	s_ashr_i32 s15, s4, 2
	s_mul_i32 s4, s33, s9
	s_mul_hi_u32 s9, s33, s8
	s_mul_i32 s8, s33, s8
	s_add_i32 s4, s9, s4
	s_ashr_i32 s10, s10, 2
	s_add_i32 s4, s4, s39
	s_add_u32 s8, s18, s8
	s_addc_u32 s4, s19, s4
	s_sub_i32 s16, s16, s38
	s_xor_b32 s9, s17, s22
	s_add_i32 s17, s26, 1
	s_sub_i32 s18, s16, s35
	s_cmp_ge_u32 s16, s35
	v_lshl_add_u32 v1, v4, 2, v0
	s_cselect_b32 s17, s17, s26
	s_cselect_b32 s16, s18, s16
	s_add_i32 s18, s17, 1
	s_cmp_ge_u32 s16, s35
	s_mul_i32 s3, s33, s3
	s_cselect_b32 s16, s18, s17
	s_mul_hi_u32 s17, s33, s2
	s_xor_b32 s16, s16, s9
	s_mul_i32 s27, s27, s2
	s_sub_i32 s16, s16, s9
	v_mul_lo_u32 v0, s15, v1
	s_mul_i32 s5, s16, s5
	s_mul_i32 s2, s33, s2
	s_ashr_i32 s9, s5, 31
	s_add_u32 s8, s8, s5
	s_addc_u32 s9, s4, s9
	s_add_i32 s3, s17, s3
	s_mul_i32 s16, s16, s11
	s_add_i32 s3, s3, s27
	s_add_u32 s2, s20, s2
	s_addc_u32 s3, s21, s3
	s_ashr_i32 s4, s16, 31
	s_add_u32 s11, s2, s16
	s_addc_u32 s16, s3, s4
	s_lshl_b32 s2, s15, 5
	v_mul_lo_u32 v10, s10, v4
	v_dual_mov_b32 v33, 32 :: v_dual_add_nc_u32 v2, s2, v0
	v_lshlrev_b32_e32 v3, 2, v12
	s_load_b32 s17, s[0:1], 0x54
	v_mul_u32_u24_e32 v39, 0x1200, v4
	s_delay_alu instid0(VALU_DEP_3) | instskip(NEXT) | instid1(VALU_DEP_3)
	v_dual_mov_b32 v49, 0 :: v_dual_add_nc_u32 v6, s2, v2
	v_mad_u32_u24 v9, 0x90, v1, v3
	v_lshl_add_u32 v4, s10, 3, v10
	v_ashrrev_i32_e32 v1, 31, v0
	s_delay_alu instid0(VALU_DEP_4) | instskip(NEXT) | instid1(VALU_DEP_4)
	v_dual_mov_b32 v51, 0 :: v_dual_add_nc_u32 v8, s2, v6
	v_dual_mov_b32 v53, 0 :: v_dual_add_nc_u32 v34, 0x9000, v9
	;; [unrolled: 1-line block ×3, first 2 shown]
	v_ashrrev_i32_e32 v3, 31, v2
	v_dual_mov_b32 v55, 0 :: v_dual_add_nc_u32 v36, 0xb400, v9
	v_ashrrev_i32_e32 v7, 31, v6
	v_dual_mov_b32 v50, 0 :: v_dual_add_nc_u32 v37, 0xc600, v9
	v_ashrrev_i32_e32 v9, 31, v8
	v_lshl_add_u32 v13, v31, 2, v11
	v_mad_u64_u32 v[18:19], null, v5, s23, v[17:18]
	v_dual_mov_b32 v57, 0 :: v_dual_add_nc_u32 v40, 0xd800, v11
	v_ashrrev_i32_e32 v11, 31, v10
	v_ashrrev_i32_e32 v5, 31, v4
	v_lshlrev_b64 v[19:20], 2, v[0:1]
	v_lshlrev_b64 v[21:22], 2, v[2:3]
	;; [unrolled: 1-line block ×6, first 2 shown]
	v_mul_u32_u24_e32 v38, 0x90, v17
	v_dual_mov_b32 v56, 0 :: v_dual_lshlrev_b32 v41, 3, v17
	v_dual_mov_b32 v61, 0 :: v_dual_add_nc_u32 v42, 0x9000, v13
	v_dual_mov_b32 v58, 0 :: v_dual_add_nc_u32 v43, 0x9200, v13
	;; [unrolled: 1-line block ×4, first 2 shown]
	v_dual_mov_b32 v59, 0 :: v_dual_lshlrev_b32 v46, 2, v12
	v_dual_mov_b32 v60, 0 :: v_dual_mov_b32 v65, 0
	v_dual_mov_b32 v66, 0 :: v_dual_mov_b32 v71, 0
	;; [unrolled: 1-line block ×11, first 2 shown]
	v_mov_b32_e32 v86, 0
	v_mov_b32_e32 v84, 0
	s_add_u32 s2, s0, 0xd0
	s_addc_u32 s3, s1, 0
	s_mov_b32 s5, 0
	s_mov_b32 s18, 0xbbbac73d
.LBB25_17:                              ; =>This Loop Header: Depth=1
                                        ;     Child Loop BB25_19 Depth 2
	s_mul_hi_i32 s21, s13, s15
	s_mul_i32 s20, s13, s15
	v_dual_mov_b32 v47, 0 :: v_dual_mov_b32 v98, 0
	s_lshl_b64 s[20:21], s[20:21], 2
	v_dual_mov_b32 v92, 0 :: v_dual_mov_b32 v99, 0
	v_dual_mov_b32 v82, 0 :: v_dual_mov_b32 v83, 0
	;; [unrolled: 1-line block ×7, first 2 shown]
	s_add_u32 s19, s8, s20
	s_addc_u32 s20, s9, s21
	s_mov_b32 s21, s5
	s_branch .LBB25_19
.LBB25_18:                              ;   in Loop: Header=BB25_19 Depth=2
	s_and_b32 vcc_lo, exec_lo, s4
	s_addk_i32 s21, 0xc0
	s_cbranch_vccnz .LBB25_21
.LBB25_19:                              ;   Parent Loop BB25_17 Depth=1
                                        ; =>  This Inner Loop Header: Depth=2
	s_lshr_b32 s4, s21, 1
	s_delay_alu instid0(SALU_CYCLE_1) | instskip(NEXT) | instid1(SALU_CYCLE_1)
	s_lshl_b64 s[22:23], s[4:5], 2
	s_add_u32 s4, s19, s22
	s_addc_u32 s22, s20, s23
	v_add_co_u32 v0, vcc_lo, s4, v19
	v_add_co_ci_u32_e32 v1, vcc_lo, s22, v20, vcc_lo
	v_add_co_u32 v2, vcc_lo, s4, v21
	v_add_co_ci_u32_e32 v3, vcc_lo, s22, v22, vcc_lo
	s_delay_alu instid0(VALU_DEP_4) | instskip(NEXT) | instid1(VALU_DEP_4)
	v_add_co_u32 v0, vcc_lo, v0, v46
	v_add_co_ci_u32_e32 v1, vcc_lo, 0, v1, vcc_lo
	s_delay_alu instid0(VALU_DEP_4) | instskip(NEXT) | instid1(VALU_DEP_4)
	v_add_co_u32 v4, vcc_lo, v2, v46
	v_add_co_ci_u32_e32 v5, vcc_lo, 0, v3, vcc_lo
	v_add_co_u32 v2, vcc_lo, s4, v23
	v_add_co_ci_u32_e32 v3, vcc_lo, s22, v24, vcc_lo
	;; [unrolled: 2-line block ×3, first 2 shown]
	s_delay_alu instid0(VALU_DEP_4) | instskip(NEXT) | instid1(VALU_DEP_4)
	v_add_co_u32 v8, vcc_lo, v2, v46
	v_add_co_ci_u32_e32 v9, vcc_lo, 0, v3, vcc_lo
	s_delay_alu instid0(VALU_DEP_4) | instskip(NEXT) | instid1(VALU_DEP_4)
	v_add_co_u32 v12, vcc_lo, v6, v46
	v_add_co_ci_u32_e32 v13, vcc_lo, 0, v7, vcc_lo
	s_clause 0x3
	global_load_b128 v[0:3], v[0:1], off
	global_load_b128 v[4:7], v[4:5], off
	;; [unrolled: 1-line block ×4, first 2 shown]
	s_lshl_b32 s22, s21, 1
	s_add_i32 s23, s21, 64
	v_add_nc_u32_e32 v103, s22, v39
	v_add3_u32 v120, s22, 16, v39
	v_add3_u32 v125, 0x70, s22, v39
	s_lshr_b32 s4, s23, 1
	s_waitcnt vmcnt(3)
	ds_store_b128 v34, v[0:3]
	s_waitcnt vmcnt(2)
	ds_store_b128 v35, v[4:7]
	s_waitcnt vmcnt(1)
	ds_store_b128 v36, v[8:11]
	s_waitcnt vmcnt(0)
	ds_store_b128 v37, v[12:15]
	s_waitcnt lgkmcnt(0)
	s_barrier
	buffer_gl0_inv
	ds_load_b128 v[0:3], v38 offset:36864
	ds_load_b128 v[4:7], v103
	ds_load_b128 v[8:11], v103 offset:1152
	ds_load_b128 v[12:15], v103 offset:2304
	;; [unrolled: 1-line block ×6, first 2 shown]
	s_lshl_b64 s[26:27], s[4:5], 2
	s_waitcnt lgkmcnt(6)
	;;#ASMSTART
	v_dot2_f32_f16 v47, v0, v4, v47
	;;#ASMEND
	;;#ASMSTART
	v_dot2_f32_f16 v47, v1, v5, v47
	;;#ASMEND
	;;#ASMSTART
	v_dot2_f32_f16 v47, v2, v6, v47
	;;#ASMEND
	;;#ASMSTART
	v_dot2_f32_f16 v47, v3, v7, v47
	;;#ASMEND
	s_waitcnt lgkmcnt(5)
	;;#ASMSTART
	v_dot2_f32_f16 v98, v0, v8, v98
	;;#ASMEND
	;;#ASMSTART
	v_dot2_f32_f16 v98, v1, v9, v98
	;;#ASMEND
	;;#ASMSTART
	v_dot2_f32_f16 v98, v2, v10, v98
	;;#ASMEND
	;;#ASMSTART
	v_dot2_f32_f16 v98, v3, v11, v98
	;;#ASMEND
	;; [unrolled: 13-line block ×5, first 2 shown]
	;;#ASMSTART
	v_dot2_f32_f16 v99, v108, v8, v99
	;;#ASMEND
	;;#ASMSTART
	v_dot2_f32_f16 v99, v109, v9, v99
	;;#ASMEND
	;; [unrolled: 3-line block ×12, first 2 shown]
	s_waitcnt lgkmcnt(1)
	;;#ASMSTART
	v_dot2_f32_f16 v101, v112, v4, v101
	;;#ASMEND
	;;#ASMSTART
	v_dot2_f32_f16 v101, v113, v5, v101
	;;#ASMEND
	;; [unrolled: 3-line block ×16, first 2 shown]
	s_waitcnt lgkmcnt(0)
	;;#ASMSTART
	v_dot2_f32_f16 v102, v116, v4, v102
	;;#ASMEND
	;;#ASMSTART
	v_dot2_f32_f16 v102, v117, v5, v102
	;;#ASMEND
	;; [unrolled: 3-line block ×16, first 2 shown]
	ds_load_b128 v[0:3], v38 offset:36880
	ds_load_b128 v[4:7], v103 offset:16
	;; [unrolled: 1-line block ×8, first 2 shown]
	s_waitcnt lgkmcnt(6)
	;;#ASMSTART
	v_dot2_f32_f16 v47, v0, v4, v47
	;;#ASMEND
	;;#ASMSTART
	v_dot2_f32_f16 v47, v1, v5, v47
	;;#ASMEND
	;;#ASMSTART
	v_dot2_f32_f16 v47, v2, v6, v47
	;;#ASMEND
	;;#ASMSTART
	v_dot2_f32_f16 v47, v3, v7, v47
	;;#ASMEND
	s_waitcnt lgkmcnt(5)
	;;#ASMSTART
	v_dot2_f32_f16 v98, v0, v8, v98
	;;#ASMEND
	;;#ASMSTART
	v_dot2_f32_f16 v98, v1, v9, v98
	;;#ASMEND
	;;#ASMSTART
	v_dot2_f32_f16 v98, v2, v10, v98
	;;#ASMEND
	;;#ASMSTART
	v_dot2_f32_f16 v98, v3, v11, v98
	;;#ASMEND
	;; [unrolled: 13-line block ×5, first 2 shown]
	;;#ASMSTART
	v_dot2_f32_f16 v99, v108, v8, v99
	;;#ASMEND
	;;#ASMSTART
	v_dot2_f32_f16 v99, v109, v9, v99
	;;#ASMEND
	;; [unrolled: 3-line block ×12, first 2 shown]
	s_waitcnt lgkmcnt(1)
	;;#ASMSTART
	v_dot2_f32_f16 v101, v112, v4, v101
	;;#ASMEND
	;;#ASMSTART
	v_dot2_f32_f16 v101, v113, v5, v101
	;;#ASMEND
	;; [unrolled: 3-line block ×16, first 2 shown]
	s_waitcnt lgkmcnt(0)
	;;#ASMSTART
	v_dot2_f32_f16 v102, v116, v4, v102
	;;#ASMEND
	;;#ASMSTART
	v_dot2_f32_f16 v102, v117, v5, v102
	;;#ASMEND
	;; [unrolled: 3-line block ×11, first 2 shown]
	v_add3_u32 v120, s22, 32, v39
	;;#ASMSTART
	v_dot2_f32_f16 v93, v119, v15, v93
	;;#ASMEND
	;;#ASMSTART
	v_dot2_f32_f16 v80, v116, v104, v80
	;;#ASMEND
	;; [unrolled: 3-line block ×5, first 2 shown]
	ds_load_b128 v[0:3], v38 offset:36896
	ds_load_b128 v[4:7], v103 offset:32
	ds_load_b128 v[8:11], v120 offset:1152
	ds_load_b128 v[12:15], v120 offset:2304
	ds_load_b128 v[104:107], v120 offset:3456
	ds_load_b128 v[108:111], v38 offset:41504
	ds_load_b128 v[112:115], v38 offset:46112
	ds_load_b128 v[116:119], v38 offset:50720
	s_waitcnt lgkmcnt(6)
	;;#ASMSTART
	v_dot2_f32_f16 v47, v0, v4, v47
	;;#ASMEND
	;;#ASMSTART
	v_dot2_f32_f16 v47, v1, v5, v47
	;;#ASMEND
	;;#ASMSTART
	v_dot2_f32_f16 v47, v2, v6, v47
	;;#ASMEND
	;;#ASMSTART
	v_dot2_f32_f16 v47, v3, v7, v47
	;;#ASMEND
	s_waitcnt lgkmcnt(5)
	;;#ASMSTART
	v_dot2_f32_f16 v98, v0, v8, v98
	;;#ASMEND
	;;#ASMSTART
	v_dot2_f32_f16 v98, v1, v9, v98
	;;#ASMEND
	;;#ASMSTART
	v_dot2_f32_f16 v98, v2, v10, v98
	;;#ASMEND
	;;#ASMSTART
	v_dot2_f32_f16 v98, v3, v11, v98
	;;#ASMEND
	;; [unrolled: 13-line block ×5, first 2 shown]
	;;#ASMSTART
	v_dot2_f32_f16 v99, v108, v8, v99
	;;#ASMEND
	;;#ASMSTART
	v_dot2_f32_f16 v99, v109, v9, v99
	;;#ASMEND
	;; [unrolled: 3-line block ×12, first 2 shown]
	s_waitcnt lgkmcnt(1)
	;;#ASMSTART
	v_dot2_f32_f16 v101, v112, v4, v101
	;;#ASMEND
	;;#ASMSTART
	v_dot2_f32_f16 v101, v113, v5, v101
	;;#ASMEND
	;; [unrolled: 3-line block ×16, first 2 shown]
	s_waitcnt lgkmcnt(0)
	;;#ASMSTART
	v_dot2_f32_f16 v102, v116, v4, v102
	;;#ASMEND
	;;#ASMSTART
	v_dot2_f32_f16 v102, v117, v5, v102
	;;#ASMEND
	;; [unrolled: 3-line block ×11, first 2 shown]
	v_add3_u32 v120, s22, 48, v39
	;;#ASMSTART
	v_dot2_f32_f16 v93, v119, v15, v93
	;;#ASMEND
	;;#ASMSTART
	v_dot2_f32_f16 v80, v116, v104, v80
	;;#ASMEND
	;; [unrolled: 3-line block ×5, first 2 shown]
	ds_load_b128 v[0:3], v38 offset:36912
	ds_load_b128 v[4:7], v103 offset:48
	;; [unrolled: 1-line block ×8, first 2 shown]
	s_waitcnt lgkmcnt(6)
	;;#ASMSTART
	v_dot2_f32_f16 v47, v0, v4, v47
	;;#ASMEND
	;;#ASMSTART
	v_dot2_f32_f16 v47, v1, v5, v47
	;;#ASMEND
	;;#ASMSTART
	v_dot2_f32_f16 v47, v2, v6, v47
	;;#ASMEND
	;;#ASMSTART
	v_dot2_f32_f16 v47, v3, v7, v47
	;;#ASMEND
	s_waitcnt lgkmcnt(5)
	;;#ASMSTART
	v_dot2_f32_f16 v98, v0, v8, v98
	;;#ASMEND
	;;#ASMSTART
	v_dot2_f32_f16 v98, v1, v9, v98
	;;#ASMEND
	;;#ASMSTART
	v_dot2_f32_f16 v98, v2, v10, v98
	;;#ASMEND
	;;#ASMSTART
	v_dot2_f32_f16 v98, v3, v11, v98
	;;#ASMEND
	;; [unrolled: 13-line block ×5, first 2 shown]
	;;#ASMSTART
	v_dot2_f32_f16 v99, v108, v8, v99
	;;#ASMEND
	;;#ASMSTART
	v_dot2_f32_f16 v99, v109, v9, v99
	;;#ASMEND
	;; [unrolled: 3-line block ×12, first 2 shown]
	s_waitcnt lgkmcnt(1)
	;;#ASMSTART
	v_dot2_f32_f16 v101, v112, v4, v101
	;;#ASMEND
	;;#ASMSTART
	v_dot2_f32_f16 v101, v113, v5, v101
	;;#ASMEND
	;; [unrolled: 3-line block ×16, first 2 shown]
	s_waitcnt lgkmcnt(0)
	;;#ASMSTART
	v_dot2_f32_f16 v102, v116, v4, v102
	;;#ASMEND
	;;#ASMSTART
	v_dot2_f32_f16 v102, v117, v5, v102
	;;#ASMEND
	;; [unrolled: 3-line block ×11, first 2 shown]
	v_add3_u32 v120, s22, 64, v39
	;;#ASMSTART
	v_dot2_f32_f16 v93, v119, v15, v93
	;;#ASMEND
	;;#ASMSTART
	v_dot2_f32_f16 v80, v116, v104, v80
	;;#ASMEND
	;; [unrolled: 3-line block ×5, first 2 shown]
	ds_load_b128 v[0:3], v38 offset:36928
	ds_load_b128 v[4:7], v103 offset:64
	;; [unrolled: 1-line block ×8, first 2 shown]
	s_waitcnt lgkmcnt(6)
	;;#ASMSTART
	v_dot2_f32_f16 v47, v0, v4, v47
	;;#ASMEND
	;;#ASMSTART
	v_dot2_f32_f16 v47, v1, v5, v47
	;;#ASMEND
	;;#ASMSTART
	v_dot2_f32_f16 v47, v2, v6, v47
	;;#ASMEND
	;;#ASMSTART
	v_dot2_f32_f16 v47, v3, v7, v47
	;;#ASMEND
	s_waitcnt lgkmcnt(5)
	;;#ASMSTART
	v_dot2_f32_f16 v98, v0, v8, v98
	;;#ASMEND
	;;#ASMSTART
	v_dot2_f32_f16 v98, v1, v9, v98
	;;#ASMEND
	;;#ASMSTART
	v_dot2_f32_f16 v98, v2, v10, v98
	;;#ASMEND
	;;#ASMSTART
	v_dot2_f32_f16 v98, v3, v11, v98
	;;#ASMEND
	;; [unrolled: 13-line block ×5, first 2 shown]
	;;#ASMSTART
	v_dot2_f32_f16 v99, v109, v8, v99
	;;#ASMEND
	;;#ASMSTART
	v_dot2_f32_f16 v99, v110, v9, v99
	;;#ASMEND
	;; [unrolled: 3-line block ×12, first 2 shown]
	s_waitcnt lgkmcnt(1)
	;;#ASMSTART
	v_dot2_f32_f16 v101, v113, v4, v101
	;;#ASMEND
	;;#ASMSTART
	v_dot2_f32_f16 v101, v114, v5, v101
	;;#ASMEND
	;; [unrolled: 3-line block ×16, first 2 shown]
	s_waitcnt lgkmcnt(0)
	;;#ASMSTART
	v_dot2_f32_f16 v102, v117, v4, v102
	;;#ASMEND
	;;#ASMSTART
	v_dot2_f32_f16 v102, v118, v5, v102
	;;#ASMEND
	;; [unrolled: 3-line block ×11, first 2 shown]
	v_add3_u32 v104, 0x50, s22, v39
	;;#ASMSTART
	v_dot2_f32_f16 v93, v120, v15, v93
	;;#ASMEND
	;;#ASMSTART
	v_dot2_f32_f16 v80, v117, v105, v80
	;;#ASMEND
	;; [unrolled: 3-line block ×5, first 2 shown]
	ds_load_b128 v[12:15], v38 offset:36944
	ds_load_b128 v[8:11], v103 offset:80
	;; [unrolled: 1-line block ×8, first 2 shown]
	s_waitcnt lgkmcnt(6)
	;;#ASMSTART
	v_dot2_f32_f16 v47, v12, v8, v47
	;;#ASMEND
	;;#ASMSTART
	v_dot2_f32_f16 v47, v13, v9, v47
	;;#ASMEND
	;;#ASMSTART
	v_dot2_f32_f16 v47, v14, v10, v47
	;;#ASMEND
	;;#ASMSTART
	v_dot2_f32_f16 v47, v15, v11, v47
	;;#ASMEND
	s_waitcnt lgkmcnt(5)
	;;#ASMSTART
	v_dot2_f32_f16 v98, v12, v0, v98
	;;#ASMEND
	;;#ASMSTART
	v_dot2_f32_f16 v98, v13, v1, v98
	;;#ASMEND
	;;#ASMSTART
	v_dot2_f32_f16 v98, v14, v2, v98
	;;#ASMEND
	;;#ASMSTART
	v_dot2_f32_f16 v98, v15, v3, v98
	;;#ASMEND
	;; [unrolled: 13-line block ×5, first 2 shown]
	;;#ASMSTART
	v_dot2_f32_f16 v99, v108, v0, v99
	;;#ASMEND
	;;#ASMSTART
	v_dot2_f32_f16 v99, v109, v1, v99
	;;#ASMEND
	;; [unrolled: 3-line block ×12, first 2 shown]
	s_waitcnt lgkmcnt(1)
	;;#ASMSTART
	v_dot2_f32_f16 v101, v112, v8, v101
	;;#ASMEND
	;;#ASMSTART
	v_dot2_f32_f16 v101, v113, v9, v101
	;;#ASMEND
	;; [unrolled: 3-line block ×16, first 2 shown]
	s_waitcnt lgkmcnt(0)
	;;#ASMSTART
	v_dot2_f32_f16 v102, v116, v8, v102
	;;#ASMEND
	;;#ASMSTART
	v_dot2_f32_f16 v102, v117, v9, v102
	;;#ASMEND
	;; [unrolled: 3-line block ×16, first 2 shown]
	ds_load_b128 v[0:3], v38 offset:36960
	ds_load_b128 v[4:7], v103 offset:96
	v_add3_u32 v120, 0x60, s22, v39
	s_add_u32 s4, s19, s26
	s_addc_u32 s22, s20, s27
	v_add_co_u32 v121, vcc_lo, s4, v19
	ds_load_b128 v[8:11], v120 offset:1152
	ds_load_b128 v[12:15], v120 offset:2304
	;; [unrolled: 1-line block ×6, first 2 shown]
	s_waitcnt lgkmcnt(6)
	;;#ASMSTART
	v_dot2_f32_f16 v47, v0, v4, v47
	;;#ASMEND
	;;#ASMSTART
	v_dot2_f32_f16 v47, v1, v5, v47
	;;#ASMEND
	;;#ASMSTART
	v_dot2_f32_f16 v47, v2, v6, v47
	;;#ASMEND
	;;#ASMSTART
	v_dot2_f32_f16 v47, v3, v7, v47
	;;#ASMEND
	s_waitcnt lgkmcnt(5)
	;;#ASMSTART
	v_dot2_f32_f16 v98, v0, v8, v98
	;;#ASMEND
	;;#ASMSTART
	v_dot2_f32_f16 v98, v1, v9, v98
	;;#ASMEND
	;;#ASMSTART
	v_dot2_f32_f16 v98, v2, v10, v98
	;;#ASMEND
	;;#ASMSTART
	v_dot2_f32_f16 v98, v3, v11, v98
	;;#ASMEND
	;; [unrolled: 13-line block ×5, first 2 shown]
	;;#ASMSTART
	v_dot2_f32_f16 v99, v108, v8, v99
	;;#ASMEND
	;;#ASMSTART
	v_dot2_f32_f16 v99, v109, v9, v99
	;;#ASMEND
	;;#ASMSTART
	v_dot2_f32_f16 v99, v110, v10, v99
	;;#ASMEND
	;;#ASMSTART
	v_dot2_f32_f16 v99, v111, v11, v99
	;;#ASMEND
	;;#ASMSTART
	v_dot2_f32_f16 v94, v108, v12, v94
	;;#ASMEND
	;;#ASMSTART
	v_dot2_f32_f16 v94, v109, v13, v94
	;;#ASMEND
	;;#ASMSTART
	v_dot2_f32_f16 v94, v110, v14, v94
	;;#ASMEND
	;;#ASMSTART
	v_dot2_f32_f16 v94, v111, v15, v94
	;;#ASMEND
	;;#ASMSTART
	v_dot2_f32_f16 v83, v108, v104, v83
	;;#ASMEND
	;;#ASMSTART
	v_dot2_f32_f16 v83, v109, v105, v83
	;;#ASMEND
	;;#ASMSTART
	v_dot2_f32_f16 v83, v110, v106, v83
	;;#ASMEND
	;;#ASMSTART
	v_dot2_f32_f16 v83, v111, v107, v83
	;;#ASMEND
	s_waitcnt lgkmcnt(1)
	;;#ASMSTART
	v_dot2_f32_f16 v101, v112, v4, v101
	;;#ASMEND
	;;#ASMSTART
	v_dot2_f32_f16 v101, v113, v5, v101
	;;#ASMEND
	;; [unrolled: 3-line block ×16, first 2 shown]
	s_waitcnt lgkmcnt(0)
	;;#ASMSTART
	v_dot2_f32_f16 v102, v116, v4, v102
	;;#ASMEND
	;;#ASMSTART
	v_dot2_f32_f16 v102, v117, v5, v102
	;;#ASMEND
	;; [unrolled: 3-line block ×16, first 2 shown]
	ds_load_b128 v[0:3], v38 offset:36976
	ds_load_b128 v[4:7], v103 offset:112
	;; [unrolled: 1-line block ×8, first 2 shown]
	s_waitcnt lgkmcnt(6)
	;;#ASMSTART
	v_dot2_f32_f16 v47, v0, v4, v47
	;;#ASMEND
	;;#ASMSTART
	v_dot2_f32_f16 v47, v1, v5, v47
	;;#ASMEND
	;;#ASMSTART
	v_dot2_f32_f16 v47, v2, v6, v47
	;;#ASMEND
	;;#ASMSTART
	v_dot2_f32_f16 v47, v3, v7, v47
	;;#ASMEND
	s_waitcnt lgkmcnt(5)
	;;#ASMSTART
	v_dot2_f32_f16 v98, v0, v8, v98
	;;#ASMEND
	;;#ASMSTART
	v_dot2_f32_f16 v98, v1, v9, v98
	;;#ASMEND
	;;#ASMSTART
	v_dot2_f32_f16 v98, v2, v10, v98
	;;#ASMEND
	;;#ASMSTART
	v_dot2_f32_f16 v98, v3, v11, v98
	;;#ASMEND
	;; [unrolled: 13-line block ×5, first 2 shown]
	;;#ASMSTART
	v_dot2_f32_f16 v99, v107, v8, v99
	;;#ASMEND
	;;#ASMSTART
	v_dot2_f32_f16 v99, v108, v9, v99
	;;#ASMEND
	;; [unrolled: 3-line block ×12, first 2 shown]
	s_waitcnt lgkmcnt(1)
	;;#ASMSTART
	v_dot2_f32_f16 v101, v111, v4, v101
	;;#ASMEND
	v_add_co_ci_u32_e32 v122, vcc_lo, s22, v20, vcc_lo
	;;#ASMSTART
	v_dot2_f32_f16 v101, v112, v5, v101
	;;#ASMEND
	v_add_co_u32 v123, vcc_lo, s4, v21
	;;#ASMSTART
	v_dot2_f32_f16 v101, v113, v6, v101
	;;#ASMEND
	;;#ASMSTART
	v_dot2_f32_f16 v101, v114, v7, v101
	;;#ASMEND
	;;#ASMSTART
	v_dot2_f32_f16 v96, v111, v8, v96
	;;#ASMEND
	v_add_co_ci_u32_e32 v124, vcc_lo, s22, v22, vcc_lo
	;;#ASMSTART
	v_dot2_f32_f16 v96, v112, v9, v96
	;;#ASMEND
	v_add_co_u32 v126, vcc_lo, s4, v23
	;;#ASMSTART
	v_dot2_f32_f16 v96, v113, v10, v96
	;;#ASMEND
	;;#ASMSTART
	v_dot2_f32_f16 v96, v114, v11, v96
	;;#ASMEND
	;; [unrolled: 14-line block ×4, first 2 shown]
	s_waitcnt lgkmcnt(0)
	;;#ASMSTART
	v_dot2_f32_f16 v102, v115, v4, v102
	;;#ASMEND
	v_add_co_ci_u32_e32 v120, vcc_lo, 0, v122, vcc_lo
	;;#ASMSTART
	v_dot2_f32_f16 v102, v116, v5, v102
	;;#ASMEND
	v_add_co_u32 v121, vcc_lo, v123, v46
	;;#ASMSTART
	v_dot2_f32_f16 v102, v117, v6, v102
	;;#ASMEND
	;;#ASMSTART
	v_dot2_f32_f16 v102, v118, v7, v102
	;;#ASMEND
	;;#ASMSTART
	v_dot2_f32_f16 v97, v115, v8, v97
	;;#ASMEND
	v_add_co_ci_u32_e32 v122, vcc_lo, 0, v124, vcc_lo
	;;#ASMSTART
	v_dot2_f32_f16 v97, v116, v9, v97
	;;#ASMEND
	v_add_co_u32 v123, vcc_lo, v126, v46
	;;#ASMSTART
	v_dot2_f32_f16 v97, v117, v10, v97
	;;#ASMEND
	;;#ASMSTART
	v_dot2_f32_f16 v97, v118, v11, v97
	;;#ASMEND
	;; [unrolled: 14-line block ×3, first 2 shown]
	;;#ASMSTART
	v_dot2_f32_f16 v80, v115, v103, v80
	;;#ASMEND
	v_add_co_ci_u32_e32 v126, vcc_lo, 0, v129, vcc_lo
	;;#ASMSTART
	v_dot2_f32_f16 v80, v116, v104, v80
	;;#ASMEND
	;;#ASMSTART
	v_dot2_f32_f16 v80, v117, v105, v80
	;;#ASMEND
	;;#ASMSTART
	v_dot2_f32_f16 v80, v118, v106, v80
	;;#ASMEND
	s_barrier
	buffer_gl0_inv
	s_clause 0x3
	global_load_b128 v[0:3], v[119:120], off
	global_load_b128 v[4:7], v[121:122], off
	;; [unrolled: 1-line block ×4, first 2 shown]
	s_lshl_b32 s22, s23, 1
	s_add_i32 s23, s21, 0x80
	v_add_nc_u32_e32 v103, s22, v39
	v_add3_u32 v120, s22, 16, v39
	v_add3_u32 v125, 0x70, s22, v39
	s_lshr_b32 s4, s23, 1
	s_waitcnt vmcnt(3)
	ds_store_b128 v34, v[0:3]
	s_waitcnt vmcnt(2)
	ds_store_b128 v35, v[4:7]
	;; [unrolled: 2-line block ×4, first 2 shown]
	s_waitcnt lgkmcnt(0)
	s_barrier
	buffer_gl0_inv
	ds_load_b128 v[0:3], v38 offset:36864
	ds_load_b128 v[4:7], v103
	ds_load_b128 v[8:11], v103 offset:1152
	ds_load_b128 v[12:15], v103 offset:2304
	;; [unrolled: 1-line block ×6, first 2 shown]
	s_waitcnt lgkmcnt(6)
	;;#ASMSTART
	v_dot2_f32_f16 v47, v0, v4, v47
	;;#ASMEND
	;;#ASMSTART
	v_dot2_f32_f16 v47, v1, v5, v47
	;;#ASMEND
	;;#ASMSTART
	v_dot2_f32_f16 v47, v2, v6, v47
	;;#ASMEND
	;;#ASMSTART
	v_dot2_f32_f16 v47, v3, v7, v47
	;;#ASMEND
	s_waitcnt lgkmcnt(5)
	;;#ASMSTART
	v_dot2_f32_f16 v98, v0, v8, v98
	;;#ASMEND
	;;#ASMSTART
	v_dot2_f32_f16 v98, v1, v9, v98
	;;#ASMEND
	;;#ASMSTART
	v_dot2_f32_f16 v98, v2, v10, v98
	;;#ASMEND
	;;#ASMSTART
	v_dot2_f32_f16 v98, v3, v11, v98
	;;#ASMEND
	;; [unrolled: 13-line block ×5, first 2 shown]
	;;#ASMSTART
	v_dot2_f32_f16 v99, v108, v8, v99
	;;#ASMEND
	;;#ASMSTART
	v_dot2_f32_f16 v99, v109, v9, v99
	;;#ASMEND
	;; [unrolled: 3-line block ×12, first 2 shown]
	s_waitcnt lgkmcnt(1)
	;;#ASMSTART
	v_dot2_f32_f16 v101, v112, v4, v101
	;;#ASMEND
	;;#ASMSTART
	v_dot2_f32_f16 v101, v113, v5, v101
	;;#ASMEND
	;; [unrolled: 3-line block ×16, first 2 shown]
	s_waitcnt lgkmcnt(0)
	;;#ASMSTART
	v_dot2_f32_f16 v102, v116, v4, v102
	;;#ASMEND
	;;#ASMSTART
	v_dot2_f32_f16 v102, v117, v5, v102
	;;#ASMEND
	;; [unrolled: 3-line block ×16, first 2 shown]
	ds_load_b128 v[0:3], v38 offset:36880
	ds_load_b128 v[4:7], v103 offset:16
	;; [unrolled: 1-line block ×8, first 2 shown]
	s_waitcnt lgkmcnt(6)
	;;#ASMSTART
	v_dot2_f32_f16 v47, v0, v4, v47
	;;#ASMEND
	;;#ASMSTART
	v_dot2_f32_f16 v47, v1, v5, v47
	;;#ASMEND
	;;#ASMSTART
	v_dot2_f32_f16 v47, v2, v6, v47
	;;#ASMEND
	;;#ASMSTART
	v_dot2_f32_f16 v47, v3, v7, v47
	;;#ASMEND
	s_waitcnt lgkmcnt(5)
	;;#ASMSTART
	v_dot2_f32_f16 v98, v0, v8, v98
	;;#ASMEND
	;;#ASMSTART
	v_dot2_f32_f16 v98, v1, v9, v98
	;;#ASMEND
	;;#ASMSTART
	v_dot2_f32_f16 v98, v2, v10, v98
	;;#ASMEND
	;;#ASMSTART
	v_dot2_f32_f16 v98, v3, v11, v98
	;;#ASMEND
	;; [unrolled: 13-line block ×5, first 2 shown]
	;;#ASMSTART
	v_dot2_f32_f16 v99, v108, v8, v99
	;;#ASMEND
	;;#ASMSTART
	v_dot2_f32_f16 v99, v109, v9, v99
	;;#ASMEND
	;; [unrolled: 3-line block ×12, first 2 shown]
	s_waitcnt lgkmcnt(1)
	;;#ASMSTART
	v_dot2_f32_f16 v101, v112, v4, v101
	;;#ASMEND
	;;#ASMSTART
	v_dot2_f32_f16 v101, v113, v5, v101
	;;#ASMEND
	;; [unrolled: 3-line block ×16, first 2 shown]
	s_waitcnt lgkmcnt(0)
	;;#ASMSTART
	v_dot2_f32_f16 v102, v116, v4, v102
	;;#ASMEND
	;;#ASMSTART
	v_dot2_f32_f16 v102, v117, v5, v102
	;;#ASMEND
	;; [unrolled: 3-line block ×11, first 2 shown]
	v_add3_u32 v120, s22, 32, v39
	;;#ASMSTART
	v_dot2_f32_f16 v93, v119, v15, v93
	;;#ASMEND
	;;#ASMSTART
	v_dot2_f32_f16 v80, v116, v104, v80
	;;#ASMEND
	;;#ASMSTART
	v_dot2_f32_f16 v80, v117, v105, v80
	;;#ASMEND
	;;#ASMSTART
	v_dot2_f32_f16 v80, v118, v106, v80
	;;#ASMEND
	;;#ASMSTART
	v_dot2_f32_f16 v80, v119, v107, v80
	;;#ASMEND
	ds_load_b128 v[0:3], v38 offset:36896
	ds_load_b128 v[4:7], v103 offset:32
	;; [unrolled: 1-line block ×8, first 2 shown]
	s_waitcnt lgkmcnt(6)
	;;#ASMSTART
	v_dot2_f32_f16 v47, v0, v4, v47
	;;#ASMEND
	;;#ASMSTART
	v_dot2_f32_f16 v47, v1, v5, v47
	;;#ASMEND
	;;#ASMSTART
	v_dot2_f32_f16 v47, v2, v6, v47
	;;#ASMEND
	;;#ASMSTART
	v_dot2_f32_f16 v47, v3, v7, v47
	;;#ASMEND
	s_waitcnt lgkmcnt(5)
	;;#ASMSTART
	v_dot2_f32_f16 v98, v0, v8, v98
	;;#ASMEND
	;;#ASMSTART
	v_dot2_f32_f16 v98, v1, v9, v98
	;;#ASMEND
	;;#ASMSTART
	v_dot2_f32_f16 v98, v2, v10, v98
	;;#ASMEND
	;;#ASMSTART
	v_dot2_f32_f16 v98, v3, v11, v98
	;;#ASMEND
	;; [unrolled: 13-line block ×5, first 2 shown]
	;;#ASMSTART
	v_dot2_f32_f16 v99, v108, v8, v99
	;;#ASMEND
	;;#ASMSTART
	v_dot2_f32_f16 v99, v109, v9, v99
	;;#ASMEND
	;;#ASMSTART
	v_dot2_f32_f16 v99, v110, v10, v99
	;;#ASMEND
	;;#ASMSTART
	v_dot2_f32_f16 v99, v111, v11, v99
	;;#ASMEND
	;;#ASMSTART
	v_dot2_f32_f16 v94, v108, v12, v94
	;;#ASMEND
	;;#ASMSTART
	v_dot2_f32_f16 v94, v109, v13, v94
	;;#ASMEND
	;;#ASMSTART
	v_dot2_f32_f16 v94, v110, v14, v94
	;;#ASMEND
	;;#ASMSTART
	v_dot2_f32_f16 v94, v111, v15, v94
	;;#ASMEND
	;;#ASMSTART
	v_dot2_f32_f16 v83, v108, v104, v83
	;;#ASMEND
	;;#ASMSTART
	v_dot2_f32_f16 v83, v109, v105, v83
	;;#ASMEND
	;;#ASMSTART
	v_dot2_f32_f16 v83, v110, v106, v83
	;;#ASMEND
	;;#ASMSTART
	v_dot2_f32_f16 v83, v111, v107, v83
	;;#ASMEND
	s_waitcnt lgkmcnt(1)
	;;#ASMSTART
	v_dot2_f32_f16 v101, v112, v4, v101
	;;#ASMEND
	;;#ASMSTART
	v_dot2_f32_f16 v101, v113, v5, v101
	;;#ASMEND
	;; [unrolled: 3-line block ×16, first 2 shown]
	s_waitcnt lgkmcnt(0)
	;;#ASMSTART
	v_dot2_f32_f16 v102, v116, v4, v102
	;;#ASMEND
	;;#ASMSTART
	v_dot2_f32_f16 v102, v117, v5, v102
	;;#ASMEND
	;; [unrolled: 3-line block ×11, first 2 shown]
	v_add3_u32 v120, s22, 48, v39
	;;#ASMSTART
	v_dot2_f32_f16 v93, v119, v15, v93
	;;#ASMEND
	;;#ASMSTART
	v_dot2_f32_f16 v80, v116, v104, v80
	;;#ASMEND
	;; [unrolled: 3-line block ×5, first 2 shown]
	ds_load_b128 v[0:3], v38 offset:36912
	ds_load_b128 v[4:7], v103 offset:48
	;; [unrolled: 1-line block ×8, first 2 shown]
	s_waitcnt lgkmcnt(6)
	;;#ASMSTART
	v_dot2_f32_f16 v47, v0, v4, v47
	;;#ASMEND
	;;#ASMSTART
	v_dot2_f32_f16 v47, v1, v5, v47
	;;#ASMEND
	;;#ASMSTART
	v_dot2_f32_f16 v47, v2, v6, v47
	;;#ASMEND
	;;#ASMSTART
	v_dot2_f32_f16 v47, v3, v7, v47
	;;#ASMEND
	s_waitcnt lgkmcnt(5)
	;;#ASMSTART
	v_dot2_f32_f16 v98, v0, v8, v98
	;;#ASMEND
	;;#ASMSTART
	v_dot2_f32_f16 v98, v1, v9, v98
	;;#ASMEND
	;;#ASMSTART
	v_dot2_f32_f16 v98, v2, v10, v98
	;;#ASMEND
	;;#ASMSTART
	v_dot2_f32_f16 v98, v3, v11, v98
	;;#ASMEND
	;; [unrolled: 13-line block ×5, first 2 shown]
	;;#ASMSTART
	v_dot2_f32_f16 v99, v108, v8, v99
	;;#ASMEND
	;;#ASMSTART
	v_dot2_f32_f16 v99, v109, v9, v99
	;;#ASMEND
	;; [unrolled: 3-line block ×12, first 2 shown]
	s_waitcnt lgkmcnt(1)
	;;#ASMSTART
	v_dot2_f32_f16 v101, v112, v4, v101
	;;#ASMEND
	;;#ASMSTART
	v_dot2_f32_f16 v101, v113, v5, v101
	;;#ASMEND
	;; [unrolled: 3-line block ×16, first 2 shown]
	s_waitcnt lgkmcnt(0)
	;;#ASMSTART
	v_dot2_f32_f16 v102, v116, v4, v102
	;;#ASMEND
	;;#ASMSTART
	v_dot2_f32_f16 v102, v117, v5, v102
	;;#ASMEND
	;; [unrolled: 3-line block ×11, first 2 shown]
	v_add3_u32 v120, s22, 64, v39
	;;#ASMSTART
	v_dot2_f32_f16 v93, v119, v15, v93
	;;#ASMEND
	;;#ASMSTART
	v_dot2_f32_f16 v80, v116, v104, v80
	;;#ASMEND
	;; [unrolled: 3-line block ×5, first 2 shown]
	ds_load_b128 v[0:3], v38 offset:36928
	ds_load_b128 v[4:7], v103 offset:64
	;; [unrolled: 1-line block ×8, first 2 shown]
	s_waitcnt lgkmcnt(6)
	;;#ASMSTART
	v_dot2_f32_f16 v47, v0, v4, v47
	;;#ASMEND
	;;#ASMSTART
	v_dot2_f32_f16 v47, v1, v5, v47
	;;#ASMEND
	;;#ASMSTART
	v_dot2_f32_f16 v47, v2, v6, v47
	;;#ASMEND
	;;#ASMSTART
	v_dot2_f32_f16 v47, v3, v7, v47
	;;#ASMEND
	s_waitcnt lgkmcnt(5)
	;;#ASMSTART
	v_dot2_f32_f16 v98, v0, v8, v98
	;;#ASMEND
	;;#ASMSTART
	v_dot2_f32_f16 v98, v1, v9, v98
	;;#ASMEND
	;;#ASMSTART
	v_dot2_f32_f16 v98, v2, v10, v98
	;;#ASMEND
	;;#ASMSTART
	v_dot2_f32_f16 v98, v3, v11, v98
	;;#ASMEND
	;; [unrolled: 13-line block ×5, first 2 shown]
	;;#ASMSTART
	v_dot2_f32_f16 v99, v109, v8, v99
	;;#ASMEND
	;;#ASMSTART
	v_dot2_f32_f16 v99, v110, v9, v99
	;;#ASMEND
	;; [unrolled: 3-line block ×12, first 2 shown]
	s_waitcnt lgkmcnt(1)
	;;#ASMSTART
	v_dot2_f32_f16 v101, v113, v4, v101
	;;#ASMEND
	;;#ASMSTART
	v_dot2_f32_f16 v101, v114, v5, v101
	;;#ASMEND
	;;#ASMSTART
	v_dot2_f32_f16 v101, v115, v6, v101
	;;#ASMEND
	;;#ASMSTART
	v_dot2_f32_f16 v101, v116, v7, v101
	;;#ASMEND
	;;#ASMSTART
	v_dot2_f32_f16 v96, v113, v8, v96
	;;#ASMEND
	;;#ASMSTART
	v_dot2_f32_f16 v96, v114, v9, v96
	;;#ASMEND
	;;#ASMSTART
	v_dot2_f32_f16 v96, v115, v10, v96
	;;#ASMEND
	;;#ASMSTART
	v_dot2_f32_f16 v96, v116, v11, v96
	;;#ASMEND
	;;#ASMSTART
	v_dot2_f32_f16 v95, v113, v12, v95
	;;#ASMEND
	;;#ASMSTART
	v_dot2_f32_f16 v95, v114, v13, v95
	;;#ASMEND
	;;#ASMSTART
	v_dot2_f32_f16 v95, v115, v14, v95
	;;#ASMEND
	;;#ASMSTART
	v_dot2_f32_f16 v95, v116, v15, v95
	;;#ASMEND
	;;#ASMSTART
	v_dot2_f32_f16 v81, v113, v105, v81
	;;#ASMEND
	;;#ASMSTART
	v_dot2_f32_f16 v81, v114, v106, v81
	;;#ASMEND
	;;#ASMSTART
	v_dot2_f32_f16 v81, v115, v107, v81
	;;#ASMEND
	;;#ASMSTART
	v_dot2_f32_f16 v81, v116, v108, v81
	;;#ASMEND
	s_waitcnt lgkmcnt(0)
	;;#ASMSTART
	v_dot2_f32_f16 v102, v117, v4, v102
	;;#ASMEND
	;;#ASMSTART
	v_dot2_f32_f16 v102, v118, v5, v102
	;;#ASMEND
	;; [unrolled: 3-line block ×11, first 2 shown]
	v_add3_u32 v104, 0x50, s22, v39
	;;#ASMSTART
	v_dot2_f32_f16 v93, v120, v15, v93
	;;#ASMEND
	;;#ASMSTART
	v_dot2_f32_f16 v80, v117, v105, v80
	;;#ASMEND
	;; [unrolled: 3-line block ×5, first 2 shown]
	ds_load_b128 v[12:15], v38 offset:36944
	ds_load_b128 v[8:11], v103 offset:80
	;; [unrolled: 1-line block ×8, first 2 shown]
	s_waitcnt lgkmcnt(6)
	;;#ASMSTART
	v_dot2_f32_f16 v47, v12, v8, v47
	;;#ASMEND
	;;#ASMSTART
	v_dot2_f32_f16 v47, v13, v9, v47
	;;#ASMEND
	;;#ASMSTART
	v_dot2_f32_f16 v47, v14, v10, v47
	;;#ASMEND
	;;#ASMSTART
	v_dot2_f32_f16 v47, v15, v11, v47
	;;#ASMEND
	s_waitcnt lgkmcnt(5)
	;;#ASMSTART
	v_dot2_f32_f16 v98, v12, v0, v98
	;;#ASMEND
	;;#ASMSTART
	v_dot2_f32_f16 v98, v13, v1, v98
	;;#ASMEND
	;;#ASMSTART
	v_dot2_f32_f16 v98, v14, v2, v98
	;;#ASMEND
	;;#ASMSTART
	v_dot2_f32_f16 v98, v15, v3, v98
	;;#ASMEND
	;; [unrolled: 13-line block ×5, first 2 shown]
	;;#ASMSTART
	v_dot2_f32_f16 v99, v108, v0, v99
	;;#ASMEND
	;;#ASMSTART
	v_dot2_f32_f16 v99, v109, v1, v99
	;;#ASMEND
	;;#ASMSTART
	v_dot2_f32_f16 v99, v110, v2, v99
	;;#ASMEND
	;;#ASMSTART
	v_dot2_f32_f16 v99, v111, v3, v99
	;;#ASMEND
	;;#ASMSTART
	v_dot2_f32_f16 v94, v108, v4, v94
	;;#ASMEND
	;;#ASMSTART
	v_dot2_f32_f16 v94, v109, v5, v94
	;;#ASMEND
	;;#ASMSTART
	v_dot2_f32_f16 v94, v110, v6, v94
	;;#ASMEND
	;;#ASMSTART
	v_dot2_f32_f16 v94, v111, v7, v94
	;;#ASMEND
	;;#ASMSTART
	v_dot2_f32_f16 v83, v108, v104, v83
	;;#ASMEND
	;;#ASMSTART
	v_dot2_f32_f16 v83, v109, v105, v83
	;;#ASMEND
	;;#ASMSTART
	v_dot2_f32_f16 v83, v110, v106, v83
	;;#ASMEND
	;;#ASMSTART
	v_dot2_f32_f16 v83, v111, v107, v83
	;;#ASMEND
	s_waitcnt lgkmcnt(1)
	;;#ASMSTART
	v_dot2_f32_f16 v101, v112, v8, v101
	;;#ASMEND
	;;#ASMSTART
	v_dot2_f32_f16 v101, v113, v9, v101
	;;#ASMEND
	;;#ASMSTART
	v_dot2_f32_f16 v101, v114, v10, v101
	;;#ASMEND
	;;#ASMSTART
	v_dot2_f32_f16 v101, v115, v11, v101
	;;#ASMEND
	;;#ASMSTART
	v_dot2_f32_f16 v96, v112, v0, v96
	;;#ASMEND
	;;#ASMSTART
	v_dot2_f32_f16 v96, v113, v1, v96
	;;#ASMEND
	;;#ASMSTART
	v_dot2_f32_f16 v96, v114, v2, v96
	;;#ASMEND
	;;#ASMSTART
	v_dot2_f32_f16 v96, v115, v3, v96
	;;#ASMEND
	;;#ASMSTART
	v_dot2_f32_f16 v95, v112, v4, v95
	;;#ASMEND
	;;#ASMSTART
	v_dot2_f32_f16 v95, v113, v5, v95
	;;#ASMEND
	;;#ASMSTART
	v_dot2_f32_f16 v95, v114, v6, v95
	;;#ASMEND
	;;#ASMSTART
	v_dot2_f32_f16 v95, v115, v7, v95
	;;#ASMEND
	;;#ASMSTART
	v_dot2_f32_f16 v81, v112, v104, v81
	;;#ASMEND
	;;#ASMSTART
	v_dot2_f32_f16 v81, v113, v105, v81
	;;#ASMEND
	;;#ASMSTART
	v_dot2_f32_f16 v81, v114, v106, v81
	;;#ASMEND
	;;#ASMSTART
	v_dot2_f32_f16 v81, v115, v107, v81
	;;#ASMEND
	s_waitcnt lgkmcnt(0)
	;;#ASMSTART
	v_dot2_f32_f16 v102, v116, v8, v102
	;;#ASMEND
	;;#ASMSTART
	v_dot2_f32_f16 v102, v117, v9, v102
	;;#ASMEND
	;; [unrolled: 3-line block ×16, first 2 shown]
	ds_load_b128 v[0:3], v38 offset:36960
	ds_load_b128 v[4:7], v103 offset:96
	v_add3_u32 v120, 0x60, s22, v39
	s_lshl_b64 s[26:27], s[4:5], 2
	s_delay_alu instid0(SALU_CYCLE_1)
	s_add_u32 s4, s19, s26
	s_addc_u32 s22, s20, s27
	ds_load_b128 v[8:11], v120 offset:1152
	ds_load_b128 v[12:15], v120 offset:2304
	;; [unrolled: 1-line block ×6, first 2 shown]
	s_waitcnt lgkmcnt(6)
	;;#ASMSTART
	v_dot2_f32_f16 v47, v0, v4, v47
	;;#ASMEND
	;;#ASMSTART
	v_dot2_f32_f16 v47, v1, v5, v47
	;;#ASMEND
	;;#ASMSTART
	v_dot2_f32_f16 v47, v2, v6, v47
	;;#ASMEND
	;;#ASMSTART
	v_dot2_f32_f16 v47, v3, v7, v47
	;;#ASMEND
	s_waitcnt lgkmcnt(5)
	;;#ASMSTART
	v_dot2_f32_f16 v98, v0, v8, v98
	;;#ASMEND
	;;#ASMSTART
	v_dot2_f32_f16 v98, v1, v9, v98
	;;#ASMEND
	;;#ASMSTART
	v_dot2_f32_f16 v98, v2, v10, v98
	;;#ASMEND
	;;#ASMSTART
	v_dot2_f32_f16 v98, v3, v11, v98
	;;#ASMEND
	;; [unrolled: 13-line block ×5, first 2 shown]
	;;#ASMSTART
	v_dot2_f32_f16 v99, v108, v8, v99
	;;#ASMEND
	;;#ASMSTART
	v_dot2_f32_f16 v99, v109, v9, v99
	;;#ASMEND
	;; [unrolled: 3-line block ×12, first 2 shown]
	s_waitcnt lgkmcnt(1)
	;;#ASMSTART
	v_dot2_f32_f16 v101, v112, v4, v101
	;;#ASMEND
	;;#ASMSTART
	v_dot2_f32_f16 v101, v113, v5, v101
	;;#ASMEND
	;; [unrolled: 3-line block ×16, first 2 shown]
	s_waitcnt lgkmcnt(0)
	;;#ASMSTART
	v_dot2_f32_f16 v102, v116, v4, v102
	;;#ASMEND
	;;#ASMSTART
	v_dot2_f32_f16 v102, v117, v5, v102
	;;#ASMEND
	;; [unrolled: 3-line block ×16, first 2 shown]
	ds_load_b128 v[0:3], v38 offset:36976
	ds_load_b128 v[4:7], v103 offset:112
	;; [unrolled: 1-line block ×8, first 2 shown]
	s_waitcnt lgkmcnt(6)
	;;#ASMSTART
	v_dot2_f32_f16 v47, v0, v4, v47
	;;#ASMEND
	;;#ASMSTART
	v_dot2_f32_f16 v47, v1, v5, v47
	;;#ASMEND
	;;#ASMSTART
	v_dot2_f32_f16 v47, v2, v6, v47
	;;#ASMEND
	;;#ASMSTART
	v_dot2_f32_f16 v47, v3, v7, v47
	;;#ASMEND
	s_waitcnt lgkmcnt(5)
	;;#ASMSTART
	v_dot2_f32_f16 v98, v0, v8, v98
	;;#ASMEND
	;;#ASMSTART
	v_dot2_f32_f16 v98, v1, v9, v98
	;;#ASMEND
	;;#ASMSTART
	v_dot2_f32_f16 v98, v2, v10, v98
	;;#ASMEND
	;;#ASMSTART
	v_dot2_f32_f16 v98, v3, v11, v98
	;;#ASMEND
	;; [unrolled: 13-line block ×5, first 2 shown]
	;;#ASMSTART
	v_dot2_f32_f16 v99, v107, v8, v99
	;;#ASMEND
	;;#ASMSTART
	v_dot2_f32_f16 v99, v108, v9, v99
	;;#ASMEND
	;; [unrolled: 3-line block ×10, first 2 shown]
	v_add_co_u32 v121, vcc_lo, s4, v19
	;;#ASMSTART
	v_dot2_f32_f16 v83, v109, v105, v83
	;;#ASMEND
	;;#ASMSTART
	v_dot2_f32_f16 v83, v110, v106, v83
	;;#ASMEND
	s_waitcnt lgkmcnt(1)
	;;#ASMSTART
	v_dot2_f32_f16 v101, v111, v4, v101
	;;#ASMEND
	v_add_co_ci_u32_e32 v122, vcc_lo, s22, v20, vcc_lo
	;;#ASMSTART
	v_dot2_f32_f16 v101, v112, v5, v101
	;;#ASMEND
	v_add_co_u32 v123, vcc_lo, s4, v21
	;;#ASMSTART
	v_dot2_f32_f16 v101, v113, v6, v101
	;;#ASMEND
	;;#ASMSTART
	v_dot2_f32_f16 v101, v114, v7, v101
	;;#ASMEND
	;;#ASMSTART
	v_dot2_f32_f16 v96, v111, v8, v96
	;;#ASMEND
	v_add_co_ci_u32_e32 v124, vcc_lo, s22, v22, vcc_lo
	;;#ASMSTART
	v_dot2_f32_f16 v96, v112, v9, v96
	;;#ASMEND
	v_add_co_u32 v126, vcc_lo, s4, v23
	;;#ASMSTART
	v_dot2_f32_f16 v96, v113, v10, v96
	;;#ASMEND
	;;#ASMSTART
	v_dot2_f32_f16 v96, v114, v11, v96
	;;#ASMEND
	;; [unrolled: 14-line block ×4, first 2 shown]
	s_waitcnt lgkmcnt(0)
	;;#ASMSTART
	v_dot2_f32_f16 v102, v115, v4, v102
	;;#ASMEND
	v_add_co_ci_u32_e32 v120, vcc_lo, 0, v122, vcc_lo
	;;#ASMSTART
	v_dot2_f32_f16 v102, v116, v5, v102
	;;#ASMEND
	v_add_co_u32 v121, vcc_lo, v123, v46
	;;#ASMSTART
	v_dot2_f32_f16 v102, v117, v6, v102
	;;#ASMEND
	;;#ASMSTART
	v_dot2_f32_f16 v102, v118, v7, v102
	;;#ASMEND
	;;#ASMSTART
	v_dot2_f32_f16 v97, v115, v8, v97
	;;#ASMEND
	v_add_co_ci_u32_e32 v122, vcc_lo, 0, v124, vcc_lo
	;;#ASMSTART
	v_dot2_f32_f16 v97, v116, v9, v97
	;;#ASMEND
	v_add_co_u32 v123, vcc_lo, v126, v46
	;;#ASMSTART
	v_dot2_f32_f16 v97, v117, v10, v97
	;;#ASMEND
	;;#ASMSTART
	v_dot2_f32_f16 v97, v118, v11, v97
	;;#ASMEND
	;; [unrolled: 14-line block ×3, first 2 shown]
	;;#ASMSTART
	v_dot2_f32_f16 v80, v115, v103, v80
	;;#ASMEND
	v_add_co_ci_u32_e32 v126, vcc_lo, 0, v129, vcc_lo
	;;#ASMSTART
	v_dot2_f32_f16 v80, v116, v104, v80
	;;#ASMEND
	;;#ASMSTART
	v_dot2_f32_f16 v80, v117, v105, v80
	;;#ASMEND
	;; [unrolled: 3-line block ×3, first 2 shown]
	s_barrier
	buffer_gl0_inv
	s_clause 0x3
	global_load_b128 v[1:4], v[119:120], off
	global_load_b128 v[5:8], v[121:122], off
	;; [unrolled: 1-line block ×4, first 2 shown]
	s_lshl_b32 s4, s23, 1
	s_waitcnt vmcnt(3)
	ds_store_b128 v34, v[1:4]
	s_waitcnt vmcnt(2)
	ds_store_b128 v35, v[5:8]
	;; [unrolled: 2-line block ×4, first 2 shown]
	v_add_nc_u32_e32 v0, s4, v39
	s_waitcnt lgkmcnt(0)
	s_barrier
	buffer_gl0_inv
	ds_load_b128 v[1:4], v38 offset:36864
	ds_load_b128 v[5:8], v0
	ds_load_b128 v[9:12], v0 offset:1152
	ds_load_b128 v[103:106], v0 offset:2304
	ds_load_b128 v[107:110], v0 offset:3456
	ds_load_b128 v[111:114], v38 offset:41472
	ds_load_b128 v[115:118], v38 offset:46080
	ds_load_b128 v[119:122], v38 offset:50688
	s_waitcnt lgkmcnt(6)
	;;#ASMSTART
	v_dot2_f32_f16 v47, v1, v5, v47
	;;#ASMEND
	;;#ASMSTART
	v_dot2_f32_f16 v47, v2, v6, v47
	;;#ASMEND
	;;#ASMSTART
	v_dot2_f32_f16 v47, v3, v7, v47
	;;#ASMEND
	;;#ASMSTART
	v_dot2_f32_f16 v47, v4, v8, v47
	;;#ASMEND
	s_waitcnt lgkmcnt(5)
	;;#ASMSTART
	v_dot2_f32_f16 v98, v1, v9, v98
	;;#ASMEND
	;;#ASMSTART
	v_dot2_f32_f16 v98, v2, v10, v98
	;;#ASMEND
	;;#ASMSTART
	v_dot2_f32_f16 v98, v3, v11, v98
	;;#ASMEND
	;;#ASMSTART
	v_dot2_f32_f16 v98, v4, v12, v98
	;;#ASMEND
	;; [unrolled: 13-line block ×5, first 2 shown]
	;;#ASMSTART
	v_dot2_f32_f16 v99, v111, v9, v99
	;;#ASMEND
	;;#ASMSTART
	v_dot2_f32_f16 v99, v112, v10, v99
	;;#ASMEND
	;; [unrolled: 3-line block ×12, first 2 shown]
	s_waitcnt lgkmcnt(1)
	;;#ASMSTART
	v_dot2_f32_f16 v101, v115, v5, v101
	;;#ASMEND
	;;#ASMSTART
	v_dot2_f32_f16 v101, v116, v6, v101
	;;#ASMEND
	;; [unrolled: 3-line block ×16, first 2 shown]
	s_waitcnt lgkmcnt(0)
	;;#ASMSTART
	v_dot2_f32_f16 v102, v119, v5, v102
	;;#ASMEND
	;;#ASMSTART
	v_dot2_f32_f16 v102, v120, v6, v102
	;;#ASMEND
	;; [unrolled: 3-line block ×11, first 2 shown]
	v_add3_u32 v13, s4, 16, v39
	;;#ASMSTART
	v_dot2_f32_f16 v93, v122, v106, v93
	;;#ASMEND
	;;#ASMSTART
	v_dot2_f32_f16 v80, v119, v107, v80
	;;#ASMEND
	;; [unrolled: 3-line block ×5, first 2 shown]
	ds_load_b128 v[1:4], v38 offset:36880
	ds_load_b128 v[5:8], v0 offset:16
	;; [unrolled: 1-line block ×8, first 2 shown]
	s_waitcnt lgkmcnt(6)
	;;#ASMSTART
	v_dot2_f32_f16 v47, v1, v5, v47
	;;#ASMEND
	;;#ASMSTART
	v_dot2_f32_f16 v47, v2, v6, v47
	;;#ASMEND
	;;#ASMSTART
	v_dot2_f32_f16 v47, v3, v7, v47
	;;#ASMEND
	;;#ASMSTART
	v_dot2_f32_f16 v47, v4, v8, v47
	;;#ASMEND
	s_waitcnt lgkmcnt(5)
	;;#ASMSTART
	v_dot2_f32_f16 v98, v1, v9, v98
	;;#ASMEND
	;;#ASMSTART
	v_dot2_f32_f16 v98, v2, v10, v98
	;;#ASMEND
	;;#ASMSTART
	v_dot2_f32_f16 v98, v3, v11, v98
	;;#ASMEND
	;;#ASMSTART
	v_dot2_f32_f16 v98, v4, v12, v98
	;;#ASMEND
	;; [unrolled: 13-line block ×5, first 2 shown]
	;;#ASMSTART
	v_dot2_f32_f16 v99, v111, v9, v99
	;;#ASMEND
	;;#ASMSTART
	v_dot2_f32_f16 v99, v112, v10, v99
	;;#ASMEND
	;; [unrolled: 3-line block ×12, first 2 shown]
	s_waitcnt lgkmcnt(1)
	;;#ASMSTART
	v_dot2_f32_f16 v101, v115, v5, v101
	;;#ASMEND
	;;#ASMSTART
	v_dot2_f32_f16 v101, v116, v6, v101
	;;#ASMEND
	;; [unrolled: 3-line block ×16, first 2 shown]
	s_waitcnt lgkmcnt(0)
	;;#ASMSTART
	v_dot2_f32_f16 v102, v119, v5, v102
	;;#ASMEND
	;;#ASMSTART
	v_dot2_f32_f16 v102, v120, v6, v102
	;;#ASMEND
	;; [unrolled: 3-line block ×11, first 2 shown]
	v_add3_u32 v13, s4, 32, v39
	;;#ASMSTART
	v_dot2_f32_f16 v93, v122, v106, v93
	;;#ASMEND
	;;#ASMSTART
	v_dot2_f32_f16 v80, v119, v107, v80
	;;#ASMEND
	;; [unrolled: 3-line block ×5, first 2 shown]
	ds_load_b128 v[1:4], v38 offset:36896
	ds_load_b128 v[5:8], v0 offset:32
	;; [unrolled: 1-line block ×8, first 2 shown]
	s_waitcnt lgkmcnt(6)
	;;#ASMSTART
	v_dot2_f32_f16 v47, v1, v5, v47
	;;#ASMEND
	;;#ASMSTART
	v_dot2_f32_f16 v47, v2, v6, v47
	;;#ASMEND
	;;#ASMSTART
	v_dot2_f32_f16 v47, v3, v7, v47
	;;#ASMEND
	;;#ASMSTART
	v_dot2_f32_f16 v47, v4, v8, v47
	;;#ASMEND
	s_waitcnt lgkmcnt(5)
	;;#ASMSTART
	v_dot2_f32_f16 v98, v1, v9, v98
	;;#ASMEND
	;;#ASMSTART
	v_dot2_f32_f16 v98, v2, v10, v98
	;;#ASMEND
	;;#ASMSTART
	v_dot2_f32_f16 v98, v3, v11, v98
	;;#ASMEND
	;;#ASMSTART
	v_dot2_f32_f16 v98, v4, v12, v98
	;;#ASMEND
	;; [unrolled: 13-line block ×5, first 2 shown]
	;;#ASMSTART
	v_dot2_f32_f16 v99, v111, v9, v99
	;;#ASMEND
	;;#ASMSTART
	v_dot2_f32_f16 v99, v112, v10, v99
	;;#ASMEND
	;; [unrolled: 3-line block ×12, first 2 shown]
	s_waitcnt lgkmcnt(1)
	;;#ASMSTART
	v_dot2_f32_f16 v101, v115, v5, v101
	;;#ASMEND
	;;#ASMSTART
	v_dot2_f32_f16 v101, v116, v6, v101
	;;#ASMEND
	;; [unrolled: 3-line block ×16, first 2 shown]
	s_waitcnt lgkmcnt(0)
	;;#ASMSTART
	v_dot2_f32_f16 v102, v119, v5, v102
	;;#ASMEND
	;;#ASMSTART
	v_dot2_f32_f16 v102, v120, v6, v102
	;;#ASMEND
	;; [unrolled: 3-line block ×11, first 2 shown]
	v_add3_u32 v13, s4, 48, v39
	;;#ASMSTART
	v_dot2_f32_f16 v93, v122, v106, v93
	;;#ASMEND
	;;#ASMSTART
	v_dot2_f32_f16 v80, v119, v107, v80
	;;#ASMEND
	;; [unrolled: 3-line block ×5, first 2 shown]
	ds_load_b128 v[1:4], v38 offset:36912
	ds_load_b128 v[5:8], v0 offset:48
	ds_load_b128 v[9:12], v13 offset:1152
	ds_load_b128 v[103:106], v13 offset:2304
	ds_load_b128 v[107:110], v13 offset:3456
	ds_load_b128 v[111:114], v38 offset:41520
	ds_load_b128 v[115:118], v38 offset:46128
	ds_load_b128 v[119:122], v38 offset:50736
	s_waitcnt lgkmcnt(6)
	;;#ASMSTART
	v_dot2_f32_f16 v47, v1, v5, v47
	;;#ASMEND
	;;#ASMSTART
	v_dot2_f32_f16 v47, v2, v6, v47
	;;#ASMEND
	;;#ASMSTART
	v_dot2_f32_f16 v47, v3, v7, v47
	;;#ASMEND
	;;#ASMSTART
	v_dot2_f32_f16 v47, v4, v8, v47
	;;#ASMEND
	s_waitcnt lgkmcnt(5)
	;;#ASMSTART
	v_dot2_f32_f16 v98, v1, v9, v98
	;;#ASMEND
	;;#ASMSTART
	v_dot2_f32_f16 v98, v2, v10, v98
	;;#ASMEND
	;;#ASMSTART
	v_dot2_f32_f16 v98, v3, v11, v98
	;;#ASMEND
	;;#ASMSTART
	v_dot2_f32_f16 v98, v4, v12, v98
	;;#ASMEND
	;; [unrolled: 13-line block ×5, first 2 shown]
	;;#ASMSTART
	v_dot2_f32_f16 v99, v111, v9, v99
	;;#ASMEND
	;;#ASMSTART
	v_dot2_f32_f16 v99, v112, v10, v99
	;;#ASMEND
	;;#ASMSTART
	v_dot2_f32_f16 v99, v113, v11, v99
	;;#ASMEND
	;;#ASMSTART
	v_dot2_f32_f16 v99, v114, v12, v99
	;;#ASMEND
	;;#ASMSTART
	v_dot2_f32_f16 v94, v111, v103, v94
	;;#ASMEND
	;;#ASMSTART
	v_dot2_f32_f16 v94, v112, v104, v94
	;;#ASMEND
	;;#ASMSTART
	v_dot2_f32_f16 v94, v113, v105, v94
	;;#ASMEND
	;;#ASMSTART
	v_dot2_f32_f16 v94, v114, v106, v94
	;;#ASMEND
	;;#ASMSTART
	v_dot2_f32_f16 v83, v111, v107, v83
	;;#ASMEND
	;;#ASMSTART
	v_dot2_f32_f16 v83, v112, v108, v83
	;;#ASMEND
	;;#ASMSTART
	v_dot2_f32_f16 v83, v113, v109, v83
	;;#ASMEND
	;;#ASMSTART
	v_dot2_f32_f16 v83, v114, v110, v83
	;;#ASMEND
	s_waitcnt lgkmcnt(1)
	;;#ASMSTART
	v_dot2_f32_f16 v101, v115, v5, v101
	;;#ASMEND
	;;#ASMSTART
	v_dot2_f32_f16 v101, v116, v6, v101
	;;#ASMEND
	;; [unrolled: 3-line block ×16, first 2 shown]
	s_waitcnt lgkmcnt(0)
	;;#ASMSTART
	v_dot2_f32_f16 v102, v119, v5, v102
	;;#ASMEND
	;;#ASMSTART
	v_dot2_f32_f16 v102, v120, v6, v102
	;;#ASMEND
	;; [unrolled: 3-line block ×11, first 2 shown]
	v_add3_u32 v13, s4, 64, v39
	;;#ASMSTART
	v_dot2_f32_f16 v93, v122, v106, v93
	;;#ASMEND
	;;#ASMSTART
	v_dot2_f32_f16 v80, v119, v107, v80
	;;#ASMEND
	;; [unrolled: 3-line block ×5, first 2 shown]
	ds_load_b128 v[1:4], v38 offset:36928
	ds_load_b128 v[5:8], v0 offset:64
	;; [unrolled: 1-line block ×8, first 2 shown]
	s_waitcnt lgkmcnt(6)
	;;#ASMSTART
	v_dot2_f32_f16 v47, v1, v5, v47
	;;#ASMEND
	;;#ASMSTART
	v_dot2_f32_f16 v47, v2, v6, v47
	;;#ASMEND
	;;#ASMSTART
	v_dot2_f32_f16 v47, v3, v7, v47
	;;#ASMEND
	;;#ASMSTART
	v_dot2_f32_f16 v47, v4, v8, v47
	;;#ASMEND
	s_waitcnt lgkmcnt(5)
	;;#ASMSTART
	v_dot2_f32_f16 v98, v1, v9, v98
	;;#ASMEND
	;;#ASMSTART
	v_dot2_f32_f16 v98, v2, v10, v98
	;;#ASMEND
	;;#ASMSTART
	v_dot2_f32_f16 v98, v3, v11, v98
	;;#ASMEND
	;;#ASMSTART
	v_dot2_f32_f16 v98, v4, v12, v98
	;;#ASMEND
	;; [unrolled: 13-line block ×5, first 2 shown]
	;;#ASMSTART
	v_dot2_f32_f16 v99, v111, v9, v99
	;;#ASMEND
	;;#ASMSTART
	v_dot2_f32_f16 v99, v112, v10, v99
	;;#ASMEND
	;; [unrolled: 3-line block ×12, first 2 shown]
	s_waitcnt lgkmcnt(1)
	;;#ASMSTART
	v_dot2_f32_f16 v101, v115, v5, v101
	;;#ASMEND
	;;#ASMSTART
	v_dot2_f32_f16 v101, v116, v6, v101
	;;#ASMEND
	;; [unrolled: 3-line block ×16, first 2 shown]
	s_waitcnt lgkmcnt(0)
	;;#ASMSTART
	v_dot2_f32_f16 v102, v119, v5, v102
	;;#ASMEND
	;;#ASMSTART
	v_dot2_f32_f16 v102, v120, v6, v102
	;;#ASMEND
	;; [unrolled: 3-line block ×11, first 2 shown]
	v_add3_u32 v13, 0x50, s4, v39
	;;#ASMSTART
	v_dot2_f32_f16 v93, v122, v106, v93
	;;#ASMEND
	;;#ASMSTART
	v_dot2_f32_f16 v80, v119, v107, v80
	;;#ASMEND
	;; [unrolled: 3-line block ×5, first 2 shown]
	ds_load_b128 v[1:4], v38 offset:36944
	ds_load_b128 v[5:8], v0 offset:80
	;; [unrolled: 1-line block ×8, first 2 shown]
	s_waitcnt lgkmcnt(6)
	;;#ASMSTART
	v_dot2_f32_f16 v47, v1, v5, v47
	;;#ASMEND
	;;#ASMSTART
	v_dot2_f32_f16 v47, v2, v6, v47
	;;#ASMEND
	;;#ASMSTART
	v_dot2_f32_f16 v47, v3, v7, v47
	;;#ASMEND
	;;#ASMSTART
	v_dot2_f32_f16 v47, v4, v8, v47
	;;#ASMEND
	s_waitcnt lgkmcnt(5)
	;;#ASMSTART
	v_dot2_f32_f16 v98, v1, v9, v98
	;;#ASMEND
	;;#ASMSTART
	v_dot2_f32_f16 v98, v2, v10, v98
	;;#ASMEND
	;;#ASMSTART
	v_dot2_f32_f16 v98, v3, v11, v98
	;;#ASMEND
	;;#ASMSTART
	v_dot2_f32_f16 v98, v4, v12, v98
	;;#ASMEND
	;; [unrolled: 13-line block ×5, first 2 shown]
	;;#ASMSTART
	v_dot2_f32_f16 v99, v111, v9, v99
	;;#ASMEND
	;;#ASMSTART
	v_dot2_f32_f16 v99, v112, v10, v99
	;;#ASMEND
	;; [unrolled: 3-line block ×12, first 2 shown]
	s_waitcnt lgkmcnt(1)
	;;#ASMSTART
	v_dot2_f32_f16 v101, v115, v5, v101
	;;#ASMEND
	;;#ASMSTART
	v_dot2_f32_f16 v101, v116, v6, v101
	;;#ASMEND
	;; [unrolled: 3-line block ×16, first 2 shown]
	s_waitcnt lgkmcnt(0)
	;;#ASMSTART
	v_dot2_f32_f16 v102, v119, v5, v102
	;;#ASMEND
	;;#ASMSTART
	v_dot2_f32_f16 v102, v120, v6, v102
	;;#ASMEND
	;;#ASMSTART
	v_dot2_f32_f16 v102, v121, v7, v102
	;;#ASMEND
	;;#ASMSTART
	v_dot2_f32_f16 v102, v122, v8, v102
	;;#ASMEND
	;;#ASMSTART
	v_dot2_f32_f16 v97, v119, v9, v97
	;;#ASMEND
	;;#ASMSTART
	v_dot2_f32_f16 v97, v120, v10, v97
	;;#ASMEND
	;;#ASMSTART
	v_dot2_f32_f16 v97, v121, v11, v97
	;;#ASMEND
	;;#ASMSTART
	v_dot2_f32_f16 v97, v122, v12, v97
	;;#ASMEND
	;;#ASMSTART
	v_dot2_f32_f16 v93, v119, v103, v93
	;;#ASMEND
	;;#ASMSTART
	v_dot2_f32_f16 v93, v120, v104, v93
	;;#ASMEND
	;;#ASMSTART
	v_dot2_f32_f16 v93, v121, v105, v93
	;;#ASMEND
	v_add3_u32 v13, 0x60, s4, v39
	;;#ASMSTART
	v_dot2_f32_f16 v93, v122, v106, v93
	;;#ASMEND
	;;#ASMSTART
	v_dot2_f32_f16 v80, v119, v107, v80
	;;#ASMEND
	;;#ASMSTART
	v_dot2_f32_f16 v80, v120, v108, v80
	;;#ASMEND
	;;#ASMSTART
	v_dot2_f32_f16 v80, v121, v109, v80
	;;#ASMEND
	;;#ASMSTART
	v_dot2_f32_f16 v80, v122, v110, v80
	;;#ASMEND
	ds_load_b128 v[1:4], v38 offset:36960
	ds_load_b128 v[5:8], v0 offset:96
	;; [unrolled: 1-line block ×8, first 2 shown]
	s_waitcnt lgkmcnt(6)
	;;#ASMSTART
	v_dot2_f32_f16 v47, v1, v5, v47
	;;#ASMEND
	;;#ASMSTART
	v_dot2_f32_f16 v47, v2, v6, v47
	;;#ASMEND
	;;#ASMSTART
	v_dot2_f32_f16 v47, v3, v7, v47
	;;#ASMEND
	;;#ASMSTART
	v_dot2_f32_f16 v47, v4, v8, v47
	;;#ASMEND
	s_waitcnt lgkmcnt(5)
	;;#ASMSTART
	v_dot2_f32_f16 v98, v1, v9, v98
	;;#ASMEND
	;;#ASMSTART
	v_dot2_f32_f16 v98, v2, v10, v98
	;;#ASMEND
	;;#ASMSTART
	v_dot2_f32_f16 v98, v3, v11, v98
	;;#ASMEND
	;;#ASMSTART
	v_dot2_f32_f16 v98, v4, v12, v98
	;;#ASMEND
	;; [unrolled: 13-line block ×5, first 2 shown]
	;;#ASMSTART
	v_dot2_f32_f16 v99, v111, v9, v99
	;;#ASMEND
	;;#ASMSTART
	v_dot2_f32_f16 v99, v112, v10, v99
	;;#ASMEND
	;; [unrolled: 3-line block ×12, first 2 shown]
	s_waitcnt lgkmcnt(1)
	;;#ASMSTART
	v_dot2_f32_f16 v101, v115, v5, v101
	;;#ASMEND
	;;#ASMSTART
	v_dot2_f32_f16 v101, v116, v6, v101
	;;#ASMEND
	;; [unrolled: 3-line block ×16, first 2 shown]
	s_waitcnt lgkmcnt(0)
	;;#ASMSTART
	v_dot2_f32_f16 v102, v119, v5, v102
	;;#ASMEND
	;;#ASMSTART
	v_dot2_f32_f16 v102, v120, v6, v102
	;;#ASMEND
	;; [unrolled: 3-line block ×11, first 2 shown]
	v_add3_u32 v13, 0x70, s4, v39
	;;#ASMSTART
	v_dot2_f32_f16 v93, v122, v106, v93
	;;#ASMEND
	;;#ASMSTART
	v_dot2_f32_f16 v80, v119, v107, v80
	;;#ASMEND
	;; [unrolled: 3-line block ×5, first 2 shown]
	ds_load_b128 v[1:4], v38 offset:36976
	ds_load_b128 v[5:8], v0 offset:112
	;; [unrolled: 1-line block ×8, first 2 shown]
	s_waitcnt lgkmcnt(6)
	;;#ASMSTART
	v_dot2_f32_f16 v47, v1, v5, v47
	;;#ASMEND
	;;#ASMSTART
	v_dot2_f32_f16 v47, v2, v6, v47
	;;#ASMEND
	;;#ASMSTART
	v_dot2_f32_f16 v47, v3, v7, v47
	;;#ASMEND
	;;#ASMSTART
	v_dot2_f32_f16 v47, v4, v8, v47
	;;#ASMEND
	s_waitcnt lgkmcnt(5)
	;;#ASMSTART
	v_dot2_f32_f16 v98, v1, v9, v98
	;;#ASMEND
	;;#ASMSTART
	v_dot2_f32_f16 v98, v2, v10, v98
	;;#ASMEND
	;;#ASMSTART
	v_dot2_f32_f16 v98, v3, v11, v98
	;;#ASMEND
	;;#ASMSTART
	v_dot2_f32_f16 v98, v4, v12, v98
	;;#ASMEND
	;; [unrolled: 13-line block ×5, first 2 shown]
	;;#ASMSTART
	v_dot2_f32_f16 v99, v111, v9, v99
	;;#ASMEND
	;;#ASMSTART
	v_dot2_f32_f16 v99, v112, v10, v99
	;;#ASMEND
	;; [unrolled: 3-line block ×12, first 2 shown]
	s_waitcnt lgkmcnt(1)
	;;#ASMSTART
	v_dot2_f32_f16 v101, v115, v5, v101
	;;#ASMEND
	;;#ASMSTART
	v_dot2_f32_f16 v101, v116, v6, v101
	;;#ASMEND
	;;#ASMSTART
	v_dot2_f32_f16 v101, v117, v7, v101
	;;#ASMEND
	;;#ASMSTART
	v_dot2_f32_f16 v101, v118, v8, v101
	;;#ASMEND
	;;#ASMSTART
	v_dot2_f32_f16 v96, v115, v9, v96
	;;#ASMEND
	;;#ASMSTART
	v_dot2_f32_f16 v96, v116, v10, v96
	;;#ASMEND
	;;#ASMSTART
	v_dot2_f32_f16 v96, v117, v11, v96
	;;#ASMEND
	;;#ASMSTART
	v_dot2_f32_f16 v96, v118, v12, v96
	;;#ASMEND
	;;#ASMSTART
	v_dot2_f32_f16 v95, v115, v103, v95
	;;#ASMEND
	;;#ASMSTART
	v_dot2_f32_f16 v95, v116, v104, v95
	;;#ASMEND
	;;#ASMSTART
	v_dot2_f32_f16 v95, v117, v105, v95
	;;#ASMEND
	;;#ASMSTART
	v_dot2_f32_f16 v95, v118, v106, v95
	;;#ASMEND
	;;#ASMSTART
	v_dot2_f32_f16 v81, v115, v107, v81
	;;#ASMEND
	;;#ASMSTART
	v_dot2_f32_f16 v81, v116, v108, v81
	;;#ASMEND
	;;#ASMSTART
	v_dot2_f32_f16 v81, v117, v109, v81
	;;#ASMEND
	;;#ASMSTART
	v_dot2_f32_f16 v81, v118, v110, v81
	;;#ASMEND
	s_waitcnt lgkmcnt(0)
	;;#ASMSTART
	v_dot2_f32_f16 v102, v119, v5, v102
	;;#ASMEND
	;;#ASMSTART
	v_dot2_f32_f16 v102, v120, v6, v102
	;;#ASMEND
	;; [unrolled: 3-line block ×7, first 2 shown]
	s_cmpk_gt_u32 s21, 0x17f
	;;#ASMSTART
	v_dot2_f32_f16 v97, v122, v12, v97
	;;#ASMEND
	;;#ASMSTART
	v_dot2_f32_f16 v93, v119, v103, v93
	;;#ASMEND
	;; [unrolled: 3-line block ×3, first 2 shown]
	s_cselect_b32 s4, -1, 0
	;;#ASMSTART
	v_dot2_f32_f16 v93, v121, v105, v93
	;;#ASMEND
	;;#ASMSTART
	v_dot2_f32_f16 v93, v122, v106, v93
	;;#ASMEND
	;;#ASMSTART
	v_dot2_f32_f16 v80, v119, v107, v80
	;;#ASMEND
	s_and_b32 vcc_lo, exec_lo, s4
	;;#ASMSTART
	v_dot2_f32_f16 v80, v120, v108, v80
	;;#ASMEND
	;;#ASMSTART
	v_dot2_f32_f16 v80, v121, v109, v80
	;;#ASMEND
	;; [unrolled: 3-line block ×3, first 2 shown]
	s_cbranch_vccnz .LBB25_18
; %bb.20:                               ;   in Loop: Header=BB25_19 Depth=2
	s_barrier
	buffer_gl0_inv
	s_branch .LBB25_18
.LBB25_21:                              ;   in Loop: Header=BB25_17 Depth=1
	v_cmp_ngt_f32_e64 s4, 0x3f200000, |v47|
                                        ; implicit-def: $vgpr2
	s_delay_alu instid0(VALU_DEP_1) | instskip(NEXT) | instid1(SALU_CYCLE_1)
	s_and_saveexec_b32 s19, s4
	s_xor_b32 s4, exec_lo, s19
	s_cbranch_execz .LBB25_23
; %bb.22:                               ;   in Loop: Header=BB25_17 Depth=1
	v_add_f32_e64 v0, |v47|, |v47|
	s_delay_alu instid0(VALU_DEP_1) | instskip(SKIP_1) | instid1(VALU_DEP_2)
	v_mul_f32_e32 v1, 0x3fb8aa3b, v0
	v_cmp_ngt_f32_e32 vcc_lo, 0xc2ce8ed0, v0
	v_rndne_f32_e32 v2, v1
	v_fma_f32 v3, 0x3fb8aa3b, v0, -v1
	s_delay_alu instid0(VALU_DEP_2) | instskip(NEXT) | instid1(VALU_DEP_2)
	v_sub_f32_e32 v1, v1, v2
	v_fmac_f32_e32 v3, 0x32a5705f, v0
	v_cvt_i32_f32_e32 v2, v2
	s_delay_alu instid0(VALU_DEP_2) | instskip(NEXT) | instid1(VALU_DEP_1)
	v_add_f32_e32 v1, v1, v3
	v_exp_f32_e32 v1, v1
	s_waitcnt_depctr 0xfff
	v_ldexp_f32 v1, v1, v2
	s_delay_alu instid0(VALU_DEP_1) | instskip(SKIP_1) | instid1(VALU_DEP_2)
	v_cndmask_b32_e32 v1, 0, v1, vcc_lo
	v_cmp_nlt_f32_e32 vcc_lo, 0x42b17218, v0
	v_cndmask_b32_e32 v0, 0x7f800000, v1, vcc_lo
	s_delay_alu instid0(VALU_DEP_1) | instskip(NEXT) | instid1(VALU_DEP_1)
	v_add_f32_e32 v0, 1.0, v0
	v_rcp_f32_e32 v0, v0
	s_waitcnt_depctr 0xfff
	v_fma_f32 v2, v0, -2.0, 1.0
.LBB25_23:                              ;   in Loop: Header=BB25_17 Depth=1
	s_and_not1_saveexec_b32 s4, s4
; %bb.24:                               ;   in Loop: Header=BB25_17 Depth=1
	v_mul_f32_e32 v0, v47, v47
	s_delay_alu instid0(VALU_DEP_1) | instskip(NEXT) | instid1(VALU_DEP_1)
	v_fmaak_f32 v1, s18, v0, 0x3ca908c9
	v_fmaak_f32 v1, v0, v1, 0xbd5c1c4e
	s_delay_alu instid0(VALU_DEP_1) | instskip(NEXT) | instid1(VALU_DEP_1)
	v_fmaak_f32 v1, v0, v1, 0x3e088382
	v_fmaak_f32 v1, v0, v1, 0xbeaaaa99
	s_delay_alu instid0(VALU_DEP_1) | instskip(NEXT) | instid1(VALU_DEP_1)
	v_mul_f32_e64 v1, |v47|, v1
	v_fma_f32 v2, v0, v1, |v47|
; %bb.25:                               ;   in Loop: Header=BB25_17 Depth=1
	s_or_b32 exec_lo, exec_lo, s4
	v_add_nc_u32_e32 v0, s13, v18
	v_cmp_ngt_f32_e64 s4, 0x3f200000, |v100|
                                        ; implicit-def: $vgpr3
	s_delay_alu instid0(VALU_DEP_2) | instskip(NEXT) | instid1(VALU_DEP_1)
	v_ashrrev_i32_e32 v1, 31, v0
	v_lshlrev_b64 v[0:1], 1, v[0:1]
	s_delay_alu instid0(VALU_DEP_1) | instskip(NEXT) | instid1(VALU_DEP_2)
	v_add_co_u32 v0, vcc_lo, s36, v0
	v_add_co_ci_u32_e32 v1, vcc_lo, s37, v1, vcc_lo
	flat_load_u16 v4, v[0:1]
	s_and_saveexec_b32 s19, s4
	s_delay_alu instid0(SALU_CYCLE_1)
	s_xor_b32 s4, exec_lo, s19
	s_cbranch_execz .LBB25_27
; %bb.26:                               ;   in Loop: Header=BB25_17 Depth=1
	v_add_f32_e64 v3, |v100|, |v100|
	s_delay_alu instid0(VALU_DEP_1) | instskip(SKIP_1) | instid1(VALU_DEP_2)
	v_mul_f32_e32 v5, 0x3fb8aa3b, v3
	v_cmp_ngt_f32_e32 vcc_lo, 0xc2ce8ed0, v3
	v_rndne_f32_e32 v6, v5
	v_fma_f32 v7, 0x3fb8aa3b, v3, -v5
	s_delay_alu instid0(VALU_DEP_2) | instskip(NEXT) | instid1(VALU_DEP_2)
	v_sub_f32_e32 v5, v5, v6
	v_fmac_f32_e32 v7, 0x32a5705f, v3
	v_cvt_i32_f32_e32 v6, v6
	s_delay_alu instid0(VALU_DEP_2) | instskip(NEXT) | instid1(VALU_DEP_1)
	v_add_f32_e32 v5, v5, v7
	v_exp_f32_e32 v5, v5
	s_waitcnt_depctr 0xfff
	v_ldexp_f32 v5, v5, v6
	s_delay_alu instid0(VALU_DEP_1) | instskip(SKIP_1) | instid1(VALU_DEP_2)
	v_cndmask_b32_e32 v5, 0, v5, vcc_lo
	v_cmp_nlt_f32_e32 vcc_lo, 0x42b17218, v3
	v_cndmask_b32_e32 v3, 0x7f800000, v5, vcc_lo
	s_delay_alu instid0(VALU_DEP_1) | instskip(NEXT) | instid1(VALU_DEP_1)
	v_add_f32_e32 v3, 1.0, v3
	v_rcp_f32_e32 v3, v3
	s_waitcnt_depctr 0xfff
	v_fma_f32 v3, v3, -2.0, 1.0
.LBB25_27:                              ;   in Loop: Header=BB25_17 Depth=1
	s_and_not1_saveexec_b32 s4, s4
; %bb.28:                               ;   in Loop: Header=BB25_17 Depth=1
	v_mul_f32_e32 v3, v100, v100
	s_delay_alu instid0(VALU_DEP_1) | instskip(NEXT) | instid1(VALU_DEP_1)
	v_fmaak_f32 v5, s18, v3, 0x3ca908c9
	v_fmaak_f32 v5, v3, v5, 0xbd5c1c4e
	s_delay_alu instid0(VALU_DEP_1) | instskip(NEXT) | instid1(VALU_DEP_1)
	v_fmaak_f32 v5, v3, v5, 0x3e088382
	v_fmaak_f32 v5, v3, v5, 0xbeaaaa99
	s_delay_alu instid0(VALU_DEP_1) | instskip(NEXT) | instid1(VALU_DEP_1)
	v_mul_f32_e64 v5, |v100|, v5
	v_fma_f32 v3, v3, v5, |v100|
; %bb.29:                               ;   in Loop: Header=BB25_17 Depth=1
	s_or_b32 exec_lo, exec_lo, s4
	flat_load_u16 v5, v[0:1] offset:64
	v_cmp_ngt_f32_e64 s4, 0x3f200000, |v101|
                                        ; implicit-def: $vgpr6
	s_delay_alu instid0(VALU_DEP_1) | instskip(NEXT) | instid1(SALU_CYCLE_1)
	s_and_saveexec_b32 s19, s4
	s_xor_b32 s4, exec_lo, s19
	s_cbranch_execz .LBB25_31
; %bb.30:                               ;   in Loop: Header=BB25_17 Depth=1
	v_add_f32_e64 v6, |v101|, |v101|
	s_delay_alu instid0(VALU_DEP_1) | instskip(SKIP_1) | instid1(VALU_DEP_2)
	v_mul_f32_e32 v7, 0x3fb8aa3b, v6
	v_cmp_ngt_f32_e32 vcc_lo, 0xc2ce8ed0, v6
	v_rndne_f32_e32 v8, v7
	v_fma_f32 v9, 0x3fb8aa3b, v6, -v7
	s_delay_alu instid0(VALU_DEP_2) | instskip(NEXT) | instid1(VALU_DEP_2)
	v_sub_f32_e32 v7, v7, v8
	v_fmac_f32_e32 v9, 0x32a5705f, v6
	v_cvt_i32_f32_e32 v8, v8
	s_delay_alu instid0(VALU_DEP_2) | instskip(NEXT) | instid1(VALU_DEP_1)
	v_add_f32_e32 v7, v7, v9
	v_exp_f32_e32 v7, v7
	s_waitcnt_depctr 0xfff
	v_ldexp_f32 v7, v7, v8
	s_delay_alu instid0(VALU_DEP_1) | instskip(SKIP_1) | instid1(VALU_DEP_2)
	v_cndmask_b32_e32 v7, 0, v7, vcc_lo
	v_cmp_nlt_f32_e32 vcc_lo, 0x42b17218, v6
	v_cndmask_b32_e32 v6, 0x7f800000, v7, vcc_lo
	s_delay_alu instid0(VALU_DEP_1) | instskip(NEXT) | instid1(VALU_DEP_1)
	v_add_f32_e32 v6, 1.0, v6
	v_rcp_f32_e32 v6, v6
	s_waitcnt_depctr 0xfff
	v_fma_f32 v6, v6, -2.0, 1.0
.LBB25_31:                              ;   in Loop: Header=BB25_17 Depth=1
	s_and_not1_saveexec_b32 s4, s4
; %bb.32:                               ;   in Loop: Header=BB25_17 Depth=1
	v_mul_f32_e32 v6, v101, v101
	s_delay_alu instid0(VALU_DEP_1) | instskip(NEXT) | instid1(VALU_DEP_1)
	v_fmaak_f32 v7, s18, v6, 0x3ca908c9
	v_fmaak_f32 v7, v6, v7, 0xbd5c1c4e
	s_delay_alu instid0(VALU_DEP_1) | instskip(NEXT) | instid1(VALU_DEP_1)
	v_fmaak_f32 v7, v6, v7, 0x3e088382
	v_fmaak_f32 v7, v6, v7, 0xbeaaaa99
	s_delay_alu instid0(VALU_DEP_1) | instskip(NEXT) | instid1(VALU_DEP_1)
	v_mul_f32_e64 v7, |v101|, v7
	v_fma_f32 v6, v6, v7, |v101|
; %bb.33:                               ;   in Loop: Header=BB25_17 Depth=1
	s_or_b32 exec_lo, exec_lo, s4
	flat_load_u16 v103, v[0:1] offset:128
	v_cmp_ngt_f32_e64 s4, 0x3f200000, |v102|
                                        ; implicit-def: $vgpr7
	s_delay_alu instid0(VALU_DEP_1) | instskip(NEXT) | instid1(SALU_CYCLE_1)
	s_and_saveexec_b32 s19, s4
	s_xor_b32 s4, exec_lo, s19
	s_cbranch_execz .LBB25_35
; %bb.34:                               ;   in Loop: Header=BB25_17 Depth=1
	v_add_f32_e64 v7, |v102|, |v102|
	s_delay_alu instid0(VALU_DEP_1) | instskip(SKIP_1) | instid1(VALU_DEP_2)
	v_mul_f32_e32 v8, 0x3fb8aa3b, v7
	v_cmp_ngt_f32_e32 vcc_lo, 0xc2ce8ed0, v7
	v_rndne_f32_e32 v9, v8
	v_fma_f32 v10, 0x3fb8aa3b, v7, -v8
	s_delay_alu instid0(VALU_DEP_2) | instskip(NEXT) | instid1(VALU_DEP_2)
	v_sub_f32_e32 v8, v8, v9
	v_fmac_f32_e32 v10, 0x32a5705f, v7
	v_cvt_i32_f32_e32 v9, v9
	s_delay_alu instid0(VALU_DEP_2) | instskip(NEXT) | instid1(VALU_DEP_1)
	v_add_f32_e32 v8, v8, v10
	v_exp_f32_e32 v8, v8
	s_waitcnt_depctr 0xfff
	v_ldexp_f32 v8, v8, v9
	s_delay_alu instid0(VALU_DEP_1) | instskip(SKIP_1) | instid1(VALU_DEP_2)
	v_cndmask_b32_e32 v8, 0, v8, vcc_lo
	v_cmp_nlt_f32_e32 vcc_lo, 0x42b17218, v7
	v_cndmask_b32_e32 v7, 0x7f800000, v8, vcc_lo
	s_delay_alu instid0(VALU_DEP_1) | instskip(NEXT) | instid1(VALU_DEP_1)
	v_add_f32_e32 v7, 1.0, v7
	v_rcp_f32_e32 v7, v7
	s_waitcnt_depctr 0xfff
	v_fma_f32 v7, v7, -2.0, 1.0
.LBB25_35:                              ;   in Loop: Header=BB25_17 Depth=1
	s_and_not1_saveexec_b32 s4, s4
; %bb.36:                               ;   in Loop: Header=BB25_17 Depth=1
	v_mul_f32_e32 v7, v102, v102
	s_delay_alu instid0(VALU_DEP_1) | instskip(NEXT) | instid1(VALU_DEP_1)
	v_fmaak_f32 v8, s18, v7, 0x3ca908c9
	v_fmaak_f32 v8, v7, v8, 0xbd5c1c4e
	s_delay_alu instid0(VALU_DEP_1) | instskip(NEXT) | instid1(VALU_DEP_1)
	v_fmaak_f32 v8, v7, v8, 0x3e088382
	v_fmaak_f32 v8, v7, v8, 0xbeaaaa99
	s_delay_alu instid0(VALU_DEP_1) | instskip(NEXT) | instid1(VALU_DEP_1)
	v_mul_f32_e64 v8, |v102|, v8
	v_fma_f32 v7, v7, v8, |v102|
; %bb.37:                               ;   in Loop: Header=BB25_17 Depth=1
	s_or_b32 exec_lo, exec_lo, s4
	flat_load_u16 v104, v[0:1] offset:192
	v_bfi_b32 v0, 0x7fffffff, v2, v47
	v_bfi_b32 v1, 0x7fffffff, v3, v100
	v_xor_b32_e32 v47, 16, v32
	v_bfi_b32 v2, 0x7fffffff, v7, v102
	v_xor_b32_e32 v15, 8, v32
	s_waitcnt vmcnt(3) lgkmcnt(3)
	v_fma_mix_f32 v10, v0, s17, v4 op_sel_hi:[0,0,1]
	s_waitcnt vmcnt(2) lgkmcnt(2)
	v_fma_mix_f32 v11, v1, s17, v5 op_sel_hi:[0,0,1]
	v_bfi_b32 v0, 0x7fffffff, v6, v101
	v_cmp_gt_i32_e32 vcc_lo, 32, v47
	v_xor_b32_e32 v14, 4, v32
	v_xor_b32_e32 v13, 2, v32
	;; [unrolled: 1-line block ×3, first 2 shown]
	s_waitcnt vmcnt(1) lgkmcnt(1)
	v_fma_mix_f32 v100, v0, s17, v103 op_sel_hi:[0,0,1]
	v_add_f32_e32 v1, 0x40051340, v10
	v_cmp_ngt_f32_e64 s4, 0x3f200000, |v98|
                                        ; implicit-def: $vgpr7
	s_waitcnt vmcnt(0) lgkmcnt(0)
	v_fma_mix_f32 v101, v2, s17, v104 op_sel_hi:[0,0,1]
	v_add_f32_e32 v2, 0x40051340, v100
	v_cndmask_b32_e32 v0, v32, v47, vcc_lo
	v_add_f32_e32 v3, 0x40051340, v11
	v_cmp_gt_i32_e32 vcc_lo, 32, v15
	s_delay_alu instid0(VALU_DEP_3) | instskip(NEXT) | instid1(VALU_DEP_3)
	v_lshlrev_b32_e32 v0, 2, v0
	v_max3_f32 v1, v91, v1, v3
	v_add_f32_e32 v3, 0x40051340, v101
	s_delay_alu instid0(VALU_DEP_1)
	v_max3_f32 v1, v1, v2, v3
	ds_bpermute_b32 v2, v0, v1
	v_cndmask_b32_e32 v3, v32, v15, vcc_lo
	v_cmp_gt_i32_e32 vcc_lo, 32, v14
	s_waitcnt lgkmcnt(0)
	v_max_f32_e32 v2, v2, v2
	s_delay_alu instid0(VALU_DEP_3) | instskip(SKIP_1) | instid1(VALU_DEP_3)
	v_dual_cndmask_b32 v3, v32, v14 :: v_dual_lshlrev_b32 v102, 2, v3
	v_cmp_gt_i32_e32 vcc_lo, 32, v13
	v_max_f32_e32 v1, v1, v2
	ds_bpermute_b32 v2, v102, v1
	s_waitcnt lgkmcnt(0)
	v_max_f32_e32 v2, v2, v2
	v_dual_cndmask_b32 v3, v32, v13 :: v_dual_lshlrev_b32 v8, 2, v3
	v_cmp_gt_i32_e32 vcc_lo, 32, v12
	s_delay_alu instid0(VALU_DEP_3) | instskip(SKIP_4) | instid1(VALU_DEP_2)
	v_max_f32_e32 v1, v1, v2
	ds_bpermute_b32 v2, v8, v1
	s_waitcnt lgkmcnt(0)
	v_max_f32_e32 v2, v2, v2
	v_dual_cndmask_b32 v3, v32, v12 :: v_dual_lshlrev_b32 v6, 2, v3
	v_max_f32_e32 v1, v1, v2
	s_delay_alu instid0(VALU_DEP_2) | instskip(SKIP_3) | instid1(VALU_DEP_1)
	v_lshlrev_b32_e32 v3, 2, v3
	ds_bpermute_b32 v2, v6, v1
	s_waitcnt lgkmcnt(0)
	v_max_f32_e32 v2, v2, v2
	v_max_f32_e32 v1, v1, v2
	ds_bpermute_b32 v2, v3, v1
	s_and_saveexec_b32 s19, s4
	s_delay_alu instid0(SALU_CYCLE_1)
	s_xor_b32 s4, exec_lo, s19
	s_cbranch_execz .LBB25_39
; %bb.38:                               ;   in Loop: Header=BB25_17 Depth=1
	v_add_f32_e64 v7, |v98|, |v98|
	s_delay_alu instid0(VALU_DEP_1) | instskip(SKIP_1) | instid1(VALU_DEP_2)
	v_mul_f32_e32 v9, 0x3fb8aa3b, v7
	v_cmp_ngt_f32_e32 vcc_lo, 0xc2ce8ed0, v7
	v_rndne_f32_e32 v105, v9
	v_fma_f32 v106, 0x3fb8aa3b, v7, -v9
	s_delay_alu instid0(VALU_DEP_1) | instskip(SKIP_1) | instid1(VALU_DEP_2)
	v_dual_sub_f32 v9, v9, v105 :: v_dual_fmac_f32 v106, 0x32a5705f, v7
	v_cvt_i32_f32_e32 v105, v105
	v_add_f32_e32 v9, v9, v106
	s_delay_alu instid0(VALU_DEP_1) | instskip(SKIP_2) | instid1(VALU_DEP_1)
	v_exp_f32_e32 v9, v9
	s_waitcnt_depctr 0xfff
	v_ldexp_f32 v9, v9, v105
	v_cndmask_b32_e32 v9, 0, v9, vcc_lo
	v_cmp_nlt_f32_e32 vcc_lo, 0x42b17218, v7
	s_delay_alu instid0(VALU_DEP_2) | instskip(NEXT) | instid1(VALU_DEP_1)
	v_cndmask_b32_e32 v7, 0x7f800000, v9, vcc_lo
	v_add_f32_e32 v7, 1.0, v7
	s_delay_alu instid0(VALU_DEP_1)
	v_rcp_f32_e32 v7, v7
	s_waitcnt_depctr 0xfff
	v_fma_f32 v7, v7, -2.0, 1.0
.LBB25_39:                              ;   in Loop: Header=BB25_17 Depth=1
	s_and_not1_saveexec_b32 s4, s4
; %bb.40:                               ;   in Loop: Header=BB25_17 Depth=1
	v_mul_f32_e32 v7, v98, v98
	s_delay_alu instid0(VALU_DEP_1) | instskip(NEXT) | instid1(VALU_DEP_1)
	v_fmaak_f32 v9, s18, v7, 0x3ca908c9
	v_fmaak_f32 v9, v7, v9, 0xbd5c1c4e
	s_delay_alu instid0(VALU_DEP_1) | instskip(NEXT) | instid1(VALU_DEP_1)
	v_fmaak_f32 v9, v7, v9, 0x3e088382
	v_fmaak_f32 v9, v7, v9, 0xbeaaaa99
	s_delay_alu instid0(VALU_DEP_1) | instskip(NEXT) | instid1(VALU_DEP_1)
	v_mul_f32_e64 v9, |v98|, v9
	v_fma_f32 v7, v7, v9, |v98|
; %bb.41:                               ;   in Loop: Header=BB25_17 Depth=1
	s_or_b32 exec_lo, exec_lo, s4
	v_cmp_ngt_f32_e64 s4, 0x3f200000, |v99|
                                        ; implicit-def: $vgpr105
	s_delay_alu instid0(VALU_DEP_1) | instskip(NEXT) | instid1(SALU_CYCLE_1)
	s_and_saveexec_b32 s19, s4
	s_xor_b32 s4, exec_lo, s19
	s_cbranch_execz .LBB25_43
; %bb.42:                               ;   in Loop: Header=BB25_17 Depth=1
	v_add_f32_e64 v9, |v99|, |v99|
	s_delay_alu instid0(VALU_DEP_1) | instskip(SKIP_1) | instid1(VALU_DEP_2)
	v_mul_f32_e32 v105, 0x3fb8aa3b, v9
	v_cmp_ngt_f32_e32 vcc_lo, 0xc2ce8ed0, v9
	v_rndne_f32_e32 v106, v105
	v_fma_f32 v107, 0x3fb8aa3b, v9, -v105
	s_delay_alu instid0(VALU_DEP_2) | instskip(NEXT) | instid1(VALU_DEP_2)
	v_sub_f32_e32 v105, v105, v106
	v_fmac_f32_e32 v107, 0x32a5705f, v9
	v_cvt_i32_f32_e32 v106, v106
	s_delay_alu instid0(VALU_DEP_2) | instskip(NEXT) | instid1(VALU_DEP_1)
	v_add_f32_e32 v105, v105, v107
	v_exp_f32_e32 v105, v105
	s_waitcnt_depctr 0xfff
	v_ldexp_f32 v105, v105, v106
	s_delay_alu instid0(VALU_DEP_1) | instskip(SKIP_1) | instid1(VALU_DEP_2)
	v_cndmask_b32_e32 v105, 0, v105, vcc_lo
	v_cmp_nlt_f32_e32 vcc_lo, 0x42b17218, v9
	v_cndmask_b32_e32 v9, 0x7f800000, v105, vcc_lo
	s_delay_alu instid0(VALU_DEP_1) | instskip(NEXT) | instid1(VALU_DEP_1)
	v_add_f32_e32 v9, 1.0, v9
	v_rcp_f32_e32 v9, v9
	s_waitcnt_depctr 0xfff
	v_fma_f32 v105, v9, -2.0, 1.0
.LBB25_43:                              ;   in Loop: Header=BB25_17 Depth=1
	s_and_not1_saveexec_b32 s4, s4
; %bb.44:                               ;   in Loop: Header=BB25_17 Depth=1
	v_mul_f32_e32 v9, v99, v99
	s_delay_alu instid0(VALU_DEP_1) | instskip(NEXT) | instid1(VALU_DEP_1)
	v_fmaak_f32 v105, s18, v9, 0x3ca908c9
	v_fmaak_f32 v105, v9, v105, 0xbd5c1c4e
	s_delay_alu instid0(VALU_DEP_1) | instskip(NEXT) | instid1(VALU_DEP_1)
	v_fmaak_f32 v105, v9, v105, 0x3e088382
	v_fmaak_f32 v105, v9, v105, 0xbeaaaa99
	s_delay_alu instid0(VALU_DEP_1) | instskip(NEXT) | instid1(VALU_DEP_1)
	v_mul_f32_e64 v105, |v99|, v105
	v_fma_f32 v105, v9, v105, |v99|
; %bb.45:                               ;   in Loop: Header=BB25_17 Depth=1
	s_or_b32 exec_lo, exec_lo, s4
	v_cmp_ngt_f32_e64 s4, 0x3f200000, |v96|
                                        ; implicit-def: $vgpr106
	s_delay_alu instid0(VALU_DEP_1) | instskip(NEXT) | instid1(SALU_CYCLE_1)
	s_and_saveexec_b32 s19, s4
	s_xor_b32 s4, exec_lo, s19
	s_cbranch_execz .LBB25_47
; %bb.46:                               ;   in Loop: Header=BB25_17 Depth=1
	v_add_f32_e64 v9, |v96|, |v96|
	s_delay_alu instid0(VALU_DEP_1) | instskip(SKIP_1) | instid1(VALU_DEP_2)
	v_mul_f32_e32 v106, 0x3fb8aa3b, v9
	v_cmp_ngt_f32_e32 vcc_lo, 0xc2ce8ed0, v9
	v_rndne_f32_e32 v107, v106
	v_fma_f32 v108, 0x3fb8aa3b, v9, -v106
	s_delay_alu instid0(VALU_DEP_2) | instskip(NEXT) | instid1(VALU_DEP_2)
	v_sub_f32_e32 v106, v106, v107
	v_fmac_f32_e32 v108, 0x32a5705f, v9
	v_cvt_i32_f32_e32 v107, v107
	s_delay_alu instid0(VALU_DEP_2) | instskip(NEXT) | instid1(VALU_DEP_1)
	v_add_f32_e32 v106, v106, v108
	v_exp_f32_e32 v106, v106
	s_waitcnt_depctr 0xfff
	v_ldexp_f32 v106, v106, v107
	s_delay_alu instid0(VALU_DEP_1) | instskip(SKIP_1) | instid1(VALU_DEP_2)
	v_cndmask_b32_e32 v106, 0, v106, vcc_lo
	v_cmp_nlt_f32_e32 vcc_lo, 0x42b17218, v9
	v_cndmask_b32_e32 v9, 0x7f800000, v106, vcc_lo
	s_delay_alu instid0(VALU_DEP_1) | instskip(NEXT) | instid1(VALU_DEP_1)
	v_add_f32_e32 v9, 1.0, v9
	v_rcp_f32_e32 v9, v9
	s_waitcnt_depctr 0xfff
	v_fma_f32 v106, v9, -2.0, 1.0
.LBB25_47:                              ;   in Loop: Header=BB25_17 Depth=1
	s_and_not1_saveexec_b32 s4, s4
; %bb.48:                               ;   in Loop: Header=BB25_17 Depth=1
	v_mul_f32_e32 v9, v96, v96
	s_delay_alu instid0(VALU_DEP_1) | instskip(NEXT) | instid1(VALU_DEP_1)
	v_fmaak_f32 v106, s18, v9, 0x3ca908c9
	v_fmaak_f32 v106, v9, v106, 0xbd5c1c4e
	s_delay_alu instid0(VALU_DEP_1) | instskip(NEXT) | instid1(VALU_DEP_1)
	v_fmaak_f32 v106, v9, v106, 0x3e088382
	v_fmaak_f32 v106, v9, v106, 0xbeaaaa99
	s_delay_alu instid0(VALU_DEP_1) | instskip(NEXT) | instid1(VALU_DEP_1)
	v_mul_f32_e64 v106, |v96|, v106
	v_fma_f32 v106, v9, v106, |v96|
; %bb.49:                               ;   in Loop: Header=BB25_17 Depth=1
	s_or_b32 exec_lo, exec_lo, s4
	v_cmp_ngt_f32_e64 s4, 0x3f200000, |v97|
                                        ; implicit-def: $vgpr107
	s_delay_alu instid0(VALU_DEP_1) | instskip(NEXT) | instid1(SALU_CYCLE_1)
	s_and_saveexec_b32 s19, s4
	s_xor_b32 s4, exec_lo, s19
	s_cbranch_execz .LBB25_51
; %bb.50:                               ;   in Loop: Header=BB25_17 Depth=1
	v_add_f32_e64 v9, |v97|, |v97|
	s_delay_alu instid0(VALU_DEP_1) | instskip(SKIP_1) | instid1(VALU_DEP_2)
	v_mul_f32_e32 v107, 0x3fb8aa3b, v9
	v_cmp_ngt_f32_e32 vcc_lo, 0xc2ce8ed0, v9
	v_rndne_f32_e32 v108, v107
	v_fma_f32 v109, 0x3fb8aa3b, v9, -v107
	s_delay_alu instid0(VALU_DEP_2) | instskip(NEXT) | instid1(VALU_DEP_2)
	v_sub_f32_e32 v107, v107, v108
	v_fmac_f32_e32 v109, 0x32a5705f, v9
	v_cvt_i32_f32_e32 v108, v108
	s_delay_alu instid0(VALU_DEP_2) | instskip(NEXT) | instid1(VALU_DEP_1)
	v_add_f32_e32 v107, v107, v109
	v_exp_f32_e32 v107, v107
	s_waitcnt_depctr 0xfff
	v_ldexp_f32 v107, v107, v108
	s_delay_alu instid0(VALU_DEP_1) | instskip(SKIP_1) | instid1(VALU_DEP_2)
	v_cndmask_b32_e32 v107, 0, v107, vcc_lo
	v_cmp_nlt_f32_e32 vcc_lo, 0x42b17218, v9
	v_cndmask_b32_e32 v9, 0x7f800000, v107, vcc_lo
	s_delay_alu instid0(VALU_DEP_1) | instskip(NEXT) | instid1(VALU_DEP_1)
	v_add_f32_e32 v9, 1.0, v9
	v_rcp_f32_e32 v9, v9
	s_waitcnt_depctr 0xfff
	v_fma_f32 v107, v9, -2.0, 1.0
.LBB25_51:                              ;   in Loop: Header=BB25_17 Depth=1
	s_and_not1_saveexec_b32 s4, s4
; %bb.52:                               ;   in Loop: Header=BB25_17 Depth=1
	v_mul_f32_e32 v9, v97, v97
	s_delay_alu instid0(VALU_DEP_1) | instskip(NEXT) | instid1(VALU_DEP_1)
	v_fmaak_f32 v107, s18, v9, 0x3ca908c9
	v_fmaak_f32 v107, v9, v107, 0xbd5c1c4e
	s_delay_alu instid0(VALU_DEP_1) | instskip(NEXT) | instid1(VALU_DEP_1)
	v_fmaak_f32 v107, v9, v107, 0x3e088382
	v_fmaak_f32 v107, v9, v107, 0xbeaaaa99
	s_delay_alu instid0(VALU_DEP_1) | instskip(NEXT) | instid1(VALU_DEP_1)
	v_mul_f32_e64 v107, |v97|, v107
	v_fma_f32 v107, v9, v107, |v97|
; %bb.53:                               ;   in Loop: Header=BB25_17 Depth=1
	s_or_b32 exec_lo, exec_lo, s4
	v_cvt_f32_f16_e32 v9, v4
	v_bfi_b32 v98, 0x7fffffff, v7, v98
	v_cvt_f32_f16_e32 v7, v5
	v_bfi_b32 v99, 0x7fffffff, v105, v99
	v_cvt_f32_f16_e32 v4, v103
	v_cvt_f32_f16_e32 v5, v104
	v_fma_f32 v98, s17, v98, v9
	v_bfi_b32 v96, 0x7fffffff, v106, v96
	v_fma_f32 v99, s17, v99, v7
	v_bfi_b32 v103, 0x7fffffff, v107, v97
	v_cmp_ngt_f32_e64 s4, 0x3f200000, |v92|
	v_add_f32_e32 v104, 0x40051340, v98
	v_fma_f32 v97, s17, v96, v4
	v_add_f32_e32 v105, 0x40051340, v99
	v_fma_f32 v96, s17, v103, v5
	s_delay_alu instid0(VALU_DEP_3) | instskip(NEXT) | instid1(VALU_DEP_3)
	v_add_f32_e32 v103, 0x40051340, v97
	v_max3_f32 v104, v89, v104, v105
	s_delay_alu instid0(VALU_DEP_3) | instskip(NEXT) | instid1(VALU_DEP_1)
	v_add_f32_e32 v105, 0x40051340, v96
	v_max3_f32 v103, v104, v103, v105
	ds_bpermute_b32 v104, v0, v103
	s_waitcnt lgkmcnt(0)
	v_max_f32_e32 v104, v104, v104
	s_delay_alu instid0(VALU_DEP_1) | instskip(SKIP_3) | instid1(VALU_DEP_1)
	v_max_f32_e32 v103, v103, v104
	ds_bpermute_b32 v104, v102, v103
	s_waitcnt lgkmcnt(0)
	v_max_f32_e32 v104, v104, v104
	v_max_f32_e32 v103, v103, v104
	ds_bpermute_b32 v104, v8, v103
	s_waitcnt lgkmcnt(0)
	v_max_f32_e32 v104, v104, v104
	s_delay_alu instid0(VALU_DEP_1) | instskip(SKIP_3) | instid1(VALU_DEP_1)
	v_max_f32_e32 v103, v103, v104
	ds_bpermute_b32 v104, v6, v103
	s_waitcnt lgkmcnt(0)
	v_max_f32_e32 v104, v104, v104
	v_max_f32_e32 v104, v103, v104
                                        ; implicit-def: $vgpr103
	ds_bpermute_b32 v105, v3, v104
	s_and_saveexec_b32 s19, s4
	s_delay_alu instid0(SALU_CYCLE_1)
	s_xor_b32 s4, exec_lo, s19
	s_cbranch_execz .LBB25_55
; %bb.54:                               ;   in Loop: Header=BB25_17 Depth=1
	v_add_f32_e64 v103, |v92|, |v92|
	s_delay_alu instid0(VALU_DEP_1) | instskip(SKIP_1) | instid1(VALU_DEP_2)
	v_mul_f32_e32 v106, 0x3fb8aa3b, v103
	v_cmp_ngt_f32_e32 vcc_lo, 0xc2ce8ed0, v103
	v_rndne_f32_e32 v107, v106
	v_fma_f32 v108, 0x3fb8aa3b, v103, -v106
	s_delay_alu instid0(VALU_DEP_2) | instskip(NEXT) | instid1(VALU_DEP_2)
	v_sub_f32_e32 v106, v106, v107
	v_fmac_f32_e32 v108, 0x32a5705f, v103
	v_cvt_i32_f32_e32 v107, v107
	s_delay_alu instid0(VALU_DEP_2) | instskip(NEXT) | instid1(VALU_DEP_1)
	v_add_f32_e32 v106, v106, v108
	v_exp_f32_e32 v106, v106
	s_waitcnt_depctr 0xfff
	v_ldexp_f32 v106, v106, v107
	s_delay_alu instid0(VALU_DEP_1) | instskip(SKIP_1) | instid1(VALU_DEP_2)
	v_cndmask_b32_e32 v106, 0, v106, vcc_lo
	v_cmp_nlt_f32_e32 vcc_lo, 0x42b17218, v103
	v_cndmask_b32_e32 v103, 0x7f800000, v106, vcc_lo
	s_delay_alu instid0(VALU_DEP_1) | instskip(NEXT) | instid1(VALU_DEP_1)
	v_add_f32_e32 v103, 1.0, v103
	v_rcp_f32_e32 v103, v103
	s_waitcnt_depctr 0xfff
	v_fma_f32 v103, v103, -2.0, 1.0
.LBB25_55:                              ;   in Loop: Header=BB25_17 Depth=1
	s_and_not1_saveexec_b32 s4, s4
; %bb.56:                               ;   in Loop: Header=BB25_17 Depth=1
	v_mul_f32_e32 v103, v92, v92
	s_delay_alu instid0(VALU_DEP_1) | instskip(NEXT) | instid1(VALU_DEP_1)
	v_fmaak_f32 v106, s18, v103, 0x3ca908c9
	v_fmaak_f32 v106, v103, v106, 0xbd5c1c4e
	s_delay_alu instid0(VALU_DEP_1) | instskip(NEXT) | instid1(VALU_DEP_1)
	v_fmaak_f32 v106, v103, v106, 0x3e088382
	v_fmaak_f32 v106, v103, v106, 0xbeaaaa99
	s_delay_alu instid0(VALU_DEP_1) | instskip(NEXT) | instid1(VALU_DEP_1)
	v_mul_f32_e64 v106, |v92|, v106
	v_fma_f32 v103, v103, v106, |v92|
; %bb.57:                               ;   in Loop: Header=BB25_17 Depth=1
	s_or_b32 exec_lo, exec_lo, s4
	v_cmp_ngt_f32_e64 s4, 0x3f200000, |v94|
                                        ; implicit-def: $vgpr106
	s_delay_alu instid0(VALU_DEP_1) | instskip(NEXT) | instid1(SALU_CYCLE_1)
	s_and_saveexec_b32 s19, s4
	s_xor_b32 s4, exec_lo, s19
	s_cbranch_execz .LBB25_59
; %bb.58:                               ;   in Loop: Header=BB25_17 Depth=1
	v_add_f32_e64 v106, |v94|, |v94|
	s_delay_alu instid0(VALU_DEP_1) | instskip(SKIP_1) | instid1(VALU_DEP_2)
	v_mul_f32_e32 v107, 0x3fb8aa3b, v106
	v_cmp_ngt_f32_e32 vcc_lo, 0xc2ce8ed0, v106
	v_rndne_f32_e32 v108, v107
	v_fma_f32 v109, 0x3fb8aa3b, v106, -v107
	s_delay_alu instid0(VALU_DEP_2) | instskip(NEXT) | instid1(VALU_DEP_2)
	v_sub_f32_e32 v107, v107, v108
	v_fmac_f32_e32 v109, 0x32a5705f, v106
	v_cvt_i32_f32_e32 v108, v108
	s_delay_alu instid0(VALU_DEP_2) | instskip(NEXT) | instid1(VALU_DEP_1)
	v_add_f32_e32 v107, v107, v109
	v_exp_f32_e32 v107, v107
	s_waitcnt_depctr 0xfff
	v_ldexp_f32 v107, v107, v108
	s_delay_alu instid0(VALU_DEP_1) | instskip(SKIP_1) | instid1(VALU_DEP_2)
	v_cndmask_b32_e32 v107, 0, v107, vcc_lo
	v_cmp_nlt_f32_e32 vcc_lo, 0x42b17218, v106
	v_cndmask_b32_e32 v106, 0x7f800000, v107, vcc_lo
	s_delay_alu instid0(VALU_DEP_1) | instskip(NEXT) | instid1(VALU_DEP_1)
	v_add_f32_e32 v106, 1.0, v106
	v_rcp_f32_e32 v106, v106
	s_waitcnt_depctr 0xfff
	v_fma_f32 v106, v106, -2.0, 1.0
.LBB25_59:                              ;   in Loop: Header=BB25_17 Depth=1
	s_and_not1_saveexec_b32 s4, s4
; %bb.60:                               ;   in Loop: Header=BB25_17 Depth=1
	v_mul_f32_e32 v106, v94, v94
	s_delay_alu instid0(VALU_DEP_1) | instskip(NEXT) | instid1(VALU_DEP_1)
	v_fmaak_f32 v107, s18, v106, 0x3ca908c9
	v_fmaak_f32 v107, v106, v107, 0xbd5c1c4e
	s_delay_alu instid0(VALU_DEP_1) | instskip(NEXT) | instid1(VALU_DEP_1)
	v_fmaak_f32 v107, v106, v107, 0x3e088382
	v_fmaak_f32 v107, v106, v107, 0xbeaaaa99
	s_delay_alu instid0(VALU_DEP_1) | instskip(NEXT) | instid1(VALU_DEP_1)
	v_mul_f32_e64 v107, |v94|, v107
	v_fma_f32 v106, v106, v107, |v94|
; %bb.61:                               ;   in Loop: Header=BB25_17 Depth=1
	s_or_b32 exec_lo, exec_lo, s4
	v_cmp_ngt_f32_e64 s4, 0x3f200000, |v95|
                                        ; implicit-def: $vgpr107
	s_delay_alu instid0(VALU_DEP_1) | instskip(NEXT) | instid1(SALU_CYCLE_1)
	s_and_saveexec_b32 s19, s4
	s_xor_b32 s4, exec_lo, s19
	s_cbranch_execz .LBB25_63
; %bb.62:                               ;   in Loop: Header=BB25_17 Depth=1
	v_add_f32_e64 v107, |v95|, |v95|
	s_delay_alu instid0(VALU_DEP_1) | instskip(SKIP_1) | instid1(VALU_DEP_2)
	v_mul_f32_e32 v108, 0x3fb8aa3b, v107
	v_cmp_ngt_f32_e32 vcc_lo, 0xc2ce8ed0, v107
	v_rndne_f32_e32 v109, v108
	v_fma_f32 v110, 0x3fb8aa3b, v107, -v108
	s_delay_alu instid0(VALU_DEP_2) | instskip(NEXT) | instid1(VALU_DEP_2)
	v_sub_f32_e32 v108, v108, v109
	v_fmac_f32_e32 v110, 0x32a5705f, v107
	v_cvt_i32_f32_e32 v109, v109
	s_delay_alu instid0(VALU_DEP_2) | instskip(NEXT) | instid1(VALU_DEP_1)
	v_add_f32_e32 v108, v108, v110
	v_exp_f32_e32 v108, v108
	s_waitcnt_depctr 0xfff
	v_ldexp_f32 v108, v108, v109
	s_delay_alu instid0(VALU_DEP_1) | instskip(SKIP_1) | instid1(VALU_DEP_2)
	v_cndmask_b32_e32 v108, 0, v108, vcc_lo
	v_cmp_nlt_f32_e32 vcc_lo, 0x42b17218, v107
	v_cndmask_b32_e32 v107, 0x7f800000, v108, vcc_lo
	s_delay_alu instid0(VALU_DEP_1) | instskip(NEXT) | instid1(VALU_DEP_1)
	v_add_f32_e32 v107, 1.0, v107
	v_rcp_f32_e32 v107, v107
	s_waitcnt_depctr 0xfff
	v_fma_f32 v107, v107, -2.0, 1.0
.LBB25_63:                              ;   in Loop: Header=BB25_17 Depth=1
	s_and_not1_saveexec_b32 s4, s4
; %bb.64:                               ;   in Loop: Header=BB25_17 Depth=1
	v_mul_f32_e32 v107, v95, v95
	s_delay_alu instid0(VALU_DEP_1) | instskip(NEXT) | instid1(VALU_DEP_1)
	v_fmaak_f32 v108, s18, v107, 0x3ca908c9
	v_fmaak_f32 v108, v107, v108, 0xbd5c1c4e
	s_delay_alu instid0(VALU_DEP_1) | instskip(NEXT) | instid1(VALU_DEP_1)
	v_fmaak_f32 v108, v107, v108, 0x3e088382
	v_fmaak_f32 v108, v107, v108, 0xbeaaaa99
	s_delay_alu instid0(VALU_DEP_1) | instskip(NEXT) | instid1(VALU_DEP_1)
	v_mul_f32_e64 v108, |v95|, v108
	v_fma_f32 v107, v107, v108, |v95|
; %bb.65:                               ;   in Loop: Header=BB25_17 Depth=1
	s_or_b32 exec_lo, exec_lo, s4
	v_cmp_ngt_f32_e64 s4, 0x3f200000, |v93|
                                        ; implicit-def: $vgpr108
	s_delay_alu instid0(VALU_DEP_1) | instskip(NEXT) | instid1(SALU_CYCLE_1)
	s_and_saveexec_b32 s19, s4
	s_xor_b32 s4, exec_lo, s19
	s_cbranch_execz .LBB25_67
; %bb.66:                               ;   in Loop: Header=BB25_17 Depth=1
	v_add_f32_e64 v108, |v93|, |v93|
	s_delay_alu instid0(VALU_DEP_1) | instskip(SKIP_1) | instid1(VALU_DEP_2)
	v_mul_f32_e32 v109, 0x3fb8aa3b, v108
	v_cmp_ngt_f32_e32 vcc_lo, 0xc2ce8ed0, v108
	v_rndne_f32_e32 v110, v109
	v_fma_f32 v111, 0x3fb8aa3b, v108, -v109
	s_delay_alu instid0(VALU_DEP_2) | instskip(NEXT) | instid1(VALU_DEP_2)
	v_sub_f32_e32 v109, v109, v110
	v_fmac_f32_e32 v111, 0x32a5705f, v108
	v_cvt_i32_f32_e32 v110, v110
	s_delay_alu instid0(VALU_DEP_2) | instskip(NEXT) | instid1(VALU_DEP_1)
	v_add_f32_e32 v109, v109, v111
	v_exp_f32_e32 v109, v109
	s_waitcnt_depctr 0xfff
	v_ldexp_f32 v109, v109, v110
	s_delay_alu instid0(VALU_DEP_1) | instskip(SKIP_1) | instid1(VALU_DEP_2)
	v_cndmask_b32_e32 v109, 0, v109, vcc_lo
	v_cmp_nlt_f32_e32 vcc_lo, 0x42b17218, v108
	v_cndmask_b32_e32 v108, 0x7f800000, v109, vcc_lo
	s_delay_alu instid0(VALU_DEP_1) | instskip(NEXT) | instid1(VALU_DEP_1)
	v_add_f32_e32 v108, 1.0, v108
	v_rcp_f32_e32 v108, v108
	s_waitcnt_depctr 0xfff
	v_fma_f32 v108, v108, -2.0, 1.0
.LBB25_67:                              ;   in Loop: Header=BB25_17 Depth=1
	s_and_not1_saveexec_b32 s4, s4
; %bb.68:                               ;   in Loop: Header=BB25_17 Depth=1
	v_mul_f32_e32 v108, v93, v93
	s_delay_alu instid0(VALU_DEP_1) | instskip(NEXT) | instid1(VALU_DEP_1)
	v_fmaak_f32 v109, s18, v108, 0x3ca908c9
	v_fmaak_f32 v109, v108, v109, 0xbd5c1c4e
	s_delay_alu instid0(VALU_DEP_1) | instskip(NEXT) | instid1(VALU_DEP_1)
	v_fmaak_f32 v109, v108, v109, 0x3e088382
	v_fmaak_f32 v109, v108, v109, 0xbeaaaa99
	s_delay_alu instid0(VALU_DEP_1) | instskip(NEXT) | instid1(VALU_DEP_1)
	v_mul_f32_e64 v109, |v93|, v109
	v_fma_f32 v108, v108, v109, |v93|
; %bb.69:                               ;   in Loop: Header=BB25_17 Depth=1
	s_or_b32 exec_lo, exec_lo, s4
	v_bfi_b32 v92, 0x7fffffff, v103, v92
	v_bfi_b32 v94, 0x7fffffff, v106, v94
	;; [unrolled: 1-line block ×3, first 2 shown]
	v_cmp_ngt_f32_e64 s4, 0x3f200000, |v82|
	s_delay_alu instid0(VALU_DEP_4) | instskip(NEXT) | instid1(VALU_DEP_4)
	v_fma_f32 v103, s17, v92, v9
	v_fma_f32 v95, s17, v94, v7
	v_bfi_b32 v92, 0x7fffffff, v108, v93
	v_fma_f32 v94, s17, v106, v4
	s_delay_alu instid0(VALU_DEP_3) | instskip(NEXT) | instid1(VALU_DEP_3)
	v_add_f32_e32 v107, 0x40051340, v95
	v_fma_f32 v93, s17, v92, v5
	s_delay_alu instid0(VALU_DEP_3) | instskip(SKIP_1) | instid1(VALU_DEP_1)
	v_add_f32_e32 v92, 0x40051340, v94
	v_add_f32_e32 v106, 0x40051340, v103
	v_max3_f32 v106, v87, v106, v107
	s_delay_alu instid0(VALU_DEP_4) | instskip(NEXT) | instid1(VALU_DEP_1)
	v_add_f32_e32 v107, 0x40051340, v93
	v_max3_f32 v92, v106, v92, v107
                                        ; implicit-def: $vgpr107
	ds_bpermute_b32 v106, v0, v92
	s_waitcnt lgkmcnt(0)
	v_max_f32_e32 v106, v106, v106
	s_delay_alu instid0(VALU_DEP_1) | instskip(SKIP_3) | instid1(VALU_DEP_1)
	v_max_f32_e32 v92, v92, v106
	ds_bpermute_b32 v106, v102, v92
	s_waitcnt lgkmcnt(0)
	v_max_f32_e32 v106, v106, v106
	v_max_f32_e32 v92, v92, v106
	ds_bpermute_b32 v106, v8, v92
	s_waitcnt lgkmcnt(0)
	v_max_f32_e32 v106, v106, v106
	s_delay_alu instid0(VALU_DEP_1) | instskip(SKIP_3) | instid1(VALU_DEP_1)
	v_max_f32_e32 v92, v92, v106
	ds_bpermute_b32 v106, v6, v92
	s_waitcnt lgkmcnt(0)
	v_max_f32_e32 v106, v106, v106
	v_max_f32_e32 v92, v92, v106
	ds_bpermute_b32 v106, v3, v92
	s_and_saveexec_b32 s19, s4
	s_delay_alu instid0(SALU_CYCLE_1)
	s_xor_b32 s4, exec_lo, s19
	s_cbranch_execz .LBB25_71
; %bb.70:                               ;   in Loop: Header=BB25_17 Depth=1
	v_add_f32_e64 v107, |v82|, |v82|
	s_delay_alu instid0(VALU_DEP_1) | instskip(SKIP_1) | instid1(VALU_DEP_2)
	v_mul_f32_e32 v108, 0x3fb8aa3b, v107
	v_cmp_ngt_f32_e32 vcc_lo, 0xc2ce8ed0, v107
	v_rndne_f32_e32 v109, v108
	v_fma_f32 v110, 0x3fb8aa3b, v107, -v108
	s_delay_alu instid0(VALU_DEP_2) | instskip(NEXT) | instid1(VALU_DEP_2)
	v_sub_f32_e32 v108, v108, v109
	v_fmac_f32_e32 v110, 0x32a5705f, v107
	v_cvt_i32_f32_e32 v109, v109
	s_delay_alu instid0(VALU_DEP_2) | instskip(NEXT) | instid1(VALU_DEP_1)
	v_add_f32_e32 v108, v108, v110
	v_exp_f32_e32 v108, v108
	s_waitcnt_depctr 0xfff
	v_ldexp_f32 v108, v108, v109
	s_delay_alu instid0(VALU_DEP_1) | instskip(SKIP_1) | instid1(VALU_DEP_2)
	v_cndmask_b32_e32 v108, 0, v108, vcc_lo
	v_cmp_nlt_f32_e32 vcc_lo, 0x42b17218, v107
	v_cndmask_b32_e32 v107, 0x7f800000, v108, vcc_lo
	s_delay_alu instid0(VALU_DEP_1) | instskip(NEXT) | instid1(VALU_DEP_1)
	v_add_f32_e32 v107, 1.0, v107
	v_rcp_f32_e32 v107, v107
	s_waitcnt_depctr 0xfff
	v_fma_f32 v107, v107, -2.0, 1.0
.LBB25_71:                              ;   in Loop: Header=BB25_17 Depth=1
	s_and_not1_saveexec_b32 s4, s4
; %bb.72:                               ;   in Loop: Header=BB25_17 Depth=1
	v_mul_f32_e32 v107, v82, v82
	s_delay_alu instid0(VALU_DEP_1) | instskip(NEXT) | instid1(VALU_DEP_1)
	v_fmaak_f32 v108, s18, v107, 0x3ca908c9
	v_fmaak_f32 v108, v107, v108, 0xbd5c1c4e
	s_delay_alu instid0(VALU_DEP_1) | instskip(NEXT) | instid1(VALU_DEP_1)
	v_fmaak_f32 v108, v107, v108, 0x3e088382
	v_fmaak_f32 v108, v107, v108, 0xbeaaaa99
	s_delay_alu instid0(VALU_DEP_1) | instskip(NEXT) | instid1(VALU_DEP_1)
	v_mul_f32_e64 v108, |v82|, v108
	v_fma_f32 v107, v107, v108, |v82|
; %bb.73:                               ;   in Loop: Header=BB25_17 Depth=1
	s_or_b32 exec_lo, exec_lo, s4
	v_cmp_ngt_f32_e64 s4, 0x3f200000, |v83|
                                        ; implicit-def: $vgpr108
	s_delay_alu instid0(VALU_DEP_1) | instskip(NEXT) | instid1(SALU_CYCLE_1)
	s_and_saveexec_b32 s19, s4
	s_xor_b32 s4, exec_lo, s19
	s_cbranch_execz .LBB25_75
; %bb.74:                               ;   in Loop: Header=BB25_17 Depth=1
	v_add_f32_e64 v108, |v83|, |v83|
	s_delay_alu instid0(VALU_DEP_1) | instskip(SKIP_1) | instid1(VALU_DEP_2)
	v_mul_f32_e32 v109, 0x3fb8aa3b, v108
	v_cmp_ngt_f32_e32 vcc_lo, 0xc2ce8ed0, v108
	v_rndne_f32_e32 v110, v109
	v_fma_f32 v111, 0x3fb8aa3b, v108, -v109
	s_delay_alu instid0(VALU_DEP_2) | instskip(NEXT) | instid1(VALU_DEP_2)
	v_sub_f32_e32 v109, v109, v110
	v_fmac_f32_e32 v111, 0x32a5705f, v108
	v_cvt_i32_f32_e32 v110, v110
	s_delay_alu instid0(VALU_DEP_2) | instskip(NEXT) | instid1(VALU_DEP_1)
	v_add_f32_e32 v109, v109, v111
	v_exp_f32_e32 v109, v109
	s_waitcnt_depctr 0xfff
	v_ldexp_f32 v109, v109, v110
	s_delay_alu instid0(VALU_DEP_1) | instskip(SKIP_1) | instid1(VALU_DEP_2)
	v_cndmask_b32_e32 v109, 0, v109, vcc_lo
	v_cmp_nlt_f32_e32 vcc_lo, 0x42b17218, v108
	v_cndmask_b32_e32 v108, 0x7f800000, v109, vcc_lo
	s_delay_alu instid0(VALU_DEP_1) | instskip(NEXT) | instid1(VALU_DEP_1)
	v_add_f32_e32 v108, 1.0, v108
	v_rcp_f32_e32 v108, v108
	s_waitcnt_depctr 0xfff
	v_fma_f32 v108, v108, -2.0, 1.0
.LBB25_75:                              ;   in Loop: Header=BB25_17 Depth=1
	s_and_not1_saveexec_b32 s4, s4
; %bb.76:                               ;   in Loop: Header=BB25_17 Depth=1
	v_mul_f32_e32 v108, v83, v83
	s_delay_alu instid0(VALU_DEP_1) | instskip(NEXT) | instid1(VALU_DEP_1)
	v_fmaak_f32 v109, s18, v108, 0x3ca908c9
	v_fmaak_f32 v109, v108, v109, 0xbd5c1c4e
	s_delay_alu instid0(VALU_DEP_1) | instskip(NEXT) | instid1(VALU_DEP_1)
	v_fmaak_f32 v109, v108, v109, 0x3e088382
	v_fmaak_f32 v109, v108, v109, 0xbeaaaa99
	s_delay_alu instid0(VALU_DEP_1) | instskip(NEXT) | instid1(VALU_DEP_1)
	v_mul_f32_e64 v109, |v83|, v109
	v_fma_f32 v108, v108, v109, |v83|
; %bb.77:                               ;   in Loop: Header=BB25_17 Depth=1
	s_or_b32 exec_lo, exec_lo, s4
	v_cmp_ngt_f32_e64 s4, 0x3f200000, |v81|
                                        ; implicit-def: $vgpr109
	s_delay_alu instid0(VALU_DEP_1) | instskip(NEXT) | instid1(SALU_CYCLE_1)
	s_and_saveexec_b32 s19, s4
	s_xor_b32 s4, exec_lo, s19
	s_cbranch_execz .LBB25_79
; %bb.78:                               ;   in Loop: Header=BB25_17 Depth=1
	v_add_f32_e64 v109, |v81|, |v81|
	s_delay_alu instid0(VALU_DEP_1) | instskip(SKIP_1) | instid1(VALU_DEP_2)
	v_mul_f32_e32 v110, 0x3fb8aa3b, v109
	v_cmp_ngt_f32_e32 vcc_lo, 0xc2ce8ed0, v109
	v_rndne_f32_e32 v111, v110
	v_fma_f32 v112, 0x3fb8aa3b, v109, -v110
	s_delay_alu instid0(VALU_DEP_2) | instskip(NEXT) | instid1(VALU_DEP_2)
	v_sub_f32_e32 v110, v110, v111
	v_fmac_f32_e32 v112, 0x32a5705f, v109
	v_cvt_i32_f32_e32 v111, v111
	s_delay_alu instid0(VALU_DEP_2) | instskip(NEXT) | instid1(VALU_DEP_1)
	v_add_f32_e32 v110, v110, v112
	v_exp_f32_e32 v110, v110
	s_waitcnt_depctr 0xfff
	v_ldexp_f32 v110, v110, v111
	s_delay_alu instid0(VALU_DEP_1) | instskip(SKIP_1) | instid1(VALU_DEP_2)
	v_cndmask_b32_e32 v110, 0, v110, vcc_lo
	v_cmp_nlt_f32_e32 vcc_lo, 0x42b17218, v109
	v_cndmask_b32_e32 v109, 0x7f800000, v110, vcc_lo
	s_delay_alu instid0(VALU_DEP_1) | instskip(NEXT) | instid1(VALU_DEP_1)
	v_add_f32_e32 v109, 1.0, v109
	v_rcp_f32_e32 v109, v109
	s_waitcnt_depctr 0xfff
	v_fma_f32 v109, v109, -2.0, 1.0
.LBB25_79:                              ;   in Loop: Header=BB25_17 Depth=1
	s_and_not1_saveexec_b32 s4, s4
; %bb.80:                               ;   in Loop: Header=BB25_17 Depth=1
	v_mul_f32_e32 v109, v81, v81
	s_delay_alu instid0(VALU_DEP_1) | instskip(NEXT) | instid1(VALU_DEP_1)
	v_fmaak_f32 v110, s18, v109, 0x3ca908c9
	v_fmaak_f32 v110, v109, v110, 0xbd5c1c4e
	s_delay_alu instid0(VALU_DEP_1) | instskip(NEXT) | instid1(VALU_DEP_1)
	v_fmaak_f32 v110, v109, v110, 0x3e088382
	v_fmaak_f32 v110, v109, v110, 0xbeaaaa99
	s_delay_alu instid0(VALU_DEP_1) | instskip(NEXT) | instid1(VALU_DEP_1)
	v_mul_f32_e64 v110, |v81|, v110
	v_fma_f32 v109, v109, v110, |v81|
; %bb.81:                               ;   in Loop: Header=BB25_17 Depth=1
	s_or_b32 exec_lo, exec_lo, s4
	v_cmp_ngt_f32_e64 s4, 0x3f200000, |v80|
                                        ; implicit-def: $vgpr110
	s_delay_alu instid0(VALU_DEP_1) | instskip(NEXT) | instid1(SALU_CYCLE_1)
	s_and_saveexec_b32 s19, s4
	s_xor_b32 s4, exec_lo, s19
	s_cbranch_execz .LBB25_83
; %bb.82:                               ;   in Loop: Header=BB25_17 Depth=1
	v_add_f32_e64 v110, |v80|, |v80|
	s_delay_alu instid0(VALU_DEP_1) | instskip(SKIP_1) | instid1(VALU_DEP_2)
	v_mul_f32_e32 v111, 0x3fb8aa3b, v110
	v_cmp_ngt_f32_e32 vcc_lo, 0xc2ce8ed0, v110
	v_rndne_f32_e32 v112, v111
	v_fma_f32 v113, 0x3fb8aa3b, v110, -v111
	s_delay_alu instid0(VALU_DEP_2) | instskip(NEXT) | instid1(VALU_DEP_2)
	v_sub_f32_e32 v111, v111, v112
	v_fmac_f32_e32 v113, 0x32a5705f, v110
	v_cvt_i32_f32_e32 v112, v112
	s_delay_alu instid0(VALU_DEP_2) | instskip(NEXT) | instid1(VALU_DEP_1)
	v_add_f32_e32 v111, v111, v113
	v_exp_f32_e32 v111, v111
	s_waitcnt_depctr 0xfff
	v_ldexp_f32 v111, v111, v112
	s_delay_alu instid0(VALU_DEP_1) | instskip(SKIP_1) | instid1(VALU_DEP_2)
	v_cndmask_b32_e32 v111, 0, v111, vcc_lo
	v_cmp_nlt_f32_e32 vcc_lo, 0x42b17218, v110
	v_cndmask_b32_e32 v110, 0x7f800000, v111, vcc_lo
	s_delay_alu instid0(VALU_DEP_1) | instskip(NEXT) | instid1(VALU_DEP_1)
	v_add_f32_e32 v110, 1.0, v110
	v_rcp_f32_e32 v110, v110
	s_waitcnt_depctr 0xfff
	v_fma_f32 v110, v110, -2.0, 1.0
.LBB25_83:                              ;   in Loop: Header=BB25_17 Depth=1
	s_and_not1_saveexec_b32 s4, s4
; %bb.84:                               ;   in Loop: Header=BB25_17 Depth=1
	v_mul_f32_e32 v110, v80, v80
	s_delay_alu instid0(VALU_DEP_1) | instskip(NEXT) | instid1(VALU_DEP_1)
	v_fmaak_f32 v111, s18, v110, 0x3ca908c9
	v_fmaak_f32 v111, v110, v111, 0xbd5c1c4e
	s_delay_alu instid0(VALU_DEP_1) | instskip(NEXT) | instid1(VALU_DEP_1)
	v_fmaak_f32 v111, v110, v111, 0x3e088382
	v_fmaak_f32 v111, v110, v111, 0xbeaaaa99
	s_delay_alu instid0(VALU_DEP_1) | instskip(NEXT) | instid1(VALU_DEP_1)
	v_mul_f32_e64 v111, |v80|, v111
	v_fma_f32 v110, v110, v111, |v80|
; %bb.85:                               ;   in Loop: Header=BB25_17 Depth=1
	s_or_b32 exec_lo, exec_lo, s4
	v_bfi_b32 v82, 0x7fffffff, v107, v82
	v_bfi_b32 v83, 0x7fffffff, v108, v83
	;; [unrolled: 1-line block ×4, first 2 shown]
	v_max_f32_e32 v105, v105, v105
	v_fmac_f32_e32 v9, s17, v82
	s_mul_hi_i32 s21, s13, s10
	v_dual_fmac_f32 v4, s17, v81 :: v_dual_fmac_f32 v7, s17, v83
	s_delay_alu instid0(VALU_DEP_2) | instskip(SKIP_1) | instid1(VALU_DEP_2)
	v_dual_fmac_f32 v5, s17, v80 :: v_dual_add_f32 v80, 0x40051340, v9
	s_mul_i32 s20, s13, s10
	v_dual_add_f32 v82, 0x40051340, v4 :: v_dual_add_f32 v81, 0x40051340, v7
	s_delay_alu instid0(VALU_DEP_2)
	v_add_f32_e32 v83, 0x40051340, v5
	s_lshl_b64 s[20:21], s[20:21], 2
	s_waitcnt lgkmcnt(0)
	s_add_u32 s4, s11, s20
	v_max3_f32 v80, v85, v80, v81
	v_dual_max_f32 v81, v106, v106 :: v_dual_max_f32 v106, v92, v92
	v_lshlrev_b32_e32 v92, 2, v31
	s_addc_u32 s19, s16, s21
	s_delay_alu instid0(VALU_DEP_3)
	v_max3_f32 v80, v80, v82, v83
	v_dual_max_f32 v82, v104, v104 :: v_dual_max_f32 v83, v2, v2
	v_max_f32_e32 v104, v1, v1
	s_barrier
	ds_bpermute_b32 v107, v0, v80
	v_max_f32_e32 v2, v106, v81
	v_dual_max_f32 v1, v82, v105 :: v_dual_max_f32 v0, v104, v83
	v_add_co_u32 v81, vcc_lo, s4, v27
	v_add_co_ci_u32_e32 v82, vcc_lo, s19, v28, vcc_lo
	v_add_co_u32 v83, vcc_lo, s4, v29
	v_add_co_ci_u32_e32 v104, vcc_lo, s19, v30, vcc_lo
	v_dual_sub_f32 v117, v11, v0 :: v_dual_sub_f32 v122, v97, v1
	v_dual_sub_f32 v91, v91, v0 :: v_dual_sub_f32 v120, v98, v1
	s_waitcnt lgkmcnt(0)
	buffer_gl0_inv
	v_sub_f32_e32 v118, v100, v0
	v_dual_sub_f32 v101, v101, v0 :: v_dual_mul_f32 v128, 0x3fb8aa3b, v122
	v_dual_max_f32 v105, v107, v107 :: v_dual_sub_f32 v116, v10, v0
	v_add_co_u32 v10, vcc_lo, v81, v92
	v_add_co_ci_u32_e32 v11, vcc_lo, 0, v82, vcc_lo
	s_delay_alu instid0(VALU_DEP_3)
	v_max_f32_e32 v119, v80, v105
	v_add_co_u32 v80, vcc_lo, v83, v92
	v_add_co_ci_u32_e32 v81, vcc_lo, 0, v104, vcc_lo
	ds_bpermute_b32 v102, v102, v119
	v_dual_sub_f32 v121, v99, v1 :: v_dual_mul_f32 v82, 0x3fb8aa3b, v116
	v_mul_f32_e32 v125, 0x3fb8aa3b, v91
	s_clause 0x3
	global_load_b128 v[97:100], v[10:11], off
	global_load_b128 v[104:107], v[10:11], off offset:512
	global_load_b128 v[108:111], v[80:81], off
	global_load_b128 v[112:115], v[80:81], off offset:512
	v_dual_mul_f32 v83, 0x3fb8aa3b, v117 :: v_dual_mul_f32 v126, 0x3fb8aa3b, v120
	v_dual_mul_f32 v123, 0x3fb8aa3b, v118 :: v_dual_mul_f32 v124, 0x3fb8aa3b, v101
	v_fma_f32 v10, 0x3fb8aa3b, v116, -v82
	v_rndne_f32_e32 v11, v82
	s_delay_alu instid0(VALU_DEP_4) | instskip(NEXT) | instid1(VALU_DEP_4)
	v_fma_f32 v81, 0x3fb8aa3b, v117, -v83
	v_fma_f32 v129, 0x3fb8aa3b, v118, -v123
	v_rndne_f32_e32 v130, v123
	v_rndne_f32_e32 v131, v124
	v_fma_f32 v134, 0x3fb8aa3b, v120, -v126
	v_rndne_f32_e32 v135, v126
	v_dual_fmac_f32 v10, 0x32a5705f, v116 :: v_dual_fmac_f32 v81, 0x32a5705f, v117
	v_fmac_f32_e32 v129, 0x32a5705f, v118
	s_waitcnt lgkmcnt(0)
	v_dual_max_f32 v80, v102, v102 :: v_dual_mul_f32 v127, 0x3fb8aa3b, v121
	v_rndne_f32_e32 v102, v83
	v_fma_f32 v132, 0x3fb8aa3b, v91, -v125
	v_rndne_f32_e32 v133, v125
	s_delay_alu instid0(VALU_DEP_4)
	v_max_f32_e32 v80, v119, v80
	v_fma_f32 v119, 0x3fb8aa3b, v101, -v124
	v_dual_sub_f32 v82, v82, v11 :: v_dual_sub_f32 v83, v83, v102
	v_dual_sub_f32 v123, v123, v130 :: v_dual_fmac_f32 v132, 0x32a5705f, v91
	ds_bpermute_b32 v8, v8, v80
	v_dual_fmac_f32 v119, 0x32a5705f, v101 :: v_dual_sub_f32 v124, v124, v131
	v_dual_sub_f32 v125, v125, v133 :: v_dual_fmac_f32 v134, 0x32a5705f, v120
	v_dual_sub_f32 v126, v126, v135 :: v_dual_add_f32 v81, v83, v81
	s_delay_alu instid0(VALU_DEP_2) | instskip(SKIP_2) | instid1(VALU_DEP_4)
	v_dual_add_f32 v10, v82, v10 :: v_dual_add_f32 v83, v125, v132
	v_rndne_f32_e32 v137, v127
	v_cvt_i32_f32_e32 v11, v11
	v_exp_f32_e32 v81, v81
	s_delay_alu instid0(VALU_DEP_3)
	v_exp_f32_e32 v10, v10
	v_cvt_i32_f32_e32 v102, v102
	v_cmp_ngt_f32_e32 vcc_lo, 0xc2ce8ed0, v116
	v_cvt_i32_f32_e32 v130, v130
	v_sub_f32_e32 v125, v127, v137
	v_fma_f32 v136, 0x3fb8aa3b, v121, -v127
	v_exp_f32_e32 v83, v83
	v_rndne_f32_e32 v139, v128
	s_waitcnt lgkmcnt(0)
	v_max_f32_e32 v8, v8, v8
	v_dual_add_f32 v82, v124, v119 :: v_dual_add_f32 v119, v126, v134
	v_ldexp_f32 v10, v10, v11
	v_ldexp_f32 v11, v81, v102
	s_delay_alu instid0(VALU_DEP_4) | instskip(NEXT) | instid1(VALU_DEP_4)
	v_max_f32_e32 v8, v80, v8
	v_exp_f32_e32 v82, v82
	v_cvt_i32_f32_e32 v124, v133
	v_cndmask_b32_e32 v10, 0, v10, vcc_lo
	v_cmp_ngt_f32_e32 vcc_lo, 0xc2ce8ed0, v117
	ds_bpermute_b32 v6, v6, v8
	v_add_f32_e32 v80, v123, v129
	v_cvt_i32_f32_e32 v123, v131
	v_fma_f32 v138, 0x3fb8aa3b, v122, -v128
	v_cndmask_b32_e32 v11, 0, v11, vcc_lo
	v_cmp_ngt_f32_e32 vcc_lo, 0xc2ce8ed0, v118
	v_exp_f32_e32 v80, v80
	v_ldexp_f32 v81, v82, v123
	v_ldexp_f32 v82, v83, v124
	v_fmac_f32_e32 v138, 0x32a5705f, v122
	v_exp_f32_e32 v119, v119
	s_or_b32 s4, s13, 16
	v_sub_f32_e32 v95, v95, v2
	s_mul_hi_i32 s21, s4, s10
	s_mul_i32 s20, s4, s10
	s_waitcnt_depctr 0xfff
	v_ldexp_f32 v80, v80, v130
	s_lshl_b64 s[20:21], s[20:21], 2
	s_delay_alu instid0(SALU_CYCLE_1) | instskip(SKIP_3) | instid1(VALU_DEP_1)
	s_add_u32 s4, s11, s20
	s_waitcnt lgkmcnt(0)
	v_max_f32_e32 v6, v6, v6
	s_addc_u32 s19, s16, s21
	v_max_f32_e32 v6, v8, v6
	ds_bpermute_b32 v3, v3, v6
	s_waitcnt lgkmcnt(0)
	v_dual_fmac_f32 v136, 0x32a5705f, v121 :: v_dual_max_f32 v3, v3, v3
	v_cndmask_b32_e32 v80, 0, v80, vcc_lo
	v_cmp_ngt_f32_e32 vcc_lo, 0xc2ce8ed0, v101
	s_delay_alu instid0(VALU_DEP_3) | instskip(SKIP_2) | instid1(VALU_DEP_3)
	v_dual_max_f32 v3, v6, v3 :: v_dual_sub_f32 v6, v96, v1
	v_cndmask_b32_e32 v81, 0, v81, vcc_lo
	v_cmp_ngt_f32_e32 vcc_lo, 0xc2ce8ed0, v91
	v_sub_f32_e32 v4, v4, v3
	v_sub_f32_e32 v9, v9, v3
	v_dual_sub_f32 v7, v7, v3 :: v_dual_cndmask_b32 v8, 0, v82
	v_cmp_nlt_f32_e32 vcc_lo, 0x42b17218, v116
	v_dual_sub_f32 v5, v5, v3 :: v_dual_cndmask_b32 v10, 0x7f800000, v10
	v_cmp_nlt_f32_e32 vcc_lo, 0x42b17218, v117
	v_cndmask_b32_e32 v11, 0x7f800000, v11, vcc_lo
	v_cmp_nlt_f32_e32 vcc_lo, 0x42b17218, v118
	v_cndmask_b32_e32 v80, 0x7f800000, v80, vcc_lo
	;; [unrolled: 2-line block ×3, first 2 shown]
	v_cmp_nlt_f32_e32 vcc_lo, 0x42b17218, v101
	s_delay_alu instid0(VALU_DEP_2) | instskip(SKIP_2) | instid1(VALU_DEP_3)
	v_cvt_f16_f32_e32 v91, v8
	v_cndmask_b32_e32 v81, 0x7f800000, v81, vcc_lo
	v_cmp_ngt_f32_e32 vcc_lo, 0xc2ce8ed0, v120
	v_pk_mul_f16 v116, v91, v75 op_sel_hi:[0,1]
	v_pk_mul_f16 v117, v91, v73 op_sel_hi:[0,1]
	v_sub_f32_e32 v73, v128, v139
	v_sub_f32_e32 v75, v89, v1
	v_cvt_f16_f32_e32 v83, v10
	v_add_f32_e32 v10, v10, v11
	v_cvt_i32_f32_e32 v89, v137
	v_add_f32_e32 v73, v73, v138
	v_cvt_f16_f32_e32 v101, v80
	v_pk_mul_f16 v118, v91, v74 op_sel_hi:[0,1]
	v_add_f32_e32 v10, v80, v10
	v_mul_f32_e32 v74, 0x3fb8aa3b, v6
	v_exp_f32_e32 v73, v73
	v_cvt_f16_f32_e32 v102, v81
	v_cvt_f16_f32_e32 v11, v11
	v_add_f32_e32 v80, v81, v10
	v_add_f32_e32 v10, v125, v136
	v_fma_f32 v81, 0x3fb8aa3b, v6, -v74
	v_rndne_f32_e32 v82, v74
	v_pk_mul_f16 v78, v91, v78 op_sel_hi:[0,1]
	v_pk_mul_f16 v77, v91, v77 op_sel_hi:[0,1]
	v_exp_f32_e32 v10, v10
	v_fmac_f32_e32 v81, 0x32a5705f, v6
	v_sub_f32_e32 v74, v74, v82
	v_cvt_i32_f32_e32 v82, v82
	v_pk_mul_f16 v79, v91, v79 op_sel_hi:[0,1]
	v_pk_mul_f16 v76, v91, v76 op_sel_hi:[0,1]
	s_delay_alu instid0(VALU_DEP_4) | instskip(NEXT) | instid1(TRANS32_DEP_1)
	v_add_f32_e32 v74, v74, v81
	v_ldexp_f32 v10, v10, v89
	v_cvt_i32_f32_e32 v89, v139
	s_delay_alu instid0(VALU_DEP_3) | instskip(NEXT) | instid1(VALU_DEP_1)
	v_exp_f32_e32 v74, v74
	v_ldexp_f32 v73, v73, v89
	v_fmac_f32_e32 v80, v90, v8
	v_cvt_i32_f32_e32 v8, v135
	s_waitcnt_depctr 0xfff
	v_ldexp_f32 v74, v74, v82
	v_ldexp_f32 v8, v119, v8
	s_delay_alu instid0(VALU_DEP_1) | instskip(SKIP_1) | instid1(VALU_DEP_2)
	v_cndmask_b32_e32 v8, 0, v8, vcc_lo
	v_cmp_nlt_f32_e32 vcc_lo, 0x42b17218, v120
	v_cndmask_b32_e32 v8, 0x7f800000, v8, vcc_lo
	v_cmp_ngt_f32_e32 vcc_lo, 0xc2ce8ed0, v121
	v_cndmask_b32_e32 v10, 0, v10, vcc_lo
	v_cmp_nlt_f32_e32 vcc_lo, 0x42b17218, v121
	s_delay_alu instid0(VALU_DEP_2) | instskip(SKIP_2) | instid1(VALU_DEP_2)
	v_cndmask_b32_e32 v10, 0x7f800000, v10, vcc_lo
	v_mul_f32_e32 v90, 0x3fb8aa3b, v75
	v_cmp_ngt_f32_e32 vcc_lo, 0xc2ce8ed0, v122
	v_fma_f32 v81, 0x3fb8aa3b, v75, -v90
	v_rndne_f32_e32 v96, v90
	v_cndmask_b32_e32 v73, 0, v73, vcc_lo
	v_cmp_nlt_f32_e32 vcc_lo, 0x42b17218, v122
	s_delay_alu instid0(VALU_DEP_4) | instskip(NEXT) | instid1(VALU_DEP_4)
	v_fmac_f32_e32 v81, 0x32a5705f, v75
	v_dual_sub_f32 v89, v90, v96 :: v_dual_sub_f32 v90, v103, v2
	s_delay_alu instid0(VALU_DEP_4) | instskip(SKIP_1) | instid1(VALU_DEP_3)
	v_cndmask_b32_e32 v73, 0x7f800000, v73, vcc_lo
	v_cmp_ngt_f32_e32 vcc_lo, 0xc2ce8ed0, v6
	v_add_f32_e32 v81, v89, v81
	v_add_f32_e32 v89, v8, v10
	v_cvt_f16_f32_e32 v8, v8
	v_cndmask_b32_e32 v74, 0, v74, vcc_lo
	v_cmp_nlt_f32_e32 vcc_lo, 0x42b17218, v6
	v_exp_f32_e32 v81, v81
	v_add_f32_e32 v82, v73, v89
	v_cvt_i32_f32_e32 v89, v96
	v_cvt_f16_f32_e32 v10, v10
	v_cndmask_b32_e32 v6, 0x7f800000, v74, vcc_lo
	v_cmp_ngt_f32_e32 vcc_lo, 0xc2ce8ed0, v75
	v_cvt_f16_f32_e32 v73, v73
	s_delay_alu instid0(VALU_DEP_3) | instskip(NEXT) | instid1(TRANS32_DEP_1)
	v_cvt_f16_f32_e32 v103, v6
	v_ldexp_f32 v74, v81, v89
	v_mul_f32_e32 v89, 0x3fb8aa3b, v90
	v_add_f32_e32 v81, v6, v82
	s_delay_alu instid0(VALU_DEP_3) | instskip(NEXT) | instid1(VALU_DEP_3)
	v_cndmask_b32_e32 v74, 0, v74, vcc_lo
	v_fma_f32 v82, 0x3fb8aa3b, v90, -v89
	v_rndne_f32_e32 v96, v89
	v_cmp_nlt_f32_e32 vcc_lo, 0x42b17218, v75
	s_delay_alu instid0(VALU_DEP_2) | instskip(SKIP_3) | instid1(VALU_DEP_4)
	v_dual_fmac_f32 v82, 0x32a5705f, v90 :: v_dual_sub_f32 v75, v89, v96
	v_cndmask_b32_e32 v74, 0x7f800000, v74, vcc_lo
	v_mul_f32_e32 v89, 0x3fb8aa3b, v95
	v_cmp_ngt_f32_e32 vcc_lo, 0xc2ce8ed0, v90
	v_add_f32_e32 v6, v75, v82
	s_delay_alu instid0(VALU_DEP_4)
	v_cvt_f16_f32_e32 v119, v74
	v_fmac_f32_e32 v81, v88, v74
	v_fma_f32 v74, 0x3fb8aa3b, v95, -v89
	v_rndne_f32_e32 v75, v89
	v_exp_f32_e32 v6, v6
	v_pk_mul_f16 v121, v119, v68 op_sel_hi:[0,1]
	v_cvt_i32_f32_e32 v68, v96
	v_pk_mul_f16 v120, v119, v69 op_sel_hi:[0,1]
	v_fmac_f32_e32 v74, 0x32a5705f, v95
	v_sub_f32_e32 v69, v89, v75
	v_pk_mul_f16 v89, v119, v71 op_sel_hi:[0,1]
	v_sub_f32_e32 v71, v87, v2
	v_pk_mul_f16 v122, v119, v70 op_sel_hi:[0,1]
	v_sub_f32_e32 v70, v94, v2
	v_ldexp_f32 v6, v6, v68
	v_pk_mul_f16 v88, v119, v72 op_sel_hi:[0,1]
	v_cvt_i32_f32_e32 v72, v75
	v_mul_f32_e32 v82, 0x3fb8aa3b, v71
	v_pk_mul_f16 v65, v119, v65 op_sel_hi:[0,1]
	v_cndmask_b32_e32 v6, 0, v6, vcc_lo
	v_cmp_nlt_f32_e32 vcc_lo, 0x42b17218, v90
	v_pk_mul_f16 v66, v119, v66 op_sel_hi:[0,1]
	v_fma_f32 v94, 0x3fb8aa3b, v71, -v82
	s_delay_alu instid0(VALU_DEP_4) | instskip(SKIP_1) | instid1(VALU_DEP_3)
	v_cndmask_b32_e32 v6, 0x7f800000, v6, vcc_lo
	v_cmp_ngt_f32_e32 vcc_lo, 0xc2ce8ed0, v95
	v_dual_add_f32 v69, v69, v74 :: v_dual_fmac_f32 v94, 0x32a5705f, v71
	s_delay_alu instid0(VALU_DEP_3) | instskip(NEXT) | instid1(VALU_DEP_2)
	v_cvt_f16_f32_e32 v87, v6
	v_exp_f32_e32 v68, v69
	v_mul_f32_e32 v69, 0x3fb8aa3b, v70
	s_delay_alu instid0(VALU_DEP_1)
	v_fma_f32 v74, 0x3fb8aa3b, v70, -v69
	v_rndne_f32_e32 v75, v69
	s_waitcnt_depctr 0xfff
	v_ldexp_f32 v68, v68, v72
	v_dual_fmac_f32 v74, 0x32a5705f, v70 :: v_dual_sub_f32 v69, v69, v75
	v_sub_f32_e32 v72, v93, v2
	v_cvt_i32_f32_e32 v75, v75
	s_delay_alu instid0(VALU_DEP_4) | instskip(SKIP_1) | instid1(VALU_DEP_4)
	v_cndmask_b32_e32 v68, 0, v68, vcc_lo
	v_cmp_nlt_f32_e32 vcc_lo, 0x42b17218, v95
	v_dual_add_f32 v69, v69, v74 :: v_dual_mul_f32 v74, 0x3fb8aa3b, v72
	v_rndne_f32_e32 v95, v82
	s_delay_alu instid0(VALU_DEP_2) | instskip(NEXT) | instid1(VALU_DEP_2)
	v_exp_f32_e32 v69, v69
	v_fma_f32 v90, 0x3fb8aa3b, v72, -v74
	s_delay_alu instid0(VALU_DEP_2) | instskip(SKIP_3) | instid1(VALU_DEP_2)
	v_sub_f32_e32 v82, v82, v95
	v_cndmask_b32_e32 v68, 0x7f800000, v68, vcc_lo
	v_rndne_f32_e32 v93, v74
	v_cmp_ngt_f32_e32 vcc_lo, 0xc2ce8ed0, v70
	v_sub_f32_e32 v74, v74, v93
	s_delay_alu instid0(TRANS32_DEP_1) | instskip(SKIP_3) | instid1(VALU_DEP_4)
	v_ldexp_f32 v69, v69, v75
	v_dual_add_f32 v75, v82, v94 :: v_dual_mul_f32 v82, 0x3fb8aa3b, v9
	v_add_f32_e32 v6, v6, v68
	v_cvt_f16_f32_e32 v68, v68
	v_cndmask_b32_e32 v69, 0, v69, vcc_lo
	s_delay_alu instid0(VALU_DEP_4)
	v_exp_f32_e32 v75, v75
	v_rndne_f32_e32 v94, v82
	v_fmac_f32_e32 v90, 0x32a5705f, v72
	v_cmp_nlt_f32_e32 vcc_lo, 0x42b17218, v70
	v_cvt_i32_f32_e32 v70, v93
	v_fma_f32 v93, 0x3fb8aa3b, v9, -v82
	s_delay_alu instid0(VALU_DEP_4) | instskip(SKIP_2) | instid1(VALU_DEP_4)
	v_dual_add_f32 v74, v74, v90 :: v_dual_cndmask_b32 v69, 0x7f800000, v69
	v_cvt_i32_f32_e32 v90, v95
	v_cmp_ngt_f32_e32 vcc_lo, 0xc2ce8ed0, v72
	v_fmac_f32_e32 v93, 0x32a5705f, v9
	s_delay_alu instid0(VALU_DEP_4)
	v_exp_f32_e32 v74, v74
	v_add_f32_e32 v6, v69, v6
	v_cvt_f16_f32_e32 v69, v69
	s_waitcnt_depctr 0xfff
	v_ldexp_f32 v70, v74, v70
	v_ldexp_f32 v74, v75, v90
	v_sub_f32_e32 v75, v82, v94
	s_delay_alu instid0(VALU_DEP_3) | instskip(SKIP_1) | instid1(VALU_DEP_3)
	v_cndmask_b32_e32 v70, 0, v70, vcc_lo
	v_cmp_ngt_f32_e32 vcc_lo, 0xc2ce8ed0, v71
	v_dual_add_f32 v75, v75, v93 :: v_dual_cndmask_b32 v74, 0, v74
	v_cmp_nlt_f32_e32 vcc_lo, 0x42b17218, v72
	s_delay_alu instid0(VALU_DEP_2) | instskip(SKIP_3) | instid1(VALU_DEP_2)
	v_exp_f32_e32 v72, v75
	v_mul_f32_e32 v75, 0x3fb8aa3b, v4
	v_cndmask_b32_e32 v70, 0x7f800000, v70, vcc_lo
	v_cmp_nlt_f32_e32 vcc_lo, 0x42b17218, v71
	v_add_f32_e32 v82, v70, v6
	v_cndmask_b32_e32 v71, 0x7f800000, v74, vcc_lo
	v_cvt_i32_f32_e32 v6, v94
	v_mul_f32_e32 v74, 0x3fb8aa3b, v7
	v_cmp_ngt_f32_e32 vcc_lo, 0xc2ce8ed0, v9
	s_delay_alu instid0(VALU_DEP_4)
	v_cvt_f16_f32_e32 v90, v71
	v_fmac_f32_e32 v82, v86, v71
	v_ldexp_f32 v6, v72, v6
	v_fma_f32 v71, 0x3fb8aa3b, v7, -v74
	v_rndne_f32_e32 v72, v74
	v_pk_mul_f16 v86, v90, v63 op_sel_hi:[0,1]
	s_delay_alu instid0(VALU_DEP_4) | instskip(NEXT) | instid1(VALU_DEP_3)
	v_dual_sub_f32 v63, v85, v3 :: v_dual_cndmask_b32 v6, 0, v6
	v_dual_fmac_f32 v71, 0x32a5705f, v7 :: v_dual_sub_f32 v74, v74, v72
	v_cmp_nlt_f32_e32 vcc_lo, 0x42b17218, v9
	v_mul_f32_e32 v85, 0x3fb8aa3b, v5
	s_delay_alu instid0(VALU_DEP_4)
	v_mul_f32_e32 v95, 0x3fb8aa3b, v63
	v_cvt_i32_f32_e32 v72, v72
	v_add_f32_e32 v9, v74, v71
	v_fma_f32 v71, 0x3fb8aa3b, v4, -v75
	v_rndne_f32_e32 v74, v75
	v_fma_f32 v93, 0x3fb8aa3b, v5, -v85
	v_rndne_f32_e32 v94, v85
	v_exp_f32_e32 v9, v9
	v_fmac_f32_e32 v71, 0x32a5705f, v4
	v_sub_f32_e32 v75, v75, v74
	v_fmac_f32_e32 v93, 0x32a5705f, v5
	v_sub_f32_e32 v85, v85, v94
	v_cvt_i32_f32_e32 v74, v74
	v_cvt_i32_f32_e32 v94, v94
	v_add_f32_e32 v71, v75, v71
	v_pk_mul_f16 v60, v90, v60 op_sel_hi:[0,1]
	v_add_f32_e32 v75, v85, v93
	v_rndne_f32_e32 v93, v95
	v_ldexp_f32 v9, v9, v72
	v_exp_f32_e32 v71, v71
	v_fma_f32 v85, 0x3fb8aa3b, v63, -v95
	v_exp_f32_e32 v72, v75
	v_sub_f32_e32 v75, v95, v93
	v_pk_mul_f16 v62, v90, v62 op_sel_hi:[0,1]
	v_pk_mul_f16 v61, v90, v61 op_sel_hi:[0,1]
	v_fmac_f32_e32 v85, 0x32a5705f, v63
	s_delay_alu instid0(TRANS32_DEP_2)
	v_ldexp_f32 v71, v71, v74
	v_cvt_i32_f32_e32 v74, v93
	v_dual_cndmask_b32 v6, 0x7f800000, v6 :: v_dual_add_nc_u32 v93, v40, v41
	v_cmp_ngt_f32_e32 vcc_lo, 0xc2ce8ed0, v7
	v_add_f32_e32 v75, v75, v85
	v_cvt_f16_f32_e32 v70, v70
	v_cndmask_b32_e32 v9, 0, v9, vcc_lo
	v_cmp_nlt_f32_e32 vcc_lo, 0x42b17218, v7
	s_delay_alu instid0(VALU_DEP_2)
	v_cndmask_b32_e32 v7, 0x7f800000, v9, vcc_lo
	v_cmp_ngt_f32_e32 vcc_lo, 0xc2ce8ed0, v4
	v_ldexp_f32 v9, v72, v94
	v_exp_f32_e32 v72, v75
	v_pk_mul_f16 v94, v90, v57 op_sel_hi:[0,1]
	v_cndmask_b32_e32 v71, 0, v71, vcc_lo
	v_cmp_ngt_f32_e32 vcc_lo, 0xc2ce8ed0, v5
	v_cndmask_b32_e32 v9, 0, v9, vcc_lo
	v_cmp_nlt_f32_e32 vcc_lo, 0x42b17218, v4
	s_waitcnt_depctr 0xfff
	v_ldexp_f32 v4, v72, v74
	v_cndmask_b32_e32 v71, 0x7f800000, v71, vcc_lo
	v_cmp_nlt_f32_e32 vcc_lo, 0x42b17218, v5
	v_cndmask_b32_e32 v85, 0x7f800000, v9, vcc_lo
	v_cmp_ngt_f32_e32 vcc_lo, 0xc2ce8ed0, v63
	v_add_f32_e32 v75, v6, v7
	v_cvt_f16_f32_e32 v9, v71
	s_delay_alu instid0(VALU_DEP_4)
	v_cvt_f16_f32_e32 v72, v85
	v_cndmask_b32_e32 v74, 0, v4, vcc_lo
	v_pack_b32_f16 v4, v83, v8
	v_add_f32_e32 v83, v71, v75
	v_cvt_f16_f32_e32 v96, v6
	v_cvt_f16_f32_e32 v6, v7
	v_cmp_nlt_f32_e32 vcc_lo, 0x42b17218, v63
	v_add_nc_u32_e32 v63, 0x9000, v41
	v_pack_b32_f16 v9, v69, v9
	v_pack_b32_f16 v5, v87, v96
	;; [unrolled: 1-line block ×7, first 2 shown]
	v_cndmask_b32_e32 v87, 0x7f800000, v74, vcc_lo
	ds_store_2addr_b64 v93, v[4:5], v[6:7] offset1:32
	ds_store_2addr_b64 v93, v[8:9], v[10:11] offset0:64 offset1:96
	s_waitcnt vmcnt(3)
	ds_store_b128 v42, v[97:100]
	s_waitcnt vmcnt(2)
	ds_store_b128 v43, v[104:107]
	;; [unrolled: 2-line block ×4, first 2 shown]
	s_waitcnt lgkmcnt(0)
	s_barrier
	buffer_gl0_inv
	ds_load_2addr_b64 v[68:71], v63 offset1:32
	ds_load_b128 v[72:75], v40
	v_add_f32_e32 v83, v85, v83
	v_cvt_f16_f32_e32 v4, v87
	v_pk_mul_f16 v93, v90, v58 op_sel_hi:[0,1]
	v_pk_mul_f16 v85, v90, v56 op_sel_hi:[0,1]
	s_delay_alu instid0(VALU_DEP_4) | instskip(NEXT) | instid1(VALU_DEP_4)
	v_fmac_f32_e32 v83, v84, v87
	v_pk_mul_f16 v57, v4, v54 op_sel_hi:[0,1]
	v_pk_mul_f16 v58, v4, v55 op_sel_hi:[0,1]
	;; [unrolled: 1-line block ×7, first 2 shown]
	ds_load_2addr_b64 v[48:51], v63 offset0:64 offset1:96
	ds_load_b128 v[53:56], v40 offset:16
	v_pk_mul_f16 v52, v4, v52 op_sel_hi:[0,1]
	ds_load_b128 v[8:11], v40 offset:32
	ds_load_b128 v[4:7], v40 offset:48
	s_waitcnt lgkmcnt(4)
	v_pk_mul_f16 v100, v68, v73 op_sel_hi:[1,0]
	v_pk_mul_f16 v98, v68, v72 op_sel_hi:[1,0]
	v_pk_mul_f16 v99, v68, v72 op_sel:[0,1]
	v_pk_fma_f16 v68, v68, v73, v57 op_sel:[0,1,0]
	v_pk_fma_f16 v78, v69, v72, v78 op_sel_hi:[1,0,1]
	v_pk_fma_f16 v90, v90, v59, v100 op_sel_hi:[0,1,1]
	v_pk_fma_f16 v88, v69, v72, v88 op_sel:[0,1,0]
	v_pk_fma_f16 v86, v69, v73, v86 op_sel_hi:[1,0,1]
	v_pk_fma_f16 v69, v69, v73, v58 op_sel:[0,1,0]
	v_pk_fma_f16 v100, v70, v73, v60 op_sel_hi:[1,0,1]
	ds_load_2addr_b64 v[57:60], v63 offset0:128 offset1:160
	v_pk_fma_f16 v91, v91, v67, v98 op_sel_hi:[0,1,1]
	v_pk_fma_f16 v98, v119, v64, v99 op_sel_hi:[0,1,1]
	;; [unrolled: 1-line block ×3, first 2 shown]
	v_pk_fma_f16 v99, v70, v72, v120 op_sel:[0,1,0]
	v_pk_fma_f16 v70, v70, v73, v84 op_sel:[0,1,0]
	v_pk_fma_f16 v79, v71, v72, v79 op_sel_hi:[1,0,1]
	v_pk_fma_f16 v84, v71, v72, v89 op_sel:[0,1,0]
	v_pk_fma_f16 v62, v71, v73, v62 op_sel_hi:[1,0,1]
	v_pk_fma_f16 v71, v71, v73, v87 op_sel:[0,1,0]
	s_waitcnt lgkmcnt(4)
	v_pk_fma_f16 v87, v48, v72, v116 op_sel_hi:[1,0,1]
	v_pk_fma_f16 v89, v48, v72, v121 op_sel:[0,1,0]
	v_pk_fma_f16 v76, v49, v72, v76 op_sel_hi:[1,0,1]
	v_pk_fma_f16 v101, v49, v72, v122 op_sel:[0,1,0]
	;; [unrolled: 2-line block ×4, first 2 shown]
	ds_load_2addr_b64 v[64:67], v63 offset0:192 offset1:224
	v_pk_fma_f16 v102, v49, v73, v52 op_sel:[0,1,0]
	v_add_nc_u32_e32 v52, 0x9800, v41
	v_pk_fma_f16 v93, v48, v73, v93 op_sel_hi:[1,0,1]
	v_pk_fma_f16 v95, v48, v73, v95 op_sel:[0,1,0]
	v_pk_fma_f16 v61, v49, v73, v61 op_sel_hi:[1,0,1]
	v_pk_fma_f16 v85, v50, v73, v85 op_sel_hi:[1,0,1]
	v_pk_fma_f16 v96, v50, v73, v96 op_sel:[0,1,0]
	v_pk_fma_f16 v94, v51, v73, v94 op_sel_hi:[1,0,1]
	v_pk_fma_f16 v73, v51, v73, v97 op_sel:[0,1,0]
	s_waitcnt lgkmcnt(1)
	v_pk_fma_f16 v91, v57, v74, v91 op_sel_hi:[1,0,1]
	v_pk_fma_f16 v97, v57, v74, v98 op_sel:[0,1,0]
	v_pk_fma_f16 v90, v57, v75, v90 op_sel_hi:[1,0,1]
	v_pk_fma_f16 v68, v57, v75, v68 op_sel:[0,1,0]
	;; [unrolled: 2-line block ×7, first 2 shown]
	ds_load_2addr_b64 v[48:51], v52 offset1:32
	v_pk_fma_f16 v62, v60, v75, v62 op_sel_hi:[1,0,1]
	v_pk_fma_f16 v71, v60, v75, v71 op_sel:[0,1,0]
	ds_load_2addr_b64 v[57:60], v52 offset0:64 offset1:96
	s_waitcnt lgkmcnt(2)
	v_pk_fma_f16 v87, v64, v74, v87 op_sel_hi:[1,0,1]
	v_pk_fma_f16 v89, v64, v74, v89 op_sel:[0,1,0]
	v_pk_fma_f16 v93, v64, v75, v93 op_sel_hi:[1,0,1]
	v_pk_fma_f16 v95, v64, v75, v95 op_sel:[0,1,0]
	;; [unrolled: 2-line block ×8, first 2 shown]
	ds_load_2addr_b64 v[64:67], v52 offset0:128 offset1:160
	s_waitcnt lgkmcnt(2)
	v_pk_fma_f16 v75, v48, v53, v91 op_sel_hi:[1,0,1]
	v_pk_fma_f16 v91, v48, v53, v97 op_sel:[0,1,0]
	v_pk_fma_f16 v90, v48, v54, v90 op_sel_hi:[1,0,1]
	v_pk_fma_f16 v68, v48, v54, v68 op_sel:[0,1,0]
	;; [unrolled: 2-line block ×8, first 2 shown]
	s_waitcnt lgkmcnt(1)
	v_pk_fma_f16 v87, v57, v53, v87 op_sel_hi:[1,0,1]
	v_pk_fma_f16 v89, v57, v53, v89 op_sel:[0,1,0]
	v_pk_fma_f16 v76, v58, v53, v76 op_sel_hi:[1,0,1]
	v_pk_fma_f16 v98, v58, v53, v100 op_sel:[0,1,0]
	v_pk_fma_f16 v99, v58, v54, v101 op_sel:[0,1,0]
	v_pk_fma_f16 v100, v59, v53, v102 op_sel_hi:[1,0,1]
	v_pk_fma_f16 v101, v59, v53, v103 op_sel:[0,1,0]
	v_pk_fma_f16 v102, v60, v53, v104 op_sel_hi:[1,0,1]
	v_pk_fma_f16 v72, v60, v53, v72 op_sel:[0,1,0]
	ds_load_2addr_b64 v[48:51], v52 offset0:192 offset1:224
	v_add_nc_u32_e32 v53, 0xa000, v41
	v_pk_fma_f16 v93, v57, v54, v93 op_sel_hi:[1,0,1]
	v_pk_fma_f16 v95, v57, v54, v95 op_sel:[0,1,0]
	v_pk_fma_f16 v61, v58, v54, v61 op_sel_hi:[1,0,1]
	v_pk_fma_f16 v85, v59, v54, v85 op_sel_hi:[1,0,1]
	v_pk_fma_f16 v96, v59, v54, v96 op_sel:[0,1,0]
	v_pk_fma_f16 v74, v60, v54, v74 op_sel_hi:[1,0,1]
	v_pk_fma_f16 v54, v60, v54, v73 op_sel:[0,1,0]
	ds_load_2addr_b64 v[57:60], v53 offset1:32
	s_waitcnt lgkmcnt(2)
	v_pk_fma_f16 v73, v64, v55, v75 op_sel_hi:[1,0,1]
	v_pk_fma_f16 v75, v64, v55, v91 op_sel:[0,1,0]
	v_pk_fma_f16 v90, v64, v56, v90 op_sel_hi:[1,0,1]
	v_pk_fma_f16 v68, v64, v56, v68 op_sel:[0,1,0]
	;; [unrolled: 2-line block ×8, first 2 shown]
	ds_load_2addr_b64 v[64:67], v53 offset0:64 offset1:96
	s_waitcnt lgkmcnt(2)
	v_pk_fma_f16 v87, v48, v55, v87 op_sel_hi:[1,0,1]
	v_pk_fma_f16 v89, v48, v55, v89 op_sel:[0,1,0]
	v_pk_fma_f16 v93, v48, v56, v93 op_sel_hi:[1,0,1]
	v_pk_fma_f16 v95, v48, v56, v95 op_sel:[0,1,0]
	;; [unrolled: 2-line block ×8, first 2 shown]
	ds_load_2addr_b64 v[48:51], v53 offset0:128 offset1:160
	s_waitcnt lgkmcnt(2)
	v_pk_fma_f16 v73, v57, v8, v73 op_sel_hi:[1,0,1]
	v_pk_fma_f16 v75, v57, v8, v75 op_sel:[0,1,0]
	v_pk_fma_f16 v90, v57, v9, v90 op_sel_hi:[1,0,1]
	v_pk_fma_f16 v68, v57, v9, v68 op_sel:[0,1,0]
	;; [unrolled: 2-line block ×4, first 2 shown]
	ds_load_2addr_b64 v[55:58], v53 offset0:192 offset1:224
	v_pk_fma_f16 v77, v59, v8, v77 op_sel_hi:[1,0,1]
	v_pk_fma_f16 v91, v59, v8, v91 op_sel:[0,1,0]
	v_pk_fma_f16 v94, v59, v9, v94 op_sel_hi:[1,0,1]
	v_pk_fma_f16 v59, v59, v9, v70 op_sel:[0,1,0]
	;; [unrolled: 2-line block ×4, first 2 shown]
	s_waitcnt lgkmcnt(2)
	v_pk_fma_f16 v71, v64, v8, v87 op_sel_hi:[1,0,1]
	v_pk_fma_f16 v84, v64, v8, v89 op_sel:[0,1,0]
	v_pk_fma_f16 v76, v65, v8, v76 op_sel_hi:[1,0,1]
	v_pk_fma_f16 v177, v65, v8, v97 op_sel:[0,1,0]
	;; [unrolled: 2-line block ×4, first 2 shown]
	v_add_co_u32 v8, vcc_lo, s4, v27
	v_pk_fma_f16 v87, v64, v9, v93 op_sel_hi:[1,0,1]
	v_pk_fma_f16 v64, v64, v9, v95 op_sel:[0,1,0]
	v_pk_fma_f16 v178, v65, v9, v61 op_sel_hi:[1,0,1]
	v_pk_fma_f16 v179, v65, v9, v98 op_sel:[0,1,0]
	;; [unrolled: 2-line block ×4, first 2 shown]
	v_add_nc_u32_e32 v54, 0xa800, v41
	v_add_co_ci_u32_e32 v9, vcc_lo, s19, v28, vcc_lo
	v_add_co_u32 v161, vcc_lo, s4, v29
	v_add_co_ci_u32_e32 v162, vcc_lo, s19, v30, vcc_lo
	v_add_co_u32 v8, vcc_lo, v8, v92
	s_delay_alu instid0(VALU_DEP_4)
	v_add_co_ci_u32_e32 v9, vcc_lo, 0, v9, vcc_lo
	s_waitcnt lgkmcnt(1)
	v_pk_fma_f16 v188, v48, v10, v73 op_sel_hi:[1,0,1]
	v_pk_fma_f16 v189, v48, v10, v75 op_sel:[0,1,0]
	v_pk_fma_f16 v190, v48, v11, v90 op_sel_hi:[1,0,1]
	v_pk_fma_f16 v191, v48, v11, v68 op_sel:[0,1,0]
	;; [unrolled: 2-line block ×6, first 2 shown]
	v_add_nc_u32_e32 v51, 0xb000, v41
	v_add_nc_u32_e32 v49, 0xc000, v41
	;; [unrolled: 1-line block ×3, first 2 shown]
	v_add_co_u32 v173, vcc_lo, v161, v92
	v_pk_fma_f16 v196, v50, v10, v77 op_sel_hi:[1,0,1]
	v_pk_fma_f16 v197, v50, v10, v91 op_sel:[0,1,0]
	v_pk_fma_f16 v198, v50, v11, v94 op_sel_hi:[1,0,1]
	v_pk_fma_f16 v199, v50, v11, v59 op_sel:[0,1,0]
	v_add_nc_u32_e32 v50, 0xb800, v41
	v_add_co_ci_u32_e32 v174, vcc_lo, 0, v162, vcc_lo
	s_waitcnt lgkmcnt(0)
	v_pk_fma_f16 v204, v55, v10, v71 op_sel_hi:[1,0,1]
	v_pk_fma_f16 v205, v55, v10, v84 op_sel:[0,1,0]
	v_pk_fma_f16 v206, v55, v11, v87 op_sel_hi:[1,0,1]
	v_pk_fma_f16 v55, v55, v11, v64 op_sel:[0,1,0]
	v_pk_fma_f16 v207, v56, v10, v76 op_sel_hi:[1,0,1]
	ds_load_2addr_b64 v[59:62], v54 offset1:32
	ds_load_2addr_b64 v[64:67], v54 offset0:64 offset1:96
	ds_load_2addr_b64 v[68:71], v54 offset0:128 offset1:160
	;; [unrolled: 1-line block ×3, first 2 shown]
	ds_load_2addr_b64 v[76:79], v51 offset1:32
	ds_load_2addr_b64 v[84:87], v51 offset0:64 offset1:96
	ds_load_2addr_b64 v[88:91], v51 offset0:128 offset1:160
	;; [unrolled: 1-line block ×3, first 2 shown]
	ds_load_2addr_b64 v[97:100], v50 offset1:32
	ds_load_2addr_b64 v[101:104], v50 offset0:64 offset1:96
	ds_load_b128 v[105:108], v40 offset:64
	ds_load_b128 v[109:112], v40 offset:80
	ds_load_2addr_b64 v[113:116], v50 offset0:128 offset1:160
	ds_load_2addr_b64 v[117:120], v50 offset0:192 offset1:224
	ds_load_2addr_b64 v[121:124], v49 offset1:32
	ds_load_2addr_b64 v[125:128], v49 offset0:64 offset1:96
	ds_load_2addr_b64 v[129:132], v49 offset0:128 offset1:160
	;; [unrolled: 1-line block ×3, first 2 shown]
	ds_load_2addr_b64 v[137:140], v48 offset1:32
	ds_load_2addr_b64 v[141:144], v48 offset0:64 offset1:96
	ds_load_b128 v[145:148], v40 offset:96
	ds_load_b128 v[149:152], v40 offset:112
	ds_load_2addr_b64 v[153:156], v48 offset0:128 offset1:160
	ds_load_2addr_b64 v[157:160], v48 offset0:192 offset1:224
	s_waitcnt lgkmcnt(0)
	s_barrier
	buffer_gl0_inv
	s_clause 0x3
	global_load_b128 v[161:164], v[8:9], off
	global_load_b128 v[165:168], v[8:9], off offset:512
	global_load_b128 v[169:172], v[173:174], off
	global_load_b128 v[173:176], v[173:174], off offset:512
	v_pk_fma_f16 v8, v56, v10, v177 op_sel:[0,1,0]
	v_pk_fma_f16 v9, v56, v11, v178 op_sel_hi:[1,0,1]
	v_pk_fma_f16 v56, v56, v11, v179 op_sel:[0,1,0]
	v_pk_fma_f16 v177, v57, v10, v180 op_sel_hi:[1,0,1]
	;; [unrolled: 2-line block ×24, first 2 shown]
	v_pk_fma_f16 v60, v69, v7, v60 op_sel:[0,1,0]
	v_pk_fma_f16 v61, v70, v7, v61 op_sel:[0,1,0]
	;; [unrolled: 1-line block ×4, first 2 shown]
	v_pk_fma_f16 v180, v69, v7, v186 op_sel_hi:[1,0,1]
	v_pk_fma_f16 v69, v70, v6, v187 op_sel_hi:[1,0,1]
	v_pk_fma_f16 v181, v70, v6, v188 op_sel:[0,1,0]
	v_pk_fma_f16 v182, v70, v7, v189 op_sel_hi:[1,0,1]
	v_pk_fma_f16 v70, v71, v6, v190 op_sel_hi:[1,0,1]
	v_pk_fma_f16 v183, v71, v6, v191 op_sel:[0,1,0]
	;; [unrolled: 3-line block ×3, first 2 shown]
	v_pk_fma_f16 v186, v72, v7, v195 op_sel_hi:[1,0,1]
	v_pk_fma_f16 v55, v72, v7, v55 op_sel:[0,1,0]
	v_pk_fma_f16 v64, v73, v6, v64 op_sel_hi:[1,0,1]
	v_pk_fma_f16 v8, v73, v6, v8 op_sel:[0,1,0]
	v_pk_fma_f16 v56, v73, v7, v56 op_sel:[0,1,0]
	v_pk_fma_f16 v65, v74, v6, v65 op_sel_hi:[1,0,1]
	v_pk_fma_f16 v72, v74, v6, v177 op_sel:[0,1,0]
	;; [unrolled: 3-line block ×3, first 2 shown]
	v_pk_fma_f16 v6, v75, v7, v10 op_sel_hi:[1,0,1]
	v_pk_fma_f16 v10, v76, v105, v58 op_sel:[0,1,0]
	v_pk_fma_f16 v58, v76, v106, v59 op_sel:[0,1,0]
	v_pk_fma_f16 v59, v77, v105, v68 op_sel_hi:[1,0,1]
	v_pk_fma_f16 v60, v77, v106, v60 op_sel:[0,1,0]
	v_pk_fma_f16 v61, v78, v106, v61 op_sel:[0,1,0]
	;; [unrolled: 1-line block ×7, first 2 shown]
	v_pk_fma_f16 v59, v89, v107, v59 op_sel_hi:[1,0,1]
	v_pk_fma_f16 v60, v89, v108, v60 op_sel:[0,1,0]
	v_pk_fma_f16 v61, v90, v108, v61 op_sel:[0,1,0]
	v_pk_fma_f16 v62, v91, v108, v62 op_sel:[0,1,0]
	v_pk_fma_f16 v55, v93, v108, v55 op_sel:[0,1,0]
	v_pk_fma_f16 v56, v94, v108, v56 op_sel:[0,1,0]
	v_pk_fma_f16 v57, v95, v108, v57 op_sel:[0,1,0]
	v_pk_fma_f16 v58, v97, v110, v58 op_sel:[0,1,0]
	v_pk_fma_f16 v59, v98, v109, v59 op_sel_hi:[1,0,1]
	v_pk_fma_f16 v60, v98, v110, v60 op_sel:[0,1,0]
	v_pk_fma_f16 v61, v99, v110, v61 op_sel:[0,1,0]
	;; [unrolled: 1-line block ×3, first 2 shown]
	v_pk_fma_f16 v9, v73, v7, v9 op_sel_hi:[1,0,1]
	v_pk_fma_f16 v5, v75, v7, v5 op_sel:[0,1,0]
	v_pk_fma_f16 v73, v74, v7, v178 op_sel_hi:[1,0,1]
	v_pk_fma_f16 v7, v76, v105, v11 op_sel_hi:[1,0,1]
	;; [unrolled: 1-line block ×3, first 2 shown]
	v_pk_fma_f16 v67, v77, v105, v179 op_sel:[0,1,0]
	v_pk_fma_f16 v68, v77, v106, v180 op_sel_hi:[1,0,1]
	v_pk_fma_f16 v69, v78, v105, v69 op_sel_hi:[1,0,1]
	v_pk_fma_f16 v74, v78, v105, v181 op_sel:[0,1,0]
	v_pk_fma_f16 v75, v78, v106, v182 op_sel_hi:[1,0,1]
	v_pk_fma_f16 v70, v79, v105, v70 op_sel_hi:[1,0,1]
	v_pk_fma_f16 v76, v79, v105, v183 op_sel:[0,1,0]
	v_pk_fma_f16 v77, v79, v106, v184 op_sel_hi:[1,0,1]
	v_pk_fma_f16 v55, v101, v110, v55 op_sel:[0,1,0]
	v_pk_fma_f16 v56, v102, v110, v56 op_sel:[0,1,0]
	;; [unrolled: 1-line block ×4, first 2 shown]
	v_pk_fma_f16 v59, v114, v111, v59 op_sel_hi:[1,0,1]
	v_pk_fma_f16 v60, v114, v112, v60 op_sel:[0,1,0]
	v_pk_fma_f16 v61, v115, v112, v61 op_sel:[0,1,0]
	;; [unrolled: 1-line block ×3, first 2 shown]
	v_pk_fma_f16 v71, v84, v105, v71 op_sel_hi:[1,0,1]
	v_pk_fma_f16 v64, v85, v105, v64 op_sel_hi:[1,0,1]
	v_pk_fma_f16 v8, v85, v105, v8 op_sel:[0,1,0]
	v_pk_fma_f16 v9, v85, v106, v9 op_sel_hi:[1,0,1]
	v_pk_fma_f16 v65, v86, v105, v65 op_sel_hi:[1,0,1]
	;; [unrolled: 1-line block ×3, first 2 shown]
	v_pk_fma_f16 v4, v87, v105, v4 op_sel:[0,1,0]
	v_pk_fma_f16 v6, v87, v106, v6 op_sel_hi:[1,0,1]
	v_pk_fma_f16 v5, v87, v106, v5 op_sel:[0,1,0]
	v_pk_fma_f16 v72, v86, v105, v72 op_sel:[0,1,0]
	v_pk_fma_f16 v73, v86, v106, v73 op_sel_hi:[1,0,1]
	v_pk_fma_f16 v7, v88, v107, v7 op_sel_hi:[1,0,1]
	v_pk_fma_f16 v10, v88, v107, v10 op_sel:[0,1,0]
	v_pk_fma_f16 v11, v88, v108, v11 op_sel_hi:[1,0,1]
	v_pk_fma_f16 v67, v89, v107, v67 op_sel:[0,1,0]
	v_pk_fma_f16 v68, v89, v108, v68 op_sel_hi:[1,0,1]
	v_pk_fma_f16 v69, v90, v107, v69 op_sel_hi:[1,0,1]
	v_pk_fma_f16 v74, v90, v107, v74 op_sel:[0,1,0]
	v_pk_fma_f16 v75, v90, v108, v75 op_sel_hi:[1,0,1]
	;; [unrolled: 3-line block ×3, first 2 shown]
	v_pk_fma_f16 v55, v117, v112, v55 op_sel:[0,1,0]
	v_pk_fma_f16 v56, v118, v112, v56 op_sel:[0,1,0]
	;; [unrolled: 1-line block ×4, first 2 shown]
	v_pk_fma_f16 v59, v122, v145, v59 op_sel_hi:[1,0,1]
	v_pk_fma_f16 v60, v122, v146, v60 op_sel:[0,1,0]
	v_pk_fma_f16 v61, v123, v146, v61 op_sel:[0,1,0]
	;; [unrolled: 1-line block ×3, first 2 shown]
	v_pk_fma_f16 v71, v93, v107, v71 op_sel_hi:[1,0,1]
	v_pk_fma_f16 v64, v94, v107, v64 op_sel_hi:[1,0,1]
	v_pk_fma_f16 v8, v94, v107, v8 op_sel:[0,1,0]
	v_pk_fma_f16 v9, v94, v108, v9 op_sel_hi:[1,0,1]
	v_pk_fma_f16 v65, v95, v107, v65 op_sel_hi:[1,0,1]
	v_pk_fma_f16 v66, v96, v107, v66 op_sel_hi:[1,0,1]
	v_pk_fma_f16 v4, v96, v107, v4 op_sel:[0,1,0]
	v_pk_fma_f16 v6, v96, v108, v6 op_sel_hi:[1,0,1]
	v_pk_fma_f16 v5, v96, v108, v5 op_sel:[0,1,0]
	v_pk_fma_f16 v72, v95, v107, v72 op_sel:[0,1,0]
	v_pk_fma_f16 v73, v95, v108, v73 op_sel_hi:[1,0,1]
	v_pk_fma_f16 v7, v97, v109, v7 op_sel_hi:[1,0,1]
	v_pk_fma_f16 v10, v97, v109, v10 op_sel:[0,1,0]
	v_pk_fma_f16 v11, v97, v110, v11 op_sel_hi:[1,0,1]
	v_pk_fma_f16 v67, v98, v109, v67 op_sel:[0,1,0]
	v_pk_fma_f16 v68, v98, v110, v68 op_sel_hi:[1,0,1]
	v_pk_fma_f16 v69, v99, v109, v69 op_sel_hi:[1,0,1]
	v_pk_fma_f16 v74, v99, v109, v74 op_sel:[0,1,0]
	v_pk_fma_f16 v75, v99, v110, v75 op_sel_hi:[1,0,1]
	;; [unrolled: 3-line block ×3, first 2 shown]
	v_pk_fma_f16 v55, v125, v146, v55 op_sel:[0,1,0]
	v_pk_fma_f16 v56, v126, v146, v56 op_sel:[0,1,0]
	;; [unrolled: 1-line block ×4, first 2 shown]
	v_pk_fma_f16 v59, v130, v147, v59 op_sel_hi:[1,0,1]
	v_pk_fma_f16 v60, v130, v148, v60 op_sel:[0,1,0]
	v_pk_fma_f16 v61, v131, v148, v61 op_sel:[0,1,0]
	;; [unrolled: 1-line block ×3, first 2 shown]
	v_pk_fma_f16 v71, v101, v109, v71 op_sel_hi:[1,0,1]
	v_pk_fma_f16 v64, v102, v109, v64 op_sel_hi:[1,0,1]
	v_pk_fma_f16 v8, v102, v109, v8 op_sel:[0,1,0]
	v_pk_fma_f16 v9, v102, v110, v9 op_sel_hi:[1,0,1]
	v_pk_fma_f16 v65, v103, v109, v65 op_sel_hi:[1,0,1]
	;; [unrolled: 1-line block ×3, first 2 shown]
	v_pk_fma_f16 v4, v104, v109, v4 op_sel:[0,1,0]
	v_pk_fma_f16 v6, v104, v110, v6 op_sel_hi:[1,0,1]
	v_pk_fma_f16 v5, v104, v110, v5 op_sel:[0,1,0]
	v_pk_fma_f16 v78, v84, v105, v185 op_sel:[0,1,0]
	v_pk_fma_f16 v79, v84, v106, v186 op_sel_hi:[1,0,1]
	v_pk_fma_f16 v72, v103, v109, v72 op_sel:[0,1,0]
	v_pk_fma_f16 v73, v103, v110, v73 op_sel_hi:[1,0,1]
	v_pk_fma_f16 v7, v113, v111, v7 op_sel_hi:[1,0,1]
	v_pk_fma_f16 v10, v113, v111, v10 op_sel:[0,1,0]
	v_pk_fma_f16 v11, v113, v112, v11 op_sel_hi:[1,0,1]
	v_pk_fma_f16 v67, v114, v111, v67 op_sel:[0,1,0]
	v_pk_fma_f16 v68, v114, v112, v68 op_sel_hi:[1,0,1]
	v_pk_fma_f16 v69, v115, v111, v69 op_sel_hi:[1,0,1]
	v_pk_fma_f16 v74, v115, v111, v74 op_sel:[0,1,0]
	v_pk_fma_f16 v75, v115, v112, v75 op_sel_hi:[1,0,1]
	;; [unrolled: 3-line block ×3, first 2 shown]
	v_pk_fma_f16 v55, v133, v148, v55 op_sel:[0,1,0]
	v_pk_fma_f16 v56, v134, v148, v56 op_sel:[0,1,0]
	;; [unrolled: 1-line block ×4, first 2 shown]
	v_pk_fma_f16 v59, v138, v149, v59 op_sel_hi:[1,0,1]
	v_pk_fma_f16 v60, v138, v150, v60 op_sel:[0,1,0]
	v_pk_fma_f16 v61, v139, v150, v61 op_sel:[0,1,0]
	;; [unrolled: 1-line block ×3, first 2 shown]
	v_pk_fma_f16 v71, v117, v111, v71 op_sel_hi:[1,0,1]
	v_pk_fma_f16 v64, v118, v111, v64 op_sel_hi:[1,0,1]
	v_pk_fma_f16 v8, v118, v111, v8 op_sel:[0,1,0]
	v_pk_fma_f16 v9, v118, v112, v9 op_sel_hi:[1,0,1]
	v_pk_fma_f16 v65, v119, v111, v65 op_sel_hi:[1,0,1]
	;; [unrolled: 1-line block ×3, first 2 shown]
	v_pk_fma_f16 v4, v120, v111, v4 op_sel:[0,1,0]
	v_pk_fma_f16 v6, v120, v112, v6 op_sel_hi:[1,0,1]
	v_pk_fma_f16 v5, v120, v112, v5 op_sel:[0,1,0]
	v_pk_fma_f16 v78, v93, v107, v78 op_sel:[0,1,0]
	v_pk_fma_f16 v79, v93, v108, v79 op_sel_hi:[1,0,1]
	v_pk_fma_f16 v72, v119, v111, v72 op_sel:[0,1,0]
	v_pk_fma_f16 v73, v119, v112, v73 op_sel_hi:[1,0,1]
	v_pk_fma_f16 v7, v121, v145, v7 op_sel_hi:[1,0,1]
	v_pk_fma_f16 v10, v121, v145, v10 op_sel:[0,1,0]
	v_pk_fma_f16 v11, v121, v146, v11 op_sel_hi:[1,0,1]
	v_pk_fma_f16 v67, v122, v145, v67 op_sel:[0,1,0]
	v_pk_fma_f16 v68, v122, v146, v68 op_sel_hi:[1,0,1]
	v_pk_fma_f16 v69, v123, v145, v69 op_sel_hi:[1,0,1]
	v_pk_fma_f16 v74, v123, v145, v74 op_sel:[0,1,0]
	v_pk_fma_f16 v75, v123, v146, v75 op_sel_hi:[1,0,1]
	v_pk_fma_f16 v70, v124, v145, v70 op_sel_hi:[1,0,1]
	v_pk_fma_f16 v76, v124, v145, v76 op_sel:[0,1,0]
	v_pk_fma_f16 v77, v124, v146, v77 op_sel_hi:[1,0,1]
	v_pk_fma_f16 v84, v141, v150, v55 op_sel:[0,1,0]
	v_pk_fma_f16 v85, v142, v150, v56 op_sel:[0,1,0]
	;; [unrolled: 1-line block ×4, first 2 shown]
	v_pk_fma_f16 v91, v154, v151, v59 op_sel_hi:[1,0,1]
	v_pk_fma_f16 v95, v154, v152, v60 op_sel:[0,1,0]
	v_pk_fma_f16 v97, v155, v152, v61 op_sel:[0,1,0]
	v_pk_fma_f16 v99, v156, v152, v62 op_sel:[0,1,0]
	s_waitcnt vmcnt(3)
	ds_store_b128 v42, v[161:164]
	s_waitcnt vmcnt(2)
	ds_store_b128 v43, v[165:168]
	;; [unrolled: 2-line block ×4, first 2 shown]
	s_waitcnt lgkmcnt(0)
	s_barrier
	buffer_gl0_inv
	ds_load_2addr_b64 v[55:58], v63 offset1:32
	ds_load_b128 v[59:62], v40 offset:128
	v_pk_fma_f16 v71, v125, v145, v71 op_sel_hi:[1,0,1]
	v_pk_fma_f16 v64, v126, v145, v64 op_sel_hi:[1,0,1]
	v_pk_fma_f16 v8, v126, v145, v8 op_sel:[0,1,0]
	v_pk_fma_f16 v9, v126, v146, v9 op_sel_hi:[1,0,1]
	v_pk_fma_f16 v65, v127, v145, v65 op_sel_hi:[1,0,1]
	v_pk_fma_f16 v66, v128, v145, v66 op_sel_hi:[1,0,1]
	v_pk_fma_f16 v4, v128, v145, v4 op_sel:[0,1,0]
	v_pk_fma_f16 v6, v128, v146, v6 op_sel_hi:[1,0,1]
	v_pk_fma_f16 v5, v128, v146, v5 op_sel:[0,1,0]
	v_pk_fma_f16 v78, v101, v109, v78 op_sel:[0,1,0]
	v_pk_fma_f16 v79, v101, v110, v79 op_sel_hi:[1,0,1]
	v_pk_fma_f16 v72, v127, v145, v72 op_sel:[0,1,0]
	v_pk_fma_f16 v73, v127, v146, v73 op_sel_hi:[1,0,1]
	v_pk_fma_f16 v7, v129, v147, v7 op_sel_hi:[1,0,1]
	v_pk_fma_f16 v10, v129, v147, v10 op_sel:[0,1,0]
	v_pk_fma_f16 v11, v129, v148, v11 op_sel_hi:[1,0,1]
	v_pk_fma_f16 v67, v130, v147, v67 op_sel:[0,1,0]
	v_pk_fma_f16 v68, v130, v148, v68 op_sel_hi:[1,0,1]
	v_pk_fma_f16 v69, v131, v147, v69 op_sel_hi:[1,0,1]
	v_pk_fma_f16 v74, v131, v147, v74 op_sel:[0,1,0]
	v_pk_fma_f16 v75, v131, v148, v75 op_sel_hi:[1,0,1]
	v_pk_fma_f16 v70, v132, v147, v70 op_sel_hi:[1,0,1]
	v_pk_fma_f16 v76, v132, v147, v76 op_sel:[0,1,0]
	v_pk_fma_f16 v77, v132, v148, v77 op_sel_hi:[1,0,1]
	v_pk_fma_f16 v71, v133, v147, v71 op_sel_hi:[1,0,1]
	v_pk_fma_f16 v64, v134, v147, v64 op_sel_hi:[1,0,1]
	v_pk_fma_f16 v8, v134, v147, v8 op_sel:[0,1,0]
	v_pk_fma_f16 v9, v134, v148, v9 op_sel_hi:[1,0,1]
	v_pk_fma_f16 v65, v135, v147, v65 op_sel_hi:[1,0,1]
	v_pk_fma_f16 v66, v136, v147, v66 op_sel_hi:[1,0,1]
	v_pk_fma_f16 v4, v136, v147, v4 op_sel:[0,1,0]
	v_pk_fma_f16 v6, v136, v148, v6 op_sel_hi:[1,0,1]
	v_pk_fma_f16 v5, v136, v148, v5 op_sel:[0,1,0]
	v_pk_fma_f16 v78, v117, v111, v78 op_sel:[0,1,0]
	v_pk_fma_f16 v79, v117, v112, v79 op_sel_hi:[1,0,1]
	v_pk_fma_f16 v72, v135, v147, v72 op_sel:[0,1,0]
	v_pk_fma_f16 v73, v135, v148, v73 op_sel_hi:[1,0,1]
	v_pk_fma_f16 v7, v137, v149, v7 op_sel_hi:[1,0,1]
	v_pk_fma_f16 v10, v137, v149, v10 op_sel:[0,1,0]
	v_pk_fma_f16 v11, v137, v150, v11 op_sel_hi:[1,0,1]
	v_pk_fma_f16 v67, v138, v149, v67 op_sel:[0,1,0]
	v_pk_fma_f16 v68, v138, v150, v68 op_sel_hi:[1,0,1]
	v_pk_fma_f16 v69, v139, v149, v69 op_sel_hi:[1,0,1]
	v_pk_fma_f16 v74, v139, v149, v74 op_sel:[0,1,0]
	v_pk_fma_f16 v75, v139, v150, v75 op_sel_hi:[1,0,1]
	v_pk_fma_f16 v70, v140, v149, v70 op_sel_hi:[1,0,1]
	v_pk_fma_f16 v76, v140, v149, v76 op_sel:[0,1,0]
	v_pk_fma_f16 v77, v140, v150, v77 op_sel_hi:[1,0,1]
	;; [unrolled: 24-line block ×3, first 2 shown]
	v_pk_fma_f16 v100, v157, v151, v71 op_sel_hi:[1,0,1]
	v_pk_fma_f16 v101, v158, v151, v64 op_sel_hi:[1,0,1]
	v_pk_fma_f16 v102, v158, v151, v8 op_sel:[0,1,0]
	v_pk_fma_f16 v103, v158, v152, v9 op_sel_hi:[1,0,1]
	v_pk_fma_f16 v104, v159, v151, v65 op_sel_hi:[1,0,1]
	v_pk_fma_f16 v107, v160, v151, v66 op_sel_hi:[1,0,1]
	v_pk_fma_f16 v108, v160, v151, v4 op_sel:[0,1,0]
	v_pk_fma_f16 v109, v160, v152, v6 op_sel_hi:[1,0,1]
	v_pk_fma_f16 v110, v160, v152, v5 op_sel:[0,1,0]
	ds_load_2addr_b64 v[64:67], v63 offset0:64 offset1:96
	ds_load_b128 v[68:71], v40 offset:144
	ds_load_b128 v[8:11], v40 offset:160
	;; [unrolled: 1-line block ×3, first 2 shown]
	v_pk_fma_f16 v78, v133, v147, v78 op_sel:[0,1,0]
	v_pk_fma_f16 v79, v133, v148, v79 op_sel_hi:[1,0,1]
	v_pk_fma_f16 v105, v159, v151, v72 op_sel:[0,1,0]
	v_pk_fma_f16 v106, v159, v152, v73 op_sel_hi:[1,0,1]
	s_waitcnt lgkmcnt(4)
	v_pk_fma_f16 v87, v55, v59, v87 op_sel_hi:[1,0,1]
	v_pk_fma_f16 v88, v55, v59, v88 op_sel:[0,1,0]
	v_pk_fma_f16 v89, v55, v60, v89 op_sel_hi:[1,0,1]
	v_pk_fma_f16 v90, v55, v60, v90 op_sel:[0,1,0]
	;; [unrolled: 2-line block ×7, first 2 shown]
	ds_load_2addr_b64 v[72:75], v63 offset0:128 offset1:160
	v_pk_fma_f16 v77, v58, v60, v77 op_sel_hi:[1,0,1]
	v_pk_fma_f16 v99, v58, v60, v99 op_sel:[0,1,0]
	ds_load_2addr_b64 v[55:58], v63 offset0:192 offset1:224
	v_pk_fma_f16 v78, v141, v149, v78 op_sel:[0,1,0]
	v_pk_fma_f16 v79, v141, v150, v79 op_sel_hi:[1,0,1]
	v_pk_fma_f16 v84, v157, v152, v84 op_sel:[0,1,0]
	v_pk_fma_f16 v85, v158, v152, v85 op_sel:[0,1,0]
	;; [unrolled: 1-line block ×4, first 2 shown]
	v_pk_fma_f16 v79, v157, v152, v79 op_sel_hi:[1,0,1]
	s_waitcnt lgkmcnt(5)
	v_pk_fma_f16 v100, v64, v59, v100 op_sel_hi:[1,0,1]
	v_pk_fma_f16 v84, v64, v60, v84 op_sel:[0,1,0]
	v_pk_fma_f16 v101, v65, v59, v101 op_sel_hi:[1,0,1]
	v_pk_fma_f16 v78, v64, v59, v78 op_sel:[0,1,0]
	v_pk_fma_f16 v79, v64, v60, v79 op_sel_hi:[1,0,1]
	v_pk_fma_f16 v102, v65, v59, v102 op_sel:[0,1,0]
	v_pk_fma_f16 v103, v65, v60, v103 op_sel_hi:[1,0,1]
	v_pk_fma_f16 v85, v65, v60, v85 op_sel:[0,1,0]
	v_pk_fma_f16 v104, v66, v59, v104 op_sel_hi:[1,0,1]
	v_pk_fma_f16 v105, v66, v59, v105 op_sel:[0,1,0]
	v_pk_fma_f16 v106, v66, v60, v106 op_sel_hi:[1,0,1]
	v_pk_fma_f16 v86, v66, v60, v86 op_sel:[0,1,0]
	v_pk_fma_f16 v107, v67, v59, v107 op_sel_hi:[1,0,1]
	v_pk_fma_f16 v59, v67, v59, v108 op_sel:[0,1,0]
	v_pk_fma_f16 v108, v67, v60, v109 op_sel_hi:[1,0,1]
	v_pk_fma_f16 v60, v67, v60, v110 op_sel:[0,1,0]
	ds_load_2addr_b64 v[64:67], v52 offset1:32
	s_waitcnt lgkmcnt(2)
	v_pk_fma_f16 v87, v72, v61, v87 op_sel_hi:[1,0,1]
	v_pk_fma_f16 v88, v72, v61, v88 op_sel:[0,1,0]
	v_pk_fma_f16 v89, v72, v62, v89 op_sel_hi:[1,0,1]
	v_pk_fma_f16 v90, v72, v62, v90 op_sel:[0,1,0]
	;; [unrolled: 2-line block ×8, first 2 shown]
	s_waitcnt lgkmcnt(1)
	v_pk_fma_f16 v100, v55, v61, v100 op_sel_hi:[1,0,1]
	v_pk_fma_f16 v78, v55, v61, v78 op_sel:[0,1,0]
	v_pk_fma_f16 v79, v55, v62, v79 op_sel_hi:[1,0,1]
	v_pk_fma_f16 v84, v55, v62, v84 op_sel:[0,1,0]
	;; [unrolled: 2-line block ×7, first 2 shown]
	ds_load_2addr_b64 v[72:75], v52 offset0:64 offset1:96
	v_pk_fma_f16 v108, v58, v62, v108 op_sel_hi:[1,0,1]
	v_pk_fma_f16 v111, v58, v62, v60 op_sel:[0,1,0]
	ds_load_2addr_b64 v[55:58], v52 offset0:128 offset1:160
	s_waitcnt lgkmcnt(2)
	v_pk_fma_f16 v87, v64, v68, v87 op_sel_hi:[1,0,1]
	v_pk_fma_f16 v88, v64, v68, v88 op_sel:[0,1,0]
	v_pk_fma_f16 v89, v64, v69, v89 op_sel_hi:[1,0,1]
	v_pk_fma_f16 v64, v64, v69, v90 op_sel:[0,1,0]
	;; [unrolled: 2-line block ×8, first 2 shown]
	s_waitcnt lgkmcnt(1)
	v_pk_fma_f16 v99, v72, v68, v100 op_sel_hi:[1,0,1]
	v_pk_fma_f16 v78, v72, v68, v78 op_sel:[0,1,0]
	v_pk_fma_f16 v79, v72, v69, v79 op_sel_hi:[1,0,1]
	v_pk_fma_f16 v72, v72, v69, v84 op_sel:[0,1,0]
	;; [unrolled: 2-line block ×7, first 2 shown]
	ds_load_2addr_b64 v[59:62], v52 offset0:192 offset1:224
	v_pk_fma_f16 v104, v75, v69, v108 op_sel_hi:[1,0,1]
	v_pk_fma_f16 v69, v75, v69, v111 op_sel:[0,1,0]
	s_waitcnt lgkmcnt(1)
	v_pk_fma_f16 v75, v55, v70, v87 op_sel_hi:[1,0,1]
	v_pk_fma_f16 v87, v55, v70, v88 op_sel:[0,1,0]
	v_pk_fma_f16 v88, v55, v71, v89 op_sel_hi:[1,0,1]
	v_pk_fma_f16 v89, v55, v71, v64 op_sel:[0,1,0]
	v_pk_fma_f16 v105, v56, v71, v65 op_sel:[0,1,0]
	;; [unrolled: 1-line block ×3, first 2 shown]
	ds_load_2addr_b64 v[64:67], v53 offset1:32
	v_pk_fma_f16 v90, v56, v70, v90 op_sel_hi:[1,0,1]
	v_pk_fma_f16 v91, v56, v70, v91 op_sel:[0,1,0]
	v_pk_fma_f16 v93, v56, v71, v93 op_sel_hi:[1,0,1]
	v_pk_fma_f16 v94, v57, v70, v94 op_sel_hi:[1,0,1]
	v_pk_fma_f16 v95, v57, v70, v95 op_sel:[0,1,0]
	v_pk_fma_f16 v96, v57, v71, v96 op_sel_hi:[1,0,1]
	;; [unrolled: 3-line block ×3, first 2 shown]
	v_pk_fma_f16 v98, v58, v71, v98 op_sel:[0,1,0]
	ds_load_2addr_b64 v[55:58], v53 offset0:64 offset1:96
	s_or_b32 s4, s13, 32
	s_waitcnt lgkmcnt(2)
	v_pk_fma_f16 v99, v59, v70, v99 op_sel_hi:[1,0,1]
	v_pk_fma_f16 v78, v59, v70, v78 op_sel:[0,1,0]
	v_pk_fma_f16 v79, v59, v71, v79 op_sel_hi:[1,0,1]
	v_pk_fma_f16 v72, v59, v71, v72 op_sel:[0,1,0]
	v_pk_fma_f16 v84, v60, v70, v84 op_sel_hi:[1,0,1]
	v_pk_fma_f16 v100, v60, v70, v100 op_sel:[0,1,0]
	v_pk_fma_f16 v101, v60, v71, v101 op_sel_hi:[1,0,1]
	v_pk_fma_f16 v73, v60, v71, v73 op_sel:[0,1,0]
	v_pk_fma_f16 v85, v61, v70, v85 op_sel_hi:[1,0,1]
	v_pk_fma_f16 v102, v61, v70, v102 op_sel:[0,1,0]
	v_pk_fma_f16 v103, v61, v71, v103 op_sel_hi:[1,0,1]
	v_pk_fma_f16 v74, v61, v71, v74 op_sel:[0,1,0]
	v_pk_fma_f16 v86, v62, v70, v86 op_sel_hi:[1,0,1]
	v_pk_fma_f16 v68, v62, v70, v68 op_sel:[0,1,0]
	v_pk_fma_f16 v70, v62, v71, v104 op_sel_hi:[1,0,1]
	v_pk_fma_f16 v69, v62, v71, v69 op_sel:[0,1,0]
	s_waitcnt lgkmcnt(1)
	v_pk_fma_f16 v71, v64, v8, v75 op_sel_hi:[1,0,1]
	v_pk_fma_f16 v75, v64, v8, v87 op_sel:[0,1,0]
	v_pk_fma_f16 v87, v64, v9, v88 op_sel_hi:[1,0,1]
	v_pk_fma_f16 v88, v64, v9, v89 op_sel:[0,1,0]
	;; [unrolled: 2-line block ×7, first 2 shown]
	ds_load_2addr_b64 v[59:62], v53 offset0:128 offset1:160
	v_pk_fma_f16 v77, v67, v9, v77 op_sel_hi:[1,0,1]
	v_pk_fma_f16 v98, v67, v9, v98 op_sel:[0,1,0]
	ds_load_2addr_b64 v[64:67], v53 offset0:192 offset1:224
	s_mul_hi_i32 s21, s4, s10
	s_mul_i32 s20, s4, s10
	s_waitcnt lgkmcnt(2)
	v_pk_fma_f16 v99, v55, v8, v99 op_sel_hi:[1,0,1]
	s_lshl_b64 s[20:21], s[20:21], 2
	v_pk_fma_f16 v78, v55, v8, v78 op_sel:[0,1,0]
	s_add_u32 s4, s11, s20
	v_pk_fma_f16 v79, v55, v9, v79 op_sel_hi:[1,0,1]
	v_pk_fma_f16 v55, v55, v9, v72 op_sel:[0,1,0]
	v_pk_fma_f16 v72, v56, v8, v84 op_sel_hi:[1,0,1]
	v_pk_fma_f16 v177, v56, v8, v100 op_sel:[0,1,0]
	;; [unrolled: 2-line block ×4, first 2 shown]
	s_addc_u32 s19, s16, s21
	v_add_co_u32 v8, vcc_lo, s4, v27
	v_pk_fma_f16 v178, v56, v9, v101 op_sel_hi:[1,0,1]
	v_pk_fma_f16 v179, v56, v9, v73 op_sel:[0,1,0]
	v_pk_fma_f16 v182, v57, v9, v103 op_sel_hi:[1,0,1]
	v_pk_fma_f16 v183, v57, v9, v74 op_sel:[0,1,0]
	;; [unrolled: 2-line block ×3, first 2 shown]
	v_add_co_ci_u32_e32 v9, vcc_lo, s19, v28, vcc_lo
	v_add_co_u32 v161, vcc_lo, s4, v29
	v_add_co_ci_u32_e32 v162, vcc_lo, s19, v30, vcc_lo
	v_add_co_u32 v8, vcc_lo, v8, v92
	s_delay_alu instid0(VALU_DEP_4) | instskip(NEXT) | instid1(VALU_DEP_4)
	v_add_co_ci_u32_e32 v9, vcc_lo, 0, v9, vcc_lo
	v_add_co_u32 v173, vcc_lo, v161, v92
	s_delay_alu instid0(VALU_DEP_4)
	v_add_co_ci_u32_e32 v174, vcc_lo, 0, v162, vcc_lo
	s_waitcnt lgkmcnt(1)
	v_pk_fma_f16 v188, v59, v10, v71 op_sel_hi:[1,0,1]
	v_pk_fma_f16 v189, v59, v10, v75 op_sel:[0,1,0]
	v_pk_fma_f16 v190, v59, v11, v87 op_sel_hi:[1,0,1]
	v_pk_fma_f16 v191, v59, v11, v88 op_sel:[0,1,0]
	;; [unrolled: 2-line block ×8, first 2 shown]
	s_waitcnt lgkmcnt(0)
	v_pk_fma_f16 v204, v64, v10, v99 op_sel_hi:[1,0,1]
	v_pk_fma_f16 v205, v64, v10, v78 op_sel:[0,1,0]
	v_pk_fma_f16 v206, v64, v11, v79 op_sel_hi:[1,0,1]
	v_pk_fma_f16 v64, v64, v11, v55 op_sel:[0,1,0]
	v_pk_fma_f16 v207, v65, v10, v72 op_sel_hi:[1,0,1]
	ds_load_2addr_b64 v[55:58], v54 offset1:32
	ds_load_2addr_b64 v[59:62], v54 offset0:64 offset1:96
	ds_load_2addr_b64 v[68:71], v54 offset0:128 offset1:160
	;; [unrolled: 1-line block ×3, first 2 shown]
	ds_load_2addr_b64 v[76:79], v51 offset1:32
	ds_load_2addr_b64 v[84:87], v51 offset0:64 offset1:96
	ds_load_2addr_b64 v[88:91], v51 offset0:128 offset1:160
	;; [unrolled: 1-line block ×3, first 2 shown]
	ds_load_2addr_b64 v[97:100], v50 offset1:32
	ds_load_2addr_b64 v[101:104], v50 offset0:64 offset1:96
	ds_load_b128 v[105:108], v40 offset:192
	ds_load_b128 v[109:112], v40 offset:208
	ds_load_2addr_b64 v[113:116], v50 offset0:128 offset1:160
	ds_load_2addr_b64 v[117:120], v50 offset0:192 offset1:224
	ds_load_2addr_b64 v[121:124], v49 offset1:32
	ds_load_2addr_b64 v[125:128], v49 offset0:64 offset1:96
	ds_load_2addr_b64 v[129:132], v49 offset0:128 offset1:160
	;; [unrolled: 1-line block ×3, first 2 shown]
	ds_load_2addr_b64 v[137:140], v48 offset1:32
	ds_load_2addr_b64 v[141:144], v48 offset0:64 offset1:96
	ds_load_b128 v[145:148], v40 offset:224
	ds_load_b128 v[149:152], v40 offset:240
	ds_load_2addr_b64 v[153:156], v48 offset0:128 offset1:160
	ds_load_2addr_b64 v[157:160], v48 offset0:192 offset1:224
	s_waitcnt lgkmcnt(0)
	s_barrier
	buffer_gl0_inv
	s_clause 0x3
	global_load_b128 v[161:164], v[8:9], off
	global_load_b128 v[165:168], v[8:9], off offset:512
	global_load_b128 v[169:172], v[173:174], off
	global_load_b128 v[173:176], v[173:174], off offset:512
	v_pk_fma_f16 v8, v65, v10, v177 op_sel:[0,1,0]
	v_pk_fma_f16 v9, v65, v11, v178 op_sel_hi:[1,0,1]
	v_pk_fma_f16 v65, v65, v11, v179 op_sel:[0,1,0]
	v_pk_fma_f16 v177, v66, v10, v180 op_sel_hi:[1,0,1]
	;; [unrolled: 2-line block ×24, first 2 shown]
	v_pk_fma_f16 v56, v69, v7, v56 op_sel:[0,1,0]
	v_pk_fma_f16 v57, v70, v7, v57 op_sel:[0,1,0]
	;; [unrolled: 1-line block ×4, first 2 shown]
	v_pk_fma_f16 v180, v69, v7, v186 op_sel_hi:[1,0,1]
	v_pk_fma_f16 v69, v70, v6, v187 op_sel_hi:[1,0,1]
	v_pk_fma_f16 v181, v70, v6, v188 op_sel:[0,1,0]
	v_pk_fma_f16 v182, v70, v7, v189 op_sel_hi:[1,0,1]
	v_pk_fma_f16 v70, v71, v6, v190 op_sel_hi:[1,0,1]
	v_pk_fma_f16 v183, v71, v6, v191 op_sel:[0,1,0]
	;; [unrolled: 3-line block ×3, first 2 shown]
	v_pk_fma_f16 v186, v72, v7, v195 op_sel_hi:[1,0,1]
	v_pk_fma_f16 v59, v72, v7, v59 op_sel:[0,1,0]
	v_pk_fma_f16 v64, v73, v6, v64 op_sel_hi:[1,0,1]
	v_pk_fma_f16 v8, v73, v6, v8 op_sel:[0,1,0]
	v_pk_fma_f16 v60, v73, v7, v60 op_sel:[0,1,0]
	v_pk_fma_f16 v65, v74, v6, v65 op_sel_hi:[1,0,1]
	v_pk_fma_f16 v72, v74, v6, v177 op_sel:[0,1,0]
	;; [unrolled: 3-line block ×3, first 2 shown]
	v_pk_fma_f16 v6, v75, v7, v10 op_sel_hi:[1,0,1]
	v_pk_fma_f16 v10, v76, v105, v62 op_sel:[0,1,0]
	v_pk_fma_f16 v55, v76, v106, v55 op_sel:[0,1,0]
	v_pk_fma_f16 v62, v77, v105, v68 op_sel_hi:[1,0,1]
	v_pk_fma_f16 v56, v77, v106, v56 op_sel:[0,1,0]
	v_pk_fma_f16 v57, v78, v106, v57 op_sel:[0,1,0]
	;; [unrolled: 1-line block ×7, first 2 shown]
	v_pk_fma_f16 v62, v89, v107, v62 op_sel_hi:[1,0,1]
	v_pk_fma_f16 v56, v89, v108, v56 op_sel:[0,1,0]
	v_pk_fma_f16 v57, v90, v108, v57 op_sel:[0,1,0]
	;; [unrolled: 1-line block ×7, first 2 shown]
	v_pk_fma_f16 v62, v98, v109, v62 op_sel_hi:[1,0,1]
	v_pk_fma_f16 v56, v98, v110, v56 op_sel:[0,1,0]
	v_pk_fma_f16 v57, v99, v110, v57 op_sel:[0,1,0]
	;; [unrolled: 1-line block ×3, first 2 shown]
	v_pk_fma_f16 v9, v73, v7, v9 op_sel_hi:[1,0,1]
	v_pk_fma_f16 v5, v75, v7, v5 op_sel:[0,1,0]
	v_pk_fma_f16 v73, v74, v7, v178 op_sel_hi:[1,0,1]
	v_pk_fma_f16 v7, v76, v105, v11 op_sel_hi:[1,0,1]
	;; [unrolled: 1-line block ×3, first 2 shown]
	v_pk_fma_f16 v67, v77, v105, v179 op_sel:[0,1,0]
	v_pk_fma_f16 v68, v77, v106, v180 op_sel_hi:[1,0,1]
	v_pk_fma_f16 v69, v78, v105, v69 op_sel_hi:[1,0,1]
	v_pk_fma_f16 v74, v78, v105, v181 op_sel:[0,1,0]
	v_pk_fma_f16 v75, v78, v106, v182 op_sel_hi:[1,0,1]
	v_pk_fma_f16 v70, v79, v105, v70 op_sel_hi:[1,0,1]
	v_pk_fma_f16 v76, v79, v105, v183 op_sel:[0,1,0]
	v_pk_fma_f16 v77, v79, v106, v184 op_sel_hi:[1,0,1]
	v_pk_fma_f16 v59, v101, v110, v59 op_sel:[0,1,0]
	v_pk_fma_f16 v60, v102, v110, v60 op_sel:[0,1,0]
	;; [unrolled: 1-line block ×4, first 2 shown]
	v_pk_fma_f16 v62, v114, v111, v62 op_sel_hi:[1,0,1]
	v_pk_fma_f16 v56, v114, v112, v56 op_sel:[0,1,0]
	v_pk_fma_f16 v57, v115, v112, v57 op_sel:[0,1,0]
	;; [unrolled: 1-line block ×3, first 2 shown]
	v_pk_fma_f16 v71, v84, v105, v71 op_sel_hi:[1,0,1]
	v_pk_fma_f16 v64, v85, v105, v64 op_sel_hi:[1,0,1]
	v_pk_fma_f16 v8, v85, v105, v8 op_sel:[0,1,0]
	v_pk_fma_f16 v9, v85, v106, v9 op_sel_hi:[1,0,1]
	v_pk_fma_f16 v65, v86, v105, v65 op_sel_hi:[1,0,1]
	;; [unrolled: 1-line block ×3, first 2 shown]
	v_pk_fma_f16 v4, v87, v105, v4 op_sel:[0,1,0]
	v_pk_fma_f16 v6, v87, v106, v6 op_sel_hi:[1,0,1]
	v_pk_fma_f16 v5, v87, v106, v5 op_sel:[0,1,0]
	v_pk_fma_f16 v72, v86, v105, v72 op_sel:[0,1,0]
	v_pk_fma_f16 v73, v86, v106, v73 op_sel_hi:[1,0,1]
	v_pk_fma_f16 v7, v88, v107, v7 op_sel_hi:[1,0,1]
	v_pk_fma_f16 v10, v88, v107, v10 op_sel:[0,1,0]
	v_pk_fma_f16 v11, v88, v108, v11 op_sel_hi:[1,0,1]
	v_pk_fma_f16 v67, v89, v107, v67 op_sel:[0,1,0]
	v_pk_fma_f16 v68, v89, v108, v68 op_sel_hi:[1,0,1]
	v_pk_fma_f16 v69, v90, v107, v69 op_sel_hi:[1,0,1]
	v_pk_fma_f16 v74, v90, v107, v74 op_sel:[0,1,0]
	v_pk_fma_f16 v75, v90, v108, v75 op_sel_hi:[1,0,1]
	;; [unrolled: 3-line block ×3, first 2 shown]
	v_pk_fma_f16 v59, v117, v112, v59 op_sel:[0,1,0]
	v_pk_fma_f16 v60, v118, v112, v60 op_sel:[0,1,0]
	;; [unrolled: 1-line block ×4, first 2 shown]
	v_pk_fma_f16 v62, v122, v145, v62 op_sel_hi:[1,0,1]
	v_pk_fma_f16 v56, v122, v146, v56 op_sel:[0,1,0]
	v_pk_fma_f16 v57, v123, v146, v57 op_sel:[0,1,0]
	;; [unrolled: 1-line block ×3, first 2 shown]
	v_pk_fma_f16 v71, v93, v107, v71 op_sel_hi:[1,0,1]
	v_pk_fma_f16 v64, v94, v107, v64 op_sel_hi:[1,0,1]
	v_pk_fma_f16 v8, v94, v107, v8 op_sel:[0,1,0]
	v_pk_fma_f16 v9, v94, v108, v9 op_sel_hi:[1,0,1]
	v_pk_fma_f16 v65, v95, v107, v65 op_sel_hi:[1,0,1]
	;; [unrolled: 1-line block ×3, first 2 shown]
	v_pk_fma_f16 v4, v96, v107, v4 op_sel:[0,1,0]
	v_pk_fma_f16 v6, v96, v108, v6 op_sel_hi:[1,0,1]
	v_pk_fma_f16 v5, v96, v108, v5 op_sel:[0,1,0]
	v_pk_fma_f16 v72, v95, v107, v72 op_sel:[0,1,0]
	v_pk_fma_f16 v73, v95, v108, v73 op_sel_hi:[1,0,1]
	v_pk_fma_f16 v7, v97, v109, v7 op_sel_hi:[1,0,1]
	v_pk_fma_f16 v10, v97, v109, v10 op_sel:[0,1,0]
	v_pk_fma_f16 v11, v97, v110, v11 op_sel_hi:[1,0,1]
	v_pk_fma_f16 v67, v98, v109, v67 op_sel:[0,1,0]
	v_pk_fma_f16 v68, v98, v110, v68 op_sel_hi:[1,0,1]
	v_pk_fma_f16 v69, v99, v109, v69 op_sel_hi:[1,0,1]
	v_pk_fma_f16 v74, v99, v109, v74 op_sel:[0,1,0]
	v_pk_fma_f16 v75, v99, v110, v75 op_sel_hi:[1,0,1]
	;; [unrolled: 3-line block ×3, first 2 shown]
	v_pk_fma_f16 v59, v125, v146, v59 op_sel:[0,1,0]
	v_pk_fma_f16 v60, v126, v146, v60 op_sel:[0,1,0]
	;; [unrolled: 1-line block ×4, first 2 shown]
	v_pk_fma_f16 v62, v130, v147, v62 op_sel_hi:[1,0,1]
	v_pk_fma_f16 v56, v130, v148, v56 op_sel:[0,1,0]
	v_pk_fma_f16 v57, v131, v148, v57 op_sel:[0,1,0]
	;; [unrolled: 1-line block ×3, first 2 shown]
	v_pk_fma_f16 v71, v101, v109, v71 op_sel_hi:[1,0,1]
	v_pk_fma_f16 v64, v102, v109, v64 op_sel_hi:[1,0,1]
	v_pk_fma_f16 v8, v102, v109, v8 op_sel:[0,1,0]
	v_pk_fma_f16 v9, v102, v110, v9 op_sel_hi:[1,0,1]
	v_pk_fma_f16 v65, v103, v109, v65 op_sel_hi:[1,0,1]
	;; [unrolled: 1-line block ×3, first 2 shown]
	v_pk_fma_f16 v4, v104, v109, v4 op_sel:[0,1,0]
	v_pk_fma_f16 v6, v104, v110, v6 op_sel_hi:[1,0,1]
	v_pk_fma_f16 v5, v104, v110, v5 op_sel:[0,1,0]
	v_pk_fma_f16 v78, v84, v105, v185 op_sel:[0,1,0]
	v_pk_fma_f16 v79, v84, v106, v186 op_sel_hi:[1,0,1]
	v_pk_fma_f16 v72, v103, v109, v72 op_sel:[0,1,0]
	v_pk_fma_f16 v73, v103, v110, v73 op_sel_hi:[1,0,1]
	v_pk_fma_f16 v7, v113, v111, v7 op_sel_hi:[1,0,1]
	v_pk_fma_f16 v10, v113, v111, v10 op_sel:[0,1,0]
	v_pk_fma_f16 v11, v113, v112, v11 op_sel_hi:[1,0,1]
	v_pk_fma_f16 v67, v114, v111, v67 op_sel:[0,1,0]
	v_pk_fma_f16 v68, v114, v112, v68 op_sel_hi:[1,0,1]
	v_pk_fma_f16 v69, v115, v111, v69 op_sel_hi:[1,0,1]
	v_pk_fma_f16 v74, v115, v111, v74 op_sel:[0,1,0]
	v_pk_fma_f16 v75, v115, v112, v75 op_sel_hi:[1,0,1]
	;; [unrolled: 3-line block ×3, first 2 shown]
	v_pk_fma_f16 v59, v133, v148, v59 op_sel:[0,1,0]
	v_pk_fma_f16 v60, v134, v148, v60 op_sel:[0,1,0]
	;; [unrolled: 1-line block ×4, first 2 shown]
	v_pk_fma_f16 v62, v138, v149, v62 op_sel_hi:[1,0,1]
	v_pk_fma_f16 v56, v138, v150, v56 op_sel:[0,1,0]
	v_pk_fma_f16 v57, v139, v150, v57 op_sel:[0,1,0]
	;; [unrolled: 1-line block ×3, first 2 shown]
	v_pk_fma_f16 v71, v117, v111, v71 op_sel_hi:[1,0,1]
	v_pk_fma_f16 v64, v118, v111, v64 op_sel_hi:[1,0,1]
	v_pk_fma_f16 v8, v118, v111, v8 op_sel:[0,1,0]
	v_pk_fma_f16 v9, v118, v112, v9 op_sel_hi:[1,0,1]
	v_pk_fma_f16 v65, v119, v111, v65 op_sel_hi:[1,0,1]
	;; [unrolled: 1-line block ×3, first 2 shown]
	v_pk_fma_f16 v4, v120, v111, v4 op_sel:[0,1,0]
	v_pk_fma_f16 v6, v120, v112, v6 op_sel_hi:[1,0,1]
	v_pk_fma_f16 v5, v120, v112, v5 op_sel:[0,1,0]
	v_pk_fma_f16 v78, v93, v107, v78 op_sel:[0,1,0]
	v_pk_fma_f16 v79, v93, v108, v79 op_sel_hi:[1,0,1]
	v_pk_fma_f16 v72, v119, v111, v72 op_sel:[0,1,0]
	v_pk_fma_f16 v73, v119, v112, v73 op_sel_hi:[1,0,1]
	v_pk_fma_f16 v7, v121, v145, v7 op_sel_hi:[1,0,1]
	v_pk_fma_f16 v10, v121, v145, v10 op_sel:[0,1,0]
	v_pk_fma_f16 v11, v121, v146, v11 op_sel_hi:[1,0,1]
	v_pk_fma_f16 v67, v122, v145, v67 op_sel:[0,1,0]
	v_pk_fma_f16 v68, v122, v146, v68 op_sel_hi:[1,0,1]
	v_pk_fma_f16 v69, v123, v145, v69 op_sel_hi:[1,0,1]
	v_pk_fma_f16 v74, v123, v145, v74 op_sel:[0,1,0]
	v_pk_fma_f16 v75, v123, v146, v75 op_sel_hi:[1,0,1]
	;; [unrolled: 3-line block ×3, first 2 shown]
	v_pk_fma_f16 v84, v141, v150, v59 op_sel:[0,1,0]
	v_pk_fma_f16 v85, v142, v150, v60 op_sel:[0,1,0]
	;; [unrolled: 1-line block ×4, first 2 shown]
	v_pk_fma_f16 v91, v154, v151, v62 op_sel_hi:[1,0,1]
	v_pk_fma_f16 v95, v154, v152, v56 op_sel:[0,1,0]
	v_pk_fma_f16 v97, v155, v152, v57 op_sel:[0,1,0]
	;; [unrolled: 1-line block ×3, first 2 shown]
	s_waitcnt vmcnt(3)
	ds_store_b128 v42, v[161:164]
	s_waitcnt vmcnt(2)
	ds_store_b128 v43, v[165:168]
	;; [unrolled: 2-line block ×4, first 2 shown]
	s_waitcnt lgkmcnt(0)
	s_barrier
	buffer_gl0_inv
	ds_load_2addr_b64 v[55:58], v63 offset1:32
	ds_load_b128 v[59:62], v40 offset:256
	v_pk_fma_f16 v71, v125, v145, v71 op_sel_hi:[1,0,1]
	v_pk_fma_f16 v64, v126, v145, v64 op_sel_hi:[1,0,1]
	v_pk_fma_f16 v8, v126, v145, v8 op_sel:[0,1,0]
	v_pk_fma_f16 v9, v126, v146, v9 op_sel_hi:[1,0,1]
	v_pk_fma_f16 v65, v127, v145, v65 op_sel_hi:[1,0,1]
	v_pk_fma_f16 v66, v128, v145, v66 op_sel_hi:[1,0,1]
	v_pk_fma_f16 v4, v128, v145, v4 op_sel:[0,1,0]
	v_pk_fma_f16 v6, v128, v146, v6 op_sel_hi:[1,0,1]
	v_pk_fma_f16 v5, v128, v146, v5 op_sel:[0,1,0]
	v_pk_fma_f16 v78, v101, v109, v78 op_sel:[0,1,0]
	v_pk_fma_f16 v79, v101, v110, v79 op_sel_hi:[1,0,1]
	v_pk_fma_f16 v72, v127, v145, v72 op_sel:[0,1,0]
	v_pk_fma_f16 v73, v127, v146, v73 op_sel_hi:[1,0,1]
	v_pk_fma_f16 v7, v129, v147, v7 op_sel_hi:[1,0,1]
	v_pk_fma_f16 v10, v129, v147, v10 op_sel:[0,1,0]
	v_pk_fma_f16 v11, v129, v148, v11 op_sel_hi:[1,0,1]
	v_pk_fma_f16 v67, v130, v147, v67 op_sel:[0,1,0]
	v_pk_fma_f16 v68, v130, v148, v68 op_sel_hi:[1,0,1]
	v_pk_fma_f16 v69, v131, v147, v69 op_sel_hi:[1,0,1]
	v_pk_fma_f16 v74, v131, v147, v74 op_sel:[0,1,0]
	v_pk_fma_f16 v75, v131, v148, v75 op_sel_hi:[1,0,1]
	v_pk_fma_f16 v70, v132, v147, v70 op_sel_hi:[1,0,1]
	v_pk_fma_f16 v76, v132, v147, v76 op_sel:[0,1,0]
	v_pk_fma_f16 v77, v132, v148, v77 op_sel_hi:[1,0,1]
	v_pk_fma_f16 v71, v133, v147, v71 op_sel_hi:[1,0,1]
	v_pk_fma_f16 v64, v134, v147, v64 op_sel_hi:[1,0,1]
	v_pk_fma_f16 v8, v134, v147, v8 op_sel:[0,1,0]
	v_pk_fma_f16 v9, v134, v148, v9 op_sel_hi:[1,0,1]
	v_pk_fma_f16 v65, v135, v147, v65 op_sel_hi:[1,0,1]
	v_pk_fma_f16 v66, v136, v147, v66 op_sel_hi:[1,0,1]
	v_pk_fma_f16 v4, v136, v147, v4 op_sel:[0,1,0]
	v_pk_fma_f16 v6, v136, v148, v6 op_sel_hi:[1,0,1]
	v_pk_fma_f16 v5, v136, v148, v5 op_sel:[0,1,0]
	v_pk_fma_f16 v78, v117, v111, v78 op_sel:[0,1,0]
	v_pk_fma_f16 v79, v117, v112, v79 op_sel_hi:[1,0,1]
	v_pk_fma_f16 v72, v135, v147, v72 op_sel:[0,1,0]
	v_pk_fma_f16 v73, v135, v148, v73 op_sel_hi:[1,0,1]
	v_pk_fma_f16 v7, v137, v149, v7 op_sel_hi:[1,0,1]
	v_pk_fma_f16 v10, v137, v149, v10 op_sel:[0,1,0]
	v_pk_fma_f16 v11, v137, v150, v11 op_sel_hi:[1,0,1]
	v_pk_fma_f16 v67, v138, v149, v67 op_sel:[0,1,0]
	v_pk_fma_f16 v68, v138, v150, v68 op_sel_hi:[1,0,1]
	v_pk_fma_f16 v69, v139, v149, v69 op_sel_hi:[1,0,1]
	v_pk_fma_f16 v74, v139, v149, v74 op_sel:[0,1,0]
	v_pk_fma_f16 v75, v139, v150, v75 op_sel_hi:[1,0,1]
	v_pk_fma_f16 v70, v140, v149, v70 op_sel_hi:[1,0,1]
	v_pk_fma_f16 v76, v140, v149, v76 op_sel:[0,1,0]
	v_pk_fma_f16 v77, v140, v150, v77 op_sel_hi:[1,0,1]
	;; [unrolled: 24-line block ×3, first 2 shown]
	v_pk_fma_f16 v100, v157, v151, v71 op_sel_hi:[1,0,1]
	v_pk_fma_f16 v101, v158, v151, v64 op_sel_hi:[1,0,1]
	v_pk_fma_f16 v102, v158, v151, v8 op_sel:[0,1,0]
	v_pk_fma_f16 v103, v158, v152, v9 op_sel_hi:[1,0,1]
	v_pk_fma_f16 v104, v159, v151, v65 op_sel_hi:[1,0,1]
	;; [unrolled: 1-line block ×3, first 2 shown]
	v_pk_fma_f16 v108, v160, v151, v4 op_sel:[0,1,0]
	v_pk_fma_f16 v109, v160, v152, v6 op_sel_hi:[1,0,1]
	v_pk_fma_f16 v110, v160, v152, v5 op_sel:[0,1,0]
	ds_load_2addr_b64 v[64:67], v63 offset0:64 offset1:96
	ds_load_b128 v[68:71], v40 offset:272
	ds_load_b128 v[8:11], v40 offset:288
	;; [unrolled: 1-line block ×3, first 2 shown]
	v_pk_fma_f16 v78, v133, v147, v78 op_sel:[0,1,0]
	v_pk_fma_f16 v79, v133, v148, v79 op_sel_hi:[1,0,1]
	v_pk_fma_f16 v105, v159, v151, v72 op_sel:[0,1,0]
	v_pk_fma_f16 v106, v159, v152, v73 op_sel_hi:[1,0,1]
	s_waitcnt lgkmcnt(4)
	v_pk_fma_f16 v87, v55, v59, v87 op_sel_hi:[1,0,1]
	v_pk_fma_f16 v88, v55, v59, v88 op_sel:[0,1,0]
	v_pk_fma_f16 v89, v55, v60, v89 op_sel_hi:[1,0,1]
	v_pk_fma_f16 v90, v55, v60, v90 op_sel:[0,1,0]
	;; [unrolled: 2-line block ×7, first 2 shown]
	ds_load_2addr_b64 v[72:75], v63 offset0:128 offset1:160
	v_pk_fma_f16 v77, v58, v60, v77 op_sel_hi:[1,0,1]
	v_pk_fma_f16 v99, v58, v60, v99 op_sel:[0,1,0]
	ds_load_2addr_b64 v[55:58], v63 offset0:192 offset1:224
	v_pk_fma_f16 v78, v141, v149, v78 op_sel:[0,1,0]
	v_pk_fma_f16 v79, v141, v150, v79 op_sel_hi:[1,0,1]
	v_pk_fma_f16 v84, v157, v152, v84 op_sel:[0,1,0]
	v_pk_fma_f16 v85, v158, v152, v85 op_sel:[0,1,0]
	;; [unrolled: 1-line block ×4, first 2 shown]
	v_pk_fma_f16 v79, v157, v152, v79 op_sel_hi:[1,0,1]
	s_waitcnt lgkmcnt(5)
	v_pk_fma_f16 v100, v64, v59, v100 op_sel_hi:[1,0,1]
	v_pk_fma_f16 v84, v64, v60, v84 op_sel:[0,1,0]
	v_pk_fma_f16 v101, v65, v59, v101 op_sel_hi:[1,0,1]
	v_pk_fma_f16 v78, v64, v59, v78 op_sel:[0,1,0]
	v_pk_fma_f16 v79, v64, v60, v79 op_sel_hi:[1,0,1]
	v_pk_fma_f16 v102, v65, v59, v102 op_sel:[0,1,0]
	v_pk_fma_f16 v103, v65, v60, v103 op_sel_hi:[1,0,1]
	v_pk_fma_f16 v85, v65, v60, v85 op_sel:[0,1,0]
	v_pk_fma_f16 v104, v66, v59, v104 op_sel_hi:[1,0,1]
	v_pk_fma_f16 v105, v66, v59, v105 op_sel:[0,1,0]
	v_pk_fma_f16 v106, v66, v60, v106 op_sel_hi:[1,0,1]
	v_pk_fma_f16 v86, v66, v60, v86 op_sel:[0,1,0]
	v_pk_fma_f16 v107, v67, v59, v107 op_sel_hi:[1,0,1]
	v_pk_fma_f16 v59, v67, v59, v108 op_sel:[0,1,0]
	v_pk_fma_f16 v108, v67, v60, v109 op_sel_hi:[1,0,1]
	v_pk_fma_f16 v60, v67, v60, v110 op_sel:[0,1,0]
	ds_load_2addr_b64 v[64:67], v52 offset1:32
	s_waitcnt lgkmcnt(2)
	v_pk_fma_f16 v87, v72, v61, v87 op_sel_hi:[1,0,1]
	v_pk_fma_f16 v88, v72, v61, v88 op_sel:[0,1,0]
	v_pk_fma_f16 v89, v72, v62, v89 op_sel_hi:[1,0,1]
	v_pk_fma_f16 v90, v72, v62, v90 op_sel:[0,1,0]
	;; [unrolled: 2-line block ×8, first 2 shown]
	s_waitcnt lgkmcnt(1)
	v_pk_fma_f16 v100, v55, v61, v100 op_sel_hi:[1,0,1]
	v_pk_fma_f16 v78, v55, v61, v78 op_sel:[0,1,0]
	v_pk_fma_f16 v79, v55, v62, v79 op_sel_hi:[1,0,1]
	v_pk_fma_f16 v84, v55, v62, v84 op_sel:[0,1,0]
	;; [unrolled: 2-line block ×7, first 2 shown]
	ds_load_2addr_b64 v[72:75], v52 offset0:64 offset1:96
	v_pk_fma_f16 v108, v58, v62, v108 op_sel_hi:[1,0,1]
	v_pk_fma_f16 v111, v58, v62, v60 op_sel:[0,1,0]
	ds_load_2addr_b64 v[55:58], v52 offset0:128 offset1:160
	s_waitcnt lgkmcnt(2)
	v_pk_fma_f16 v87, v64, v68, v87 op_sel_hi:[1,0,1]
	v_pk_fma_f16 v88, v64, v68, v88 op_sel:[0,1,0]
	v_pk_fma_f16 v89, v64, v69, v89 op_sel_hi:[1,0,1]
	v_pk_fma_f16 v64, v64, v69, v90 op_sel:[0,1,0]
	;; [unrolled: 2-line block ×8, first 2 shown]
	s_waitcnt lgkmcnt(1)
	v_pk_fma_f16 v99, v72, v68, v100 op_sel_hi:[1,0,1]
	v_pk_fma_f16 v78, v72, v68, v78 op_sel:[0,1,0]
	v_pk_fma_f16 v79, v72, v69, v79 op_sel_hi:[1,0,1]
	v_pk_fma_f16 v72, v72, v69, v84 op_sel:[0,1,0]
	;; [unrolled: 2-line block ×7, first 2 shown]
	ds_load_2addr_b64 v[59:62], v52 offset0:192 offset1:224
	v_pk_fma_f16 v104, v75, v69, v108 op_sel_hi:[1,0,1]
	v_pk_fma_f16 v69, v75, v69, v111 op_sel:[0,1,0]
	s_waitcnt lgkmcnt(1)
	v_pk_fma_f16 v75, v55, v70, v87 op_sel_hi:[1,0,1]
	v_pk_fma_f16 v87, v55, v70, v88 op_sel:[0,1,0]
	v_pk_fma_f16 v88, v55, v71, v89 op_sel_hi:[1,0,1]
	v_pk_fma_f16 v89, v55, v71, v64 op_sel:[0,1,0]
	v_pk_fma_f16 v105, v56, v71, v65 op_sel:[0,1,0]
	v_pk_fma_f16 v106, v57, v71, v66 op_sel:[0,1,0]
	ds_load_2addr_b64 v[64:67], v53 offset1:32
	v_pk_fma_f16 v90, v56, v70, v90 op_sel_hi:[1,0,1]
	v_pk_fma_f16 v91, v56, v70, v91 op_sel:[0,1,0]
	v_pk_fma_f16 v93, v56, v71, v93 op_sel_hi:[1,0,1]
	v_pk_fma_f16 v94, v57, v70, v94 op_sel_hi:[1,0,1]
	v_pk_fma_f16 v95, v57, v70, v95 op_sel:[0,1,0]
	v_pk_fma_f16 v96, v57, v71, v96 op_sel_hi:[1,0,1]
	;; [unrolled: 3-line block ×3, first 2 shown]
	v_pk_fma_f16 v98, v58, v71, v98 op_sel:[0,1,0]
	ds_load_2addr_b64 v[55:58], v53 offset0:64 offset1:96
	s_or_b32 s4, s13, 48
	s_waitcnt lgkmcnt(2)
	v_pk_fma_f16 v99, v59, v70, v99 op_sel_hi:[1,0,1]
	v_pk_fma_f16 v78, v59, v70, v78 op_sel:[0,1,0]
	v_pk_fma_f16 v79, v59, v71, v79 op_sel_hi:[1,0,1]
	v_pk_fma_f16 v72, v59, v71, v72 op_sel:[0,1,0]
	;; [unrolled: 2-line block ×8, first 2 shown]
	s_waitcnt lgkmcnt(1)
	v_pk_fma_f16 v71, v64, v8, v75 op_sel_hi:[1,0,1]
	v_pk_fma_f16 v75, v64, v8, v87 op_sel:[0,1,0]
	v_pk_fma_f16 v87, v64, v9, v88 op_sel_hi:[1,0,1]
	v_pk_fma_f16 v88, v64, v9, v89 op_sel:[0,1,0]
	;; [unrolled: 2-line block ×7, first 2 shown]
	ds_load_2addr_b64 v[59:62], v53 offset0:128 offset1:160
	v_pk_fma_f16 v77, v67, v9, v77 op_sel_hi:[1,0,1]
	v_pk_fma_f16 v98, v67, v9, v98 op_sel:[0,1,0]
	ds_load_2addr_b64 v[64:67], v53 offset0:192 offset1:224
	s_mul_hi_i32 s21, s4, s10
	s_mul_i32 s20, s4, s10
	s_waitcnt lgkmcnt(2)
	v_pk_fma_f16 v99, v55, v8, v99 op_sel_hi:[1,0,1]
	s_lshl_b64 s[20:21], s[20:21], 2
	v_pk_fma_f16 v78, v55, v8, v78 op_sel:[0,1,0]
	s_add_u32 s4, s11, s20
	v_pk_fma_f16 v79, v55, v9, v79 op_sel_hi:[1,0,1]
	v_pk_fma_f16 v55, v55, v9, v72 op_sel:[0,1,0]
	v_pk_fma_f16 v72, v56, v8, v84 op_sel_hi:[1,0,1]
	v_pk_fma_f16 v177, v56, v8, v100 op_sel:[0,1,0]
	;; [unrolled: 2-line block ×4, first 2 shown]
	s_addc_u32 s19, s16, s21
	v_add_co_u32 v8, vcc_lo, s4, v27
	v_pk_fma_f16 v178, v56, v9, v101 op_sel_hi:[1,0,1]
	v_pk_fma_f16 v179, v56, v9, v73 op_sel:[0,1,0]
	v_pk_fma_f16 v182, v57, v9, v103 op_sel_hi:[1,0,1]
	v_pk_fma_f16 v183, v57, v9, v74 op_sel:[0,1,0]
	;; [unrolled: 2-line block ×3, first 2 shown]
	v_add_co_ci_u32_e32 v9, vcc_lo, s19, v28, vcc_lo
	v_add_co_u32 v161, vcc_lo, s4, v29
	v_add_co_ci_u32_e32 v162, vcc_lo, s19, v30, vcc_lo
	v_add_co_u32 v8, vcc_lo, v8, v92
	s_delay_alu instid0(VALU_DEP_4) | instskip(NEXT) | instid1(VALU_DEP_4)
	v_add_co_ci_u32_e32 v9, vcc_lo, 0, v9, vcc_lo
	v_add_co_u32 v173, vcc_lo, v161, v92
	s_delay_alu instid0(VALU_DEP_4)
	v_add_co_ci_u32_e32 v174, vcc_lo, 0, v162, vcc_lo
	s_waitcnt lgkmcnt(1)
	v_pk_fma_f16 v188, v59, v10, v71 op_sel_hi:[1,0,1]
	v_pk_fma_f16 v189, v59, v10, v75 op_sel:[0,1,0]
	v_pk_fma_f16 v190, v59, v11, v87 op_sel_hi:[1,0,1]
	v_pk_fma_f16 v191, v59, v11, v88 op_sel:[0,1,0]
	;; [unrolled: 2-line block ×8, first 2 shown]
	s_waitcnt lgkmcnt(0)
	v_pk_fma_f16 v204, v64, v10, v99 op_sel_hi:[1,0,1]
	v_pk_fma_f16 v205, v64, v10, v78 op_sel:[0,1,0]
	v_pk_fma_f16 v206, v64, v11, v79 op_sel_hi:[1,0,1]
	v_pk_fma_f16 v64, v64, v11, v55 op_sel:[0,1,0]
	v_pk_fma_f16 v207, v65, v10, v72 op_sel_hi:[1,0,1]
	ds_load_2addr_b64 v[55:58], v54 offset1:32
	ds_load_2addr_b64 v[59:62], v54 offset0:64 offset1:96
	ds_load_2addr_b64 v[68:71], v54 offset0:128 offset1:160
	;; [unrolled: 1-line block ×3, first 2 shown]
	ds_load_2addr_b64 v[76:79], v51 offset1:32
	ds_load_2addr_b64 v[84:87], v51 offset0:64 offset1:96
	ds_load_2addr_b64 v[88:91], v51 offset0:128 offset1:160
	;; [unrolled: 1-line block ×3, first 2 shown]
	ds_load_2addr_b64 v[97:100], v50 offset1:32
	ds_load_2addr_b64 v[101:104], v50 offset0:64 offset1:96
	ds_load_b128 v[105:108], v40 offset:320
	ds_load_b128 v[109:112], v40 offset:336
	ds_load_2addr_b64 v[113:116], v50 offset0:128 offset1:160
	ds_load_2addr_b64 v[117:120], v50 offset0:192 offset1:224
	ds_load_2addr_b64 v[121:124], v49 offset1:32
	ds_load_2addr_b64 v[125:128], v49 offset0:64 offset1:96
	ds_load_2addr_b64 v[129:132], v49 offset0:128 offset1:160
	;; [unrolled: 1-line block ×3, first 2 shown]
	ds_load_2addr_b64 v[137:140], v48 offset1:32
	ds_load_2addr_b64 v[141:144], v48 offset0:64 offset1:96
	ds_load_b128 v[145:148], v40 offset:352
	ds_load_b128 v[149:152], v40 offset:368
	ds_load_2addr_b64 v[153:156], v48 offset0:128 offset1:160
	ds_load_2addr_b64 v[157:160], v48 offset0:192 offset1:224
	s_waitcnt lgkmcnt(0)
	s_barrier
	buffer_gl0_inv
	s_clause 0x3
	global_load_b128 v[161:164], v[8:9], off
	global_load_b128 v[165:168], v[8:9], off offset:512
	global_load_b128 v[169:172], v[173:174], off
	global_load_b128 v[173:176], v[173:174], off offset:512
	v_pk_fma_f16 v8, v65, v10, v177 op_sel:[0,1,0]
	v_pk_fma_f16 v9, v65, v11, v178 op_sel_hi:[1,0,1]
	v_pk_fma_f16 v65, v65, v11, v179 op_sel:[0,1,0]
	v_pk_fma_f16 v177, v66, v10, v180 op_sel_hi:[1,0,1]
	;; [unrolled: 2-line block ×24, first 2 shown]
	v_pk_fma_f16 v56, v69, v7, v56 op_sel:[0,1,0]
	v_pk_fma_f16 v57, v70, v7, v57 op_sel:[0,1,0]
	;; [unrolled: 1-line block ×4, first 2 shown]
	v_pk_fma_f16 v180, v69, v7, v186 op_sel_hi:[1,0,1]
	v_pk_fma_f16 v69, v70, v6, v187 op_sel_hi:[1,0,1]
	v_pk_fma_f16 v181, v70, v6, v188 op_sel:[0,1,0]
	v_pk_fma_f16 v182, v70, v7, v189 op_sel_hi:[1,0,1]
	v_pk_fma_f16 v70, v71, v6, v190 op_sel_hi:[1,0,1]
	v_pk_fma_f16 v183, v71, v6, v191 op_sel:[0,1,0]
	;; [unrolled: 3-line block ×3, first 2 shown]
	v_pk_fma_f16 v186, v72, v7, v195 op_sel_hi:[1,0,1]
	v_pk_fma_f16 v59, v72, v7, v59 op_sel:[0,1,0]
	v_pk_fma_f16 v64, v73, v6, v64 op_sel_hi:[1,0,1]
	v_pk_fma_f16 v8, v73, v6, v8 op_sel:[0,1,0]
	v_pk_fma_f16 v60, v73, v7, v60 op_sel:[0,1,0]
	v_pk_fma_f16 v65, v74, v6, v65 op_sel_hi:[1,0,1]
	v_pk_fma_f16 v72, v74, v6, v177 op_sel:[0,1,0]
	;; [unrolled: 3-line block ×3, first 2 shown]
	v_pk_fma_f16 v6, v75, v7, v10 op_sel_hi:[1,0,1]
	v_pk_fma_f16 v10, v76, v105, v62 op_sel:[0,1,0]
	v_pk_fma_f16 v55, v76, v106, v55 op_sel:[0,1,0]
	v_pk_fma_f16 v62, v77, v105, v68 op_sel_hi:[1,0,1]
	v_pk_fma_f16 v56, v77, v106, v56 op_sel:[0,1,0]
	v_pk_fma_f16 v57, v78, v106, v57 op_sel:[0,1,0]
	v_pk_fma_f16 v58, v79, v106, v58 op_sel:[0,1,0]
	v_pk_fma_f16 v59, v84, v106, v59 op_sel:[0,1,0]
	v_pk_fma_f16 v60, v85, v106, v60 op_sel:[0,1,0]
	v_pk_fma_f16 v61, v86, v106, v61 op_sel:[0,1,0]
	v_pk_fma_f16 v55, v88, v108, v55 op_sel:[0,1,0]
	v_pk_fma_f16 v62, v89, v107, v62 op_sel_hi:[1,0,1]
	v_pk_fma_f16 v56, v89, v108, v56 op_sel:[0,1,0]
	v_pk_fma_f16 v57, v90, v108, v57 op_sel:[0,1,0]
	;; [unrolled: 1-line block ×7, first 2 shown]
	v_pk_fma_f16 v62, v98, v109, v62 op_sel_hi:[1,0,1]
	v_pk_fma_f16 v56, v98, v110, v56 op_sel:[0,1,0]
	v_pk_fma_f16 v57, v99, v110, v57 op_sel:[0,1,0]
	v_pk_fma_f16 v58, v100, v110, v58 op_sel:[0,1,0]
	v_pk_fma_f16 v9, v73, v7, v9 op_sel_hi:[1,0,1]
	v_pk_fma_f16 v5, v75, v7, v5 op_sel:[0,1,0]
	v_pk_fma_f16 v73, v74, v7, v178 op_sel_hi:[1,0,1]
	v_pk_fma_f16 v7, v76, v105, v11 op_sel_hi:[1,0,1]
	;; [unrolled: 1-line block ×3, first 2 shown]
	v_pk_fma_f16 v67, v77, v105, v179 op_sel:[0,1,0]
	v_pk_fma_f16 v68, v77, v106, v180 op_sel_hi:[1,0,1]
	v_pk_fma_f16 v69, v78, v105, v69 op_sel_hi:[1,0,1]
	v_pk_fma_f16 v74, v78, v105, v181 op_sel:[0,1,0]
	v_pk_fma_f16 v75, v78, v106, v182 op_sel_hi:[1,0,1]
	v_pk_fma_f16 v70, v79, v105, v70 op_sel_hi:[1,0,1]
	v_pk_fma_f16 v76, v79, v105, v183 op_sel:[0,1,0]
	v_pk_fma_f16 v77, v79, v106, v184 op_sel_hi:[1,0,1]
	v_pk_fma_f16 v59, v101, v110, v59 op_sel:[0,1,0]
	v_pk_fma_f16 v60, v102, v110, v60 op_sel:[0,1,0]
	;; [unrolled: 1-line block ×4, first 2 shown]
	v_pk_fma_f16 v62, v114, v111, v62 op_sel_hi:[1,0,1]
	v_pk_fma_f16 v56, v114, v112, v56 op_sel:[0,1,0]
	v_pk_fma_f16 v57, v115, v112, v57 op_sel:[0,1,0]
	;; [unrolled: 1-line block ×3, first 2 shown]
	v_pk_fma_f16 v71, v84, v105, v71 op_sel_hi:[1,0,1]
	v_pk_fma_f16 v64, v85, v105, v64 op_sel_hi:[1,0,1]
	v_pk_fma_f16 v8, v85, v105, v8 op_sel:[0,1,0]
	v_pk_fma_f16 v9, v85, v106, v9 op_sel_hi:[1,0,1]
	v_pk_fma_f16 v65, v86, v105, v65 op_sel_hi:[1,0,1]
	;; [unrolled: 1-line block ×3, first 2 shown]
	v_pk_fma_f16 v4, v87, v105, v4 op_sel:[0,1,0]
	v_pk_fma_f16 v6, v87, v106, v6 op_sel_hi:[1,0,1]
	v_pk_fma_f16 v5, v87, v106, v5 op_sel:[0,1,0]
	v_pk_fma_f16 v72, v86, v105, v72 op_sel:[0,1,0]
	v_pk_fma_f16 v73, v86, v106, v73 op_sel_hi:[1,0,1]
	v_pk_fma_f16 v7, v88, v107, v7 op_sel_hi:[1,0,1]
	v_pk_fma_f16 v10, v88, v107, v10 op_sel:[0,1,0]
	v_pk_fma_f16 v11, v88, v108, v11 op_sel_hi:[1,0,1]
	v_pk_fma_f16 v67, v89, v107, v67 op_sel:[0,1,0]
	v_pk_fma_f16 v68, v89, v108, v68 op_sel_hi:[1,0,1]
	v_pk_fma_f16 v69, v90, v107, v69 op_sel_hi:[1,0,1]
	v_pk_fma_f16 v74, v90, v107, v74 op_sel:[0,1,0]
	v_pk_fma_f16 v75, v90, v108, v75 op_sel_hi:[1,0,1]
	;; [unrolled: 3-line block ×3, first 2 shown]
	v_pk_fma_f16 v59, v117, v112, v59 op_sel:[0,1,0]
	v_pk_fma_f16 v60, v118, v112, v60 op_sel:[0,1,0]
	;; [unrolled: 1-line block ×4, first 2 shown]
	v_pk_fma_f16 v62, v122, v145, v62 op_sel_hi:[1,0,1]
	v_pk_fma_f16 v56, v122, v146, v56 op_sel:[0,1,0]
	v_pk_fma_f16 v57, v123, v146, v57 op_sel:[0,1,0]
	;; [unrolled: 1-line block ×3, first 2 shown]
	v_pk_fma_f16 v71, v93, v107, v71 op_sel_hi:[1,0,1]
	v_pk_fma_f16 v64, v94, v107, v64 op_sel_hi:[1,0,1]
	v_pk_fma_f16 v8, v94, v107, v8 op_sel:[0,1,0]
	v_pk_fma_f16 v9, v94, v108, v9 op_sel_hi:[1,0,1]
	v_pk_fma_f16 v65, v95, v107, v65 op_sel_hi:[1,0,1]
	;; [unrolled: 1-line block ×3, first 2 shown]
	v_pk_fma_f16 v4, v96, v107, v4 op_sel:[0,1,0]
	v_pk_fma_f16 v6, v96, v108, v6 op_sel_hi:[1,0,1]
	v_pk_fma_f16 v5, v96, v108, v5 op_sel:[0,1,0]
	v_pk_fma_f16 v72, v95, v107, v72 op_sel:[0,1,0]
	v_pk_fma_f16 v73, v95, v108, v73 op_sel_hi:[1,0,1]
	v_pk_fma_f16 v7, v97, v109, v7 op_sel_hi:[1,0,1]
	v_pk_fma_f16 v10, v97, v109, v10 op_sel:[0,1,0]
	v_pk_fma_f16 v11, v97, v110, v11 op_sel_hi:[1,0,1]
	v_pk_fma_f16 v67, v98, v109, v67 op_sel:[0,1,0]
	v_pk_fma_f16 v68, v98, v110, v68 op_sel_hi:[1,0,1]
	v_pk_fma_f16 v69, v99, v109, v69 op_sel_hi:[1,0,1]
	v_pk_fma_f16 v74, v99, v109, v74 op_sel:[0,1,0]
	v_pk_fma_f16 v75, v99, v110, v75 op_sel_hi:[1,0,1]
	;; [unrolled: 3-line block ×3, first 2 shown]
	v_pk_fma_f16 v59, v125, v146, v59 op_sel:[0,1,0]
	v_pk_fma_f16 v60, v126, v146, v60 op_sel:[0,1,0]
	;; [unrolled: 1-line block ×4, first 2 shown]
	v_pk_fma_f16 v62, v130, v147, v62 op_sel_hi:[1,0,1]
	v_pk_fma_f16 v56, v130, v148, v56 op_sel:[0,1,0]
	v_pk_fma_f16 v57, v131, v148, v57 op_sel:[0,1,0]
	;; [unrolled: 1-line block ×3, first 2 shown]
	v_pk_fma_f16 v71, v101, v109, v71 op_sel_hi:[1,0,1]
	v_pk_fma_f16 v64, v102, v109, v64 op_sel_hi:[1,0,1]
	v_pk_fma_f16 v8, v102, v109, v8 op_sel:[0,1,0]
	v_pk_fma_f16 v9, v102, v110, v9 op_sel_hi:[1,0,1]
	v_pk_fma_f16 v65, v103, v109, v65 op_sel_hi:[1,0,1]
	v_pk_fma_f16 v66, v104, v109, v66 op_sel_hi:[1,0,1]
	v_pk_fma_f16 v4, v104, v109, v4 op_sel:[0,1,0]
	v_pk_fma_f16 v6, v104, v110, v6 op_sel_hi:[1,0,1]
	v_pk_fma_f16 v5, v104, v110, v5 op_sel:[0,1,0]
	v_pk_fma_f16 v78, v84, v105, v185 op_sel:[0,1,0]
	v_pk_fma_f16 v79, v84, v106, v186 op_sel_hi:[1,0,1]
	v_pk_fma_f16 v72, v103, v109, v72 op_sel:[0,1,0]
	v_pk_fma_f16 v73, v103, v110, v73 op_sel_hi:[1,0,1]
	v_pk_fma_f16 v7, v113, v111, v7 op_sel_hi:[1,0,1]
	v_pk_fma_f16 v10, v113, v111, v10 op_sel:[0,1,0]
	v_pk_fma_f16 v11, v113, v112, v11 op_sel_hi:[1,0,1]
	v_pk_fma_f16 v67, v114, v111, v67 op_sel:[0,1,0]
	v_pk_fma_f16 v68, v114, v112, v68 op_sel_hi:[1,0,1]
	v_pk_fma_f16 v69, v115, v111, v69 op_sel_hi:[1,0,1]
	v_pk_fma_f16 v74, v115, v111, v74 op_sel:[0,1,0]
	v_pk_fma_f16 v75, v115, v112, v75 op_sel_hi:[1,0,1]
	;; [unrolled: 3-line block ×3, first 2 shown]
	v_pk_fma_f16 v59, v133, v148, v59 op_sel:[0,1,0]
	v_pk_fma_f16 v60, v134, v148, v60 op_sel:[0,1,0]
	;; [unrolled: 1-line block ×4, first 2 shown]
	v_pk_fma_f16 v62, v138, v149, v62 op_sel_hi:[1,0,1]
	v_pk_fma_f16 v56, v138, v150, v56 op_sel:[0,1,0]
	v_pk_fma_f16 v57, v139, v150, v57 op_sel:[0,1,0]
	;; [unrolled: 1-line block ×3, first 2 shown]
	v_pk_fma_f16 v71, v117, v111, v71 op_sel_hi:[1,0,1]
	v_pk_fma_f16 v64, v118, v111, v64 op_sel_hi:[1,0,1]
	v_pk_fma_f16 v8, v118, v111, v8 op_sel:[0,1,0]
	v_pk_fma_f16 v9, v118, v112, v9 op_sel_hi:[1,0,1]
	v_pk_fma_f16 v65, v119, v111, v65 op_sel_hi:[1,0,1]
	;; [unrolled: 1-line block ×3, first 2 shown]
	v_pk_fma_f16 v4, v120, v111, v4 op_sel:[0,1,0]
	v_pk_fma_f16 v6, v120, v112, v6 op_sel_hi:[1,0,1]
	v_pk_fma_f16 v5, v120, v112, v5 op_sel:[0,1,0]
	v_pk_fma_f16 v78, v93, v107, v78 op_sel:[0,1,0]
	v_pk_fma_f16 v79, v93, v108, v79 op_sel_hi:[1,0,1]
	v_pk_fma_f16 v72, v119, v111, v72 op_sel:[0,1,0]
	v_pk_fma_f16 v73, v119, v112, v73 op_sel_hi:[1,0,1]
	v_pk_fma_f16 v7, v121, v145, v7 op_sel_hi:[1,0,1]
	v_pk_fma_f16 v10, v121, v145, v10 op_sel:[0,1,0]
	v_pk_fma_f16 v11, v121, v146, v11 op_sel_hi:[1,0,1]
	v_pk_fma_f16 v67, v122, v145, v67 op_sel:[0,1,0]
	v_pk_fma_f16 v68, v122, v146, v68 op_sel_hi:[1,0,1]
	v_pk_fma_f16 v69, v123, v145, v69 op_sel_hi:[1,0,1]
	v_pk_fma_f16 v74, v123, v145, v74 op_sel:[0,1,0]
	v_pk_fma_f16 v75, v123, v146, v75 op_sel_hi:[1,0,1]
	;; [unrolled: 3-line block ×3, first 2 shown]
	v_pk_fma_f16 v84, v141, v150, v59 op_sel:[0,1,0]
	v_pk_fma_f16 v85, v142, v150, v60 op_sel:[0,1,0]
	;; [unrolled: 1-line block ×4, first 2 shown]
	v_pk_fma_f16 v91, v154, v151, v62 op_sel_hi:[1,0,1]
	v_pk_fma_f16 v95, v154, v152, v56 op_sel:[0,1,0]
	v_pk_fma_f16 v97, v155, v152, v57 op_sel:[0,1,0]
	;; [unrolled: 1-line block ×3, first 2 shown]
	s_waitcnt vmcnt(3)
	ds_store_b128 v42, v[161:164]
	s_waitcnt vmcnt(2)
	ds_store_b128 v43, v[165:168]
	;; [unrolled: 2-line block ×4, first 2 shown]
	s_waitcnt lgkmcnt(0)
	s_barrier
	buffer_gl0_inv
	ds_load_2addr_b64 v[55:58], v63 offset1:32
	ds_load_b128 v[59:62], v40 offset:384
	v_pk_fma_f16 v71, v125, v145, v71 op_sel_hi:[1,0,1]
	v_pk_fma_f16 v64, v126, v145, v64 op_sel_hi:[1,0,1]
	v_pk_fma_f16 v8, v126, v145, v8 op_sel:[0,1,0]
	v_pk_fma_f16 v9, v126, v146, v9 op_sel_hi:[1,0,1]
	v_pk_fma_f16 v65, v127, v145, v65 op_sel_hi:[1,0,1]
	v_pk_fma_f16 v66, v128, v145, v66 op_sel_hi:[1,0,1]
	v_pk_fma_f16 v4, v128, v145, v4 op_sel:[0,1,0]
	v_pk_fma_f16 v6, v128, v146, v6 op_sel_hi:[1,0,1]
	v_pk_fma_f16 v5, v128, v146, v5 op_sel:[0,1,0]
	v_pk_fma_f16 v78, v101, v109, v78 op_sel:[0,1,0]
	v_pk_fma_f16 v79, v101, v110, v79 op_sel_hi:[1,0,1]
	v_pk_fma_f16 v72, v127, v145, v72 op_sel:[0,1,0]
	v_pk_fma_f16 v73, v127, v146, v73 op_sel_hi:[1,0,1]
	v_pk_fma_f16 v7, v129, v147, v7 op_sel_hi:[1,0,1]
	v_pk_fma_f16 v10, v129, v147, v10 op_sel:[0,1,0]
	v_pk_fma_f16 v11, v129, v148, v11 op_sel_hi:[1,0,1]
	v_pk_fma_f16 v67, v130, v147, v67 op_sel:[0,1,0]
	v_pk_fma_f16 v68, v130, v148, v68 op_sel_hi:[1,0,1]
	v_pk_fma_f16 v69, v131, v147, v69 op_sel_hi:[1,0,1]
	v_pk_fma_f16 v74, v131, v147, v74 op_sel:[0,1,0]
	v_pk_fma_f16 v75, v131, v148, v75 op_sel_hi:[1,0,1]
	v_pk_fma_f16 v70, v132, v147, v70 op_sel_hi:[1,0,1]
	v_pk_fma_f16 v76, v132, v147, v76 op_sel:[0,1,0]
	v_pk_fma_f16 v77, v132, v148, v77 op_sel_hi:[1,0,1]
	v_pk_fma_f16 v71, v133, v147, v71 op_sel_hi:[1,0,1]
	v_pk_fma_f16 v64, v134, v147, v64 op_sel_hi:[1,0,1]
	v_pk_fma_f16 v8, v134, v147, v8 op_sel:[0,1,0]
	v_pk_fma_f16 v9, v134, v148, v9 op_sel_hi:[1,0,1]
	v_pk_fma_f16 v65, v135, v147, v65 op_sel_hi:[1,0,1]
	v_pk_fma_f16 v66, v136, v147, v66 op_sel_hi:[1,0,1]
	v_pk_fma_f16 v4, v136, v147, v4 op_sel:[0,1,0]
	v_pk_fma_f16 v6, v136, v148, v6 op_sel_hi:[1,0,1]
	v_pk_fma_f16 v5, v136, v148, v5 op_sel:[0,1,0]
	v_pk_fma_f16 v78, v117, v111, v78 op_sel:[0,1,0]
	v_pk_fma_f16 v79, v117, v112, v79 op_sel_hi:[1,0,1]
	v_pk_fma_f16 v72, v135, v147, v72 op_sel:[0,1,0]
	v_pk_fma_f16 v73, v135, v148, v73 op_sel_hi:[1,0,1]
	v_pk_fma_f16 v7, v137, v149, v7 op_sel_hi:[1,0,1]
	v_pk_fma_f16 v10, v137, v149, v10 op_sel:[0,1,0]
	v_pk_fma_f16 v11, v137, v150, v11 op_sel_hi:[1,0,1]
	v_pk_fma_f16 v67, v138, v149, v67 op_sel:[0,1,0]
	v_pk_fma_f16 v68, v138, v150, v68 op_sel_hi:[1,0,1]
	v_pk_fma_f16 v69, v139, v149, v69 op_sel_hi:[1,0,1]
	v_pk_fma_f16 v74, v139, v149, v74 op_sel:[0,1,0]
	v_pk_fma_f16 v75, v139, v150, v75 op_sel_hi:[1,0,1]
	v_pk_fma_f16 v70, v140, v149, v70 op_sel_hi:[1,0,1]
	v_pk_fma_f16 v76, v140, v149, v76 op_sel:[0,1,0]
	v_pk_fma_f16 v77, v140, v150, v77 op_sel_hi:[1,0,1]
	;; [unrolled: 24-line block ×3, first 2 shown]
	v_pk_fma_f16 v100, v157, v151, v71 op_sel_hi:[1,0,1]
	v_pk_fma_f16 v101, v158, v151, v64 op_sel_hi:[1,0,1]
	v_pk_fma_f16 v102, v158, v151, v8 op_sel:[0,1,0]
	v_pk_fma_f16 v103, v158, v152, v9 op_sel_hi:[1,0,1]
	v_pk_fma_f16 v104, v159, v151, v65 op_sel_hi:[1,0,1]
	;; [unrolled: 1-line block ×3, first 2 shown]
	v_pk_fma_f16 v108, v160, v151, v4 op_sel:[0,1,0]
	v_pk_fma_f16 v109, v160, v152, v6 op_sel_hi:[1,0,1]
	v_pk_fma_f16 v110, v160, v152, v5 op_sel:[0,1,0]
	ds_load_2addr_b64 v[64:67], v63 offset0:64 offset1:96
	ds_load_b128 v[68:71], v40 offset:400
	ds_load_b128 v[8:11], v40 offset:416
	;; [unrolled: 1-line block ×3, first 2 shown]
	v_pk_fma_f16 v78, v133, v147, v78 op_sel:[0,1,0]
	v_pk_fma_f16 v79, v133, v148, v79 op_sel_hi:[1,0,1]
	v_pk_fma_f16 v105, v159, v151, v72 op_sel:[0,1,0]
	v_pk_fma_f16 v106, v159, v152, v73 op_sel_hi:[1,0,1]
	s_waitcnt lgkmcnt(4)
	v_pk_fma_f16 v87, v55, v59, v87 op_sel_hi:[1,0,1]
	v_pk_fma_f16 v88, v55, v59, v88 op_sel:[0,1,0]
	v_pk_fma_f16 v89, v55, v60, v89 op_sel_hi:[1,0,1]
	v_pk_fma_f16 v90, v55, v60, v90 op_sel:[0,1,0]
	v_pk_fma_f16 v91, v56, v59, v91 op_sel_hi:[1,0,1]
	v_pk_fma_f16 v93, v56, v59, v93 op_sel:[0,1,0]
	v_pk_fma_f16 v94, v56, v60, v94 op_sel_hi:[1,0,1]
	v_pk_fma_f16 v95, v56, v60, v95 op_sel:[0,1,0]
	v_pk_fma_f16 v96, v57, v59, v96 op_sel_hi:[1,0,1]
	v_pk_fma_f16 v111, v57, v59, v74 op_sel:[0,1,0]
	v_pk_fma_f16 v112, v57, v60, v75 op_sel_hi:[1,0,1]
	v_pk_fma_f16 v97, v57, v60, v97 op_sel:[0,1,0]
	v_pk_fma_f16 v98, v58, v59, v98 op_sel_hi:[1,0,1]
	v_pk_fma_f16 v76, v58, v59, v76 op_sel:[0,1,0]
	ds_load_2addr_b64 v[72:75], v63 offset0:128 offset1:160
	v_pk_fma_f16 v77, v58, v60, v77 op_sel_hi:[1,0,1]
	v_pk_fma_f16 v99, v58, v60, v99 op_sel:[0,1,0]
	ds_load_2addr_b64 v[55:58], v63 offset0:192 offset1:224
	v_pk_fma_f16 v78, v141, v149, v78 op_sel:[0,1,0]
	v_pk_fma_f16 v79, v141, v150, v79 op_sel_hi:[1,0,1]
	v_pk_fma_f16 v84, v157, v152, v84 op_sel:[0,1,0]
	v_pk_fma_f16 v85, v158, v152, v85 op_sel:[0,1,0]
	;; [unrolled: 1-line block ×4, first 2 shown]
	v_pk_fma_f16 v79, v157, v152, v79 op_sel_hi:[1,0,1]
	s_waitcnt lgkmcnt(5)
	v_pk_fma_f16 v100, v64, v59, v100 op_sel_hi:[1,0,1]
	v_pk_fma_f16 v84, v64, v60, v84 op_sel:[0,1,0]
	v_pk_fma_f16 v101, v65, v59, v101 op_sel_hi:[1,0,1]
	v_pk_fma_f16 v78, v64, v59, v78 op_sel:[0,1,0]
	;; [unrolled: 2-line block ×8, first 2 shown]
	ds_load_2addr_b64 v[64:67], v52 offset1:32
	s_waitcnt lgkmcnt(2)
	v_pk_fma_f16 v87, v72, v61, v87 op_sel_hi:[1,0,1]
	v_pk_fma_f16 v88, v72, v61, v88 op_sel:[0,1,0]
	v_pk_fma_f16 v89, v72, v62, v89 op_sel_hi:[1,0,1]
	v_pk_fma_f16 v90, v72, v62, v90 op_sel:[0,1,0]
	;; [unrolled: 2-line block ×8, first 2 shown]
	s_waitcnt lgkmcnt(1)
	v_pk_fma_f16 v100, v55, v61, v100 op_sel_hi:[1,0,1]
	v_pk_fma_f16 v78, v55, v61, v78 op_sel:[0,1,0]
	v_pk_fma_f16 v79, v55, v62, v79 op_sel_hi:[1,0,1]
	v_pk_fma_f16 v84, v55, v62, v84 op_sel:[0,1,0]
	;; [unrolled: 2-line block ×7, first 2 shown]
	ds_load_2addr_b64 v[72:75], v52 offset0:64 offset1:96
	v_pk_fma_f16 v108, v58, v62, v108 op_sel_hi:[1,0,1]
	v_pk_fma_f16 v111, v58, v62, v60 op_sel:[0,1,0]
	ds_load_2addr_b64 v[55:58], v52 offset0:128 offset1:160
	s_waitcnt lgkmcnt(2)
	v_pk_fma_f16 v87, v64, v68, v87 op_sel_hi:[1,0,1]
	v_pk_fma_f16 v88, v64, v68, v88 op_sel:[0,1,0]
	v_pk_fma_f16 v89, v64, v69, v89 op_sel_hi:[1,0,1]
	v_pk_fma_f16 v64, v64, v69, v90 op_sel:[0,1,0]
	;; [unrolled: 2-line block ×8, first 2 shown]
	s_waitcnt lgkmcnt(1)
	v_pk_fma_f16 v99, v72, v68, v100 op_sel_hi:[1,0,1]
	v_pk_fma_f16 v78, v72, v68, v78 op_sel:[0,1,0]
	v_pk_fma_f16 v79, v72, v69, v79 op_sel_hi:[1,0,1]
	v_pk_fma_f16 v72, v72, v69, v84 op_sel:[0,1,0]
	;; [unrolled: 2-line block ×7, first 2 shown]
	ds_load_2addr_b64 v[59:62], v52 offset0:192 offset1:224
	v_pk_fma_f16 v104, v75, v69, v108 op_sel_hi:[1,0,1]
	v_pk_fma_f16 v69, v75, v69, v111 op_sel:[0,1,0]
	s_waitcnt lgkmcnt(1)
	v_pk_fma_f16 v75, v55, v70, v87 op_sel_hi:[1,0,1]
	v_pk_fma_f16 v87, v55, v70, v88 op_sel:[0,1,0]
	v_pk_fma_f16 v88, v55, v71, v89 op_sel_hi:[1,0,1]
	v_pk_fma_f16 v89, v55, v71, v64 op_sel:[0,1,0]
	v_pk_fma_f16 v105, v56, v71, v65 op_sel:[0,1,0]
	;; [unrolled: 1-line block ×3, first 2 shown]
	ds_load_2addr_b64 v[64:67], v53 offset1:32
	v_pk_fma_f16 v90, v56, v70, v90 op_sel_hi:[1,0,1]
	v_pk_fma_f16 v91, v56, v70, v91 op_sel:[0,1,0]
	v_pk_fma_f16 v93, v56, v71, v93 op_sel_hi:[1,0,1]
	v_pk_fma_f16 v94, v57, v70, v94 op_sel_hi:[1,0,1]
	v_pk_fma_f16 v95, v57, v70, v95 op_sel:[0,1,0]
	v_pk_fma_f16 v96, v57, v71, v96 op_sel_hi:[1,0,1]
	;; [unrolled: 3-line block ×3, first 2 shown]
	v_pk_fma_f16 v98, v58, v71, v98 op_sel:[0,1,0]
	ds_load_2addr_b64 v[55:58], v53 offset0:64 offset1:96
	s_or_b32 s4, s13, 64
	s_waitcnt lgkmcnt(2)
	v_pk_fma_f16 v99, v59, v70, v99 op_sel_hi:[1,0,1]
	v_pk_fma_f16 v78, v59, v70, v78 op_sel:[0,1,0]
	v_pk_fma_f16 v79, v59, v71, v79 op_sel_hi:[1,0,1]
	v_pk_fma_f16 v72, v59, v71, v72 op_sel:[0,1,0]
	;; [unrolled: 2-line block ×8, first 2 shown]
	s_waitcnt lgkmcnt(1)
	v_pk_fma_f16 v71, v64, v8, v75 op_sel_hi:[1,0,1]
	v_pk_fma_f16 v75, v64, v8, v87 op_sel:[0,1,0]
	v_pk_fma_f16 v87, v64, v9, v88 op_sel_hi:[1,0,1]
	v_pk_fma_f16 v88, v64, v9, v89 op_sel:[0,1,0]
	;; [unrolled: 2-line block ×7, first 2 shown]
	ds_load_2addr_b64 v[59:62], v53 offset0:128 offset1:160
	v_pk_fma_f16 v77, v67, v9, v77 op_sel_hi:[1,0,1]
	v_pk_fma_f16 v98, v67, v9, v98 op_sel:[0,1,0]
	ds_load_2addr_b64 v[64:67], v53 offset0:192 offset1:224
	s_mul_hi_i32 s21, s4, s10
	s_mul_i32 s20, s4, s10
	s_waitcnt lgkmcnt(2)
	v_pk_fma_f16 v99, v55, v8, v99 op_sel_hi:[1,0,1]
	s_lshl_b64 s[20:21], s[20:21], 2
	v_pk_fma_f16 v78, v55, v8, v78 op_sel:[0,1,0]
	s_add_u32 s4, s11, s20
	v_pk_fma_f16 v79, v55, v9, v79 op_sel_hi:[1,0,1]
	v_pk_fma_f16 v55, v55, v9, v72 op_sel:[0,1,0]
	v_pk_fma_f16 v72, v56, v8, v84 op_sel_hi:[1,0,1]
	v_pk_fma_f16 v177, v56, v8, v100 op_sel:[0,1,0]
	;; [unrolled: 2-line block ×4, first 2 shown]
	s_addc_u32 s19, s16, s21
	v_add_co_u32 v8, vcc_lo, s4, v27
	v_pk_fma_f16 v178, v56, v9, v101 op_sel_hi:[1,0,1]
	v_pk_fma_f16 v179, v56, v9, v73 op_sel:[0,1,0]
	v_pk_fma_f16 v182, v57, v9, v103 op_sel_hi:[1,0,1]
	v_pk_fma_f16 v183, v57, v9, v74 op_sel:[0,1,0]
	;; [unrolled: 2-line block ×3, first 2 shown]
	v_add_co_ci_u32_e32 v9, vcc_lo, s19, v28, vcc_lo
	v_add_co_u32 v161, vcc_lo, s4, v29
	v_add_co_ci_u32_e32 v162, vcc_lo, s19, v30, vcc_lo
	v_add_co_u32 v8, vcc_lo, v8, v92
	s_delay_alu instid0(VALU_DEP_4) | instskip(NEXT) | instid1(VALU_DEP_4)
	v_add_co_ci_u32_e32 v9, vcc_lo, 0, v9, vcc_lo
	v_add_co_u32 v173, vcc_lo, v161, v92
	s_delay_alu instid0(VALU_DEP_4)
	v_add_co_ci_u32_e32 v174, vcc_lo, 0, v162, vcc_lo
	s_waitcnt lgkmcnt(1)
	v_pk_fma_f16 v188, v59, v10, v71 op_sel_hi:[1,0,1]
	v_pk_fma_f16 v189, v59, v10, v75 op_sel:[0,1,0]
	v_pk_fma_f16 v190, v59, v11, v87 op_sel_hi:[1,0,1]
	v_pk_fma_f16 v191, v59, v11, v88 op_sel:[0,1,0]
	;; [unrolled: 2-line block ×8, first 2 shown]
	s_waitcnt lgkmcnt(0)
	v_pk_fma_f16 v204, v64, v10, v99 op_sel_hi:[1,0,1]
	v_pk_fma_f16 v205, v64, v10, v78 op_sel:[0,1,0]
	v_pk_fma_f16 v206, v64, v11, v79 op_sel_hi:[1,0,1]
	v_pk_fma_f16 v64, v64, v11, v55 op_sel:[0,1,0]
	v_pk_fma_f16 v207, v65, v10, v72 op_sel_hi:[1,0,1]
	ds_load_2addr_b64 v[55:58], v54 offset1:32
	ds_load_2addr_b64 v[59:62], v54 offset0:64 offset1:96
	ds_load_2addr_b64 v[68:71], v54 offset0:128 offset1:160
	;; [unrolled: 1-line block ×3, first 2 shown]
	ds_load_2addr_b64 v[76:79], v51 offset1:32
	ds_load_2addr_b64 v[84:87], v51 offset0:64 offset1:96
	ds_load_2addr_b64 v[88:91], v51 offset0:128 offset1:160
	;; [unrolled: 1-line block ×3, first 2 shown]
	ds_load_2addr_b64 v[97:100], v50 offset1:32
	ds_load_2addr_b64 v[101:104], v50 offset0:64 offset1:96
	ds_load_b128 v[105:108], v40 offset:448
	ds_load_b128 v[109:112], v40 offset:464
	ds_load_2addr_b64 v[113:116], v50 offset0:128 offset1:160
	ds_load_2addr_b64 v[117:120], v50 offset0:192 offset1:224
	ds_load_2addr_b64 v[121:124], v49 offset1:32
	ds_load_2addr_b64 v[125:128], v49 offset0:64 offset1:96
	ds_load_2addr_b64 v[129:132], v49 offset0:128 offset1:160
	;; [unrolled: 1-line block ×3, first 2 shown]
	ds_load_2addr_b64 v[137:140], v48 offset1:32
	ds_load_2addr_b64 v[141:144], v48 offset0:64 offset1:96
	ds_load_b128 v[145:148], v40 offset:480
	ds_load_b128 v[149:152], v40 offset:496
	ds_load_2addr_b64 v[153:156], v48 offset0:128 offset1:160
	ds_load_2addr_b64 v[157:160], v48 offset0:192 offset1:224
	s_waitcnt lgkmcnt(0)
	s_barrier
	buffer_gl0_inv
	s_clause 0x3
	global_load_b128 v[161:164], v[8:9], off
	global_load_b128 v[165:168], v[8:9], off offset:512
	global_load_b128 v[169:172], v[173:174], off
	global_load_b128 v[173:176], v[173:174], off offset:512
	v_pk_fma_f16 v8, v65, v10, v177 op_sel:[0,1,0]
	v_pk_fma_f16 v9, v65, v11, v178 op_sel_hi:[1,0,1]
	v_pk_fma_f16 v65, v65, v11, v179 op_sel:[0,1,0]
	v_pk_fma_f16 v177, v66, v10, v180 op_sel_hi:[1,0,1]
	;; [unrolled: 2-line block ×24, first 2 shown]
	v_pk_fma_f16 v56, v69, v7, v56 op_sel:[0,1,0]
	v_pk_fma_f16 v57, v70, v7, v57 op_sel:[0,1,0]
	;; [unrolled: 1-line block ×4, first 2 shown]
	v_pk_fma_f16 v180, v69, v7, v186 op_sel_hi:[1,0,1]
	v_pk_fma_f16 v69, v70, v6, v187 op_sel_hi:[1,0,1]
	v_pk_fma_f16 v181, v70, v6, v188 op_sel:[0,1,0]
	v_pk_fma_f16 v182, v70, v7, v189 op_sel_hi:[1,0,1]
	v_pk_fma_f16 v70, v71, v6, v190 op_sel_hi:[1,0,1]
	v_pk_fma_f16 v183, v71, v6, v191 op_sel:[0,1,0]
	;; [unrolled: 3-line block ×3, first 2 shown]
	v_pk_fma_f16 v186, v72, v7, v195 op_sel_hi:[1,0,1]
	v_pk_fma_f16 v59, v72, v7, v59 op_sel:[0,1,0]
	v_pk_fma_f16 v64, v73, v6, v64 op_sel_hi:[1,0,1]
	v_pk_fma_f16 v8, v73, v6, v8 op_sel:[0,1,0]
	v_pk_fma_f16 v60, v73, v7, v60 op_sel:[0,1,0]
	v_pk_fma_f16 v65, v74, v6, v65 op_sel_hi:[1,0,1]
	v_pk_fma_f16 v72, v74, v6, v177 op_sel:[0,1,0]
	;; [unrolled: 3-line block ×3, first 2 shown]
	v_pk_fma_f16 v6, v75, v7, v10 op_sel_hi:[1,0,1]
	v_pk_fma_f16 v10, v76, v105, v62 op_sel:[0,1,0]
	v_pk_fma_f16 v55, v76, v106, v55 op_sel:[0,1,0]
	v_pk_fma_f16 v62, v77, v105, v68 op_sel_hi:[1,0,1]
	v_pk_fma_f16 v56, v77, v106, v56 op_sel:[0,1,0]
	v_pk_fma_f16 v57, v78, v106, v57 op_sel:[0,1,0]
	;; [unrolled: 1-line block ×7, first 2 shown]
	v_pk_fma_f16 v62, v89, v107, v62 op_sel_hi:[1,0,1]
	v_pk_fma_f16 v56, v89, v108, v56 op_sel:[0,1,0]
	v_pk_fma_f16 v57, v90, v108, v57 op_sel:[0,1,0]
	;; [unrolled: 1-line block ×7, first 2 shown]
	v_pk_fma_f16 v62, v98, v109, v62 op_sel_hi:[1,0,1]
	v_pk_fma_f16 v56, v98, v110, v56 op_sel:[0,1,0]
	v_pk_fma_f16 v57, v99, v110, v57 op_sel:[0,1,0]
	v_pk_fma_f16 v58, v100, v110, v58 op_sel:[0,1,0]
	v_pk_fma_f16 v9, v73, v7, v9 op_sel_hi:[1,0,1]
	v_pk_fma_f16 v5, v75, v7, v5 op_sel:[0,1,0]
	v_pk_fma_f16 v73, v74, v7, v178 op_sel_hi:[1,0,1]
	v_pk_fma_f16 v7, v76, v105, v11 op_sel_hi:[1,0,1]
	;; [unrolled: 1-line block ×3, first 2 shown]
	v_pk_fma_f16 v67, v77, v105, v179 op_sel:[0,1,0]
	v_pk_fma_f16 v68, v77, v106, v180 op_sel_hi:[1,0,1]
	v_pk_fma_f16 v69, v78, v105, v69 op_sel_hi:[1,0,1]
	v_pk_fma_f16 v74, v78, v105, v181 op_sel:[0,1,0]
	v_pk_fma_f16 v75, v78, v106, v182 op_sel_hi:[1,0,1]
	v_pk_fma_f16 v70, v79, v105, v70 op_sel_hi:[1,0,1]
	v_pk_fma_f16 v76, v79, v105, v183 op_sel:[0,1,0]
	v_pk_fma_f16 v77, v79, v106, v184 op_sel_hi:[1,0,1]
	v_pk_fma_f16 v59, v101, v110, v59 op_sel:[0,1,0]
	v_pk_fma_f16 v60, v102, v110, v60 op_sel:[0,1,0]
	;; [unrolled: 1-line block ×4, first 2 shown]
	v_pk_fma_f16 v62, v114, v111, v62 op_sel_hi:[1,0,1]
	v_pk_fma_f16 v56, v114, v112, v56 op_sel:[0,1,0]
	v_pk_fma_f16 v57, v115, v112, v57 op_sel:[0,1,0]
	;; [unrolled: 1-line block ×3, first 2 shown]
	v_pk_fma_f16 v71, v84, v105, v71 op_sel_hi:[1,0,1]
	v_pk_fma_f16 v64, v85, v105, v64 op_sel_hi:[1,0,1]
	v_pk_fma_f16 v8, v85, v105, v8 op_sel:[0,1,0]
	v_pk_fma_f16 v9, v85, v106, v9 op_sel_hi:[1,0,1]
	v_pk_fma_f16 v65, v86, v105, v65 op_sel_hi:[1,0,1]
	;; [unrolled: 1-line block ×3, first 2 shown]
	v_pk_fma_f16 v4, v87, v105, v4 op_sel:[0,1,0]
	v_pk_fma_f16 v6, v87, v106, v6 op_sel_hi:[1,0,1]
	v_pk_fma_f16 v5, v87, v106, v5 op_sel:[0,1,0]
	v_pk_fma_f16 v72, v86, v105, v72 op_sel:[0,1,0]
	v_pk_fma_f16 v73, v86, v106, v73 op_sel_hi:[1,0,1]
	v_pk_fma_f16 v7, v88, v107, v7 op_sel_hi:[1,0,1]
	v_pk_fma_f16 v10, v88, v107, v10 op_sel:[0,1,0]
	v_pk_fma_f16 v11, v88, v108, v11 op_sel_hi:[1,0,1]
	v_pk_fma_f16 v67, v89, v107, v67 op_sel:[0,1,0]
	v_pk_fma_f16 v68, v89, v108, v68 op_sel_hi:[1,0,1]
	v_pk_fma_f16 v69, v90, v107, v69 op_sel_hi:[1,0,1]
	v_pk_fma_f16 v74, v90, v107, v74 op_sel:[0,1,0]
	v_pk_fma_f16 v75, v90, v108, v75 op_sel_hi:[1,0,1]
	;; [unrolled: 3-line block ×3, first 2 shown]
	v_pk_fma_f16 v59, v117, v112, v59 op_sel:[0,1,0]
	v_pk_fma_f16 v60, v118, v112, v60 op_sel:[0,1,0]
	;; [unrolled: 1-line block ×4, first 2 shown]
	v_pk_fma_f16 v62, v122, v145, v62 op_sel_hi:[1,0,1]
	v_pk_fma_f16 v56, v122, v146, v56 op_sel:[0,1,0]
	v_pk_fma_f16 v57, v123, v146, v57 op_sel:[0,1,0]
	;; [unrolled: 1-line block ×3, first 2 shown]
	v_pk_fma_f16 v71, v93, v107, v71 op_sel_hi:[1,0,1]
	v_pk_fma_f16 v64, v94, v107, v64 op_sel_hi:[1,0,1]
	v_pk_fma_f16 v8, v94, v107, v8 op_sel:[0,1,0]
	v_pk_fma_f16 v9, v94, v108, v9 op_sel_hi:[1,0,1]
	v_pk_fma_f16 v65, v95, v107, v65 op_sel_hi:[1,0,1]
	;; [unrolled: 1-line block ×3, first 2 shown]
	v_pk_fma_f16 v4, v96, v107, v4 op_sel:[0,1,0]
	v_pk_fma_f16 v6, v96, v108, v6 op_sel_hi:[1,0,1]
	v_pk_fma_f16 v5, v96, v108, v5 op_sel:[0,1,0]
	v_pk_fma_f16 v72, v95, v107, v72 op_sel:[0,1,0]
	v_pk_fma_f16 v73, v95, v108, v73 op_sel_hi:[1,0,1]
	v_pk_fma_f16 v7, v97, v109, v7 op_sel_hi:[1,0,1]
	v_pk_fma_f16 v10, v97, v109, v10 op_sel:[0,1,0]
	v_pk_fma_f16 v11, v97, v110, v11 op_sel_hi:[1,0,1]
	v_pk_fma_f16 v67, v98, v109, v67 op_sel:[0,1,0]
	v_pk_fma_f16 v68, v98, v110, v68 op_sel_hi:[1,0,1]
	v_pk_fma_f16 v69, v99, v109, v69 op_sel_hi:[1,0,1]
	v_pk_fma_f16 v74, v99, v109, v74 op_sel:[0,1,0]
	v_pk_fma_f16 v75, v99, v110, v75 op_sel_hi:[1,0,1]
	;; [unrolled: 3-line block ×3, first 2 shown]
	v_pk_fma_f16 v59, v125, v146, v59 op_sel:[0,1,0]
	v_pk_fma_f16 v60, v126, v146, v60 op_sel:[0,1,0]
	;; [unrolled: 1-line block ×4, first 2 shown]
	v_pk_fma_f16 v62, v130, v147, v62 op_sel_hi:[1,0,1]
	v_pk_fma_f16 v56, v130, v148, v56 op_sel:[0,1,0]
	v_pk_fma_f16 v57, v131, v148, v57 op_sel:[0,1,0]
	;; [unrolled: 1-line block ×3, first 2 shown]
	v_pk_fma_f16 v71, v101, v109, v71 op_sel_hi:[1,0,1]
	v_pk_fma_f16 v64, v102, v109, v64 op_sel_hi:[1,0,1]
	v_pk_fma_f16 v8, v102, v109, v8 op_sel:[0,1,0]
	v_pk_fma_f16 v9, v102, v110, v9 op_sel_hi:[1,0,1]
	v_pk_fma_f16 v65, v103, v109, v65 op_sel_hi:[1,0,1]
	;; [unrolled: 1-line block ×3, first 2 shown]
	v_pk_fma_f16 v4, v104, v109, v4 op_sel:[0,1,0]
	v_pk_fma_f16 v6, v104, v110, v6 op_sel_hi:[1,0,1]
	v_pk_fma_f16 v5, v104, v110, v5 op_sel:[0,1,0]
	v_pk_fma_f16 v78, v84, v105, v185 op_sel:[0,1,0]
	v_pk_fma_f16 v79, v84, v106, v186 op_sel_hi:[1,0,1]
	v_pk_fma_f16 v72, v103, v109, v72 op_sel:[0,1,0]
	v_pk_fma_f16 v73, v103, v110, v73 op_sel_hi:[1,0,1]
	v_pk_fma_f16 v7, v113, v111, v7 op_sel_hi:[1,0,1]
	v_pk_fma_f16 v10, v113, v111, v10 op_sel:[0,1,0]
	v_pk_fma_f16 v11, v113, v112, v11 op_sel_hi:[1,0,1]
	v_pk_fma_f16 v67, v114, v111, v67 op_sel:[0,1,0]
	v_pk_fma_f16 v68, v114, v112, v68 op_sel_hi:[1,0,1]
	v_pk_fma_f16 v69, v115, v111, v69 op_sel_hi:[1,0,1]
	v_pk_fma_f16 v74, v115, v111, v74 op_sel:[0,1,0]
	v_pk_fma_f16 v75, v115, v112, v75 op_sel_hi:[1,0,1]
	;; [unrolled: 3-line block ×3, first 2 shown]
	v_pk_fma_f16 v59, v133, v148, v59 op_sel:[0,1,0]
	v_pk_fma_f16 v60, v134, v148, v60 op_sel:[0,1,0]
	;; [unrolled: 1-line block ×4, first 2 shown]
	v_pk_fma_f16 v62, v138, v149, v62 op_sel_hi:[1,0,1]
	v_pk_fma_f16 v56, v138, v150, v56 op_sel:[0,1,0]
	v_pk_fma_f16 v57, v139, v150, v57 op_sel:[0,1,0]
	;; [unrolled: 1-line block ×3, first 2 shown]
	v_pk_fma_f16 v71, v117, v111, v71 op_sel_hi:[1,0,1]
	v_pk_fma_f16 v64, v118, v111, v64 op_sel_hi:[1,0,1]
	v_pk_fma_f16 v8, v118, v111, v8 op_sel:[0,1,0]
	v_pk_fma_f16 v9, v118, v112, v9 op_sel_hi:[1,0,1]
	v_pk_fma_f16 v65, v119, v111, v65 op_sel_hi:[1,0,1]
	;; [unrolled: 1-line block ×3, first 2 shown]
	v_pk_fma_f16 v4, v120, v111, v4 op_sel:[0,1,0]
	v_pk_fma_f16 v6, v120, v112, v6 op_sel_hi:[1,0,1]
	v_pk_fma_f16 v5, v120, v112, v5 op_sel:[0,1,0]
	v_pk_fma_f16 v78, v93, v107, v78 op_sel:[0,1,0]
	v_pk_fma_f16 v79, v93, v108, v79 op_sel_hi:[1,0,1]
	v_pk_fma_f16 v72, v119, v111, v72 op_sel:[0,1,0]
	v_pk_fma_f16 v73, v119, v112, v73 op_sel_hi:[1,0,1]
	v_pk_fma_f16 v7, v121, v145, v7 op_sel_hi:[1,0,1]
	v_pk_fma_f16 v10, v121, v145, v10 op_sel:[0,1,0]
	v_pk_fma_f16 v11, v121, v146, v11 op_sel_hi:[1,0,1]
	v_pk_fma_f16 v67, v122, v145, v67 op_sel:[0,1,0]
	v_pk_fma_f16 v68, v122, v146, v68 op_sel_hi:[1,0,1]
	v_pk_fma_f16 v69, v123, v145, v69 op_sel_hi:[1,0,1]
	v_pk_fma_f16 v74, v123, v145, v74 op_sel:[0,1,0]
	v_pk_fma_f16 v75, v123, v146, v75 op_sel_hi:[1,0,1]
	;; [unrolled: 3-line block ×3, first 2 shown]
	v_pk_fma_f16 v84, v141, v150, v59 op_sel:[0,1,0]
	v_pk_fma_f16 v85, v142, v150, v60 op_sel:[0,1,0]
	;; [unrolled: 1-line block ×4, first 2 shown]
	v_pk_fma_f16 v91, v154, v151, v62 op_sel_hi:[1,0,1]
	v_pk_fma_f16 v95, v154, v152, v56 op_sel:[0,1,0]
	v_pk_fma_f16 v97, v155, v152, v57 op_sel:[0,1,0]
	;; [unrolled: 1-line block ×3, first 2 shown]
	s_waitcnt vmcnt(3)
	ds_store_b128 v42, v[161:164]
	s_waitcnt vmcnt(2)
	ds_store_b128 v43, v[165:168]
	;; [unrolled: 2-line block ×4, first 2 shown]
	s_waitcnt lgkmcnt(0)
	s_barrier
	buffer_gl0_inv
	ds_load_2addr_b64 v[55:58], v63 offset1:32
	ds_load_b128 v[59:62], v40 offset:512
	v_pk_fma_f16 v71, v125, v145, v71 op_sel_hi:[1,0,1]
	v_pk_fma_f16 v64, v126, v145, v64 op_sel_hi:[1,0,1]
	v_pk_fma_f16 v8, v126, v145, v8 op_sel:[0,1,0]
	v_pk_fma_f16 v9, v126, v146, v9 op_sel_hi:[1,0,1]
	v_pk_fma_f16 v65, v127, v145, v65 op_sel_hi:[1,0,1]
	v_pk_fma_f16 v66, v128, v145, v66 op_sel_hi:[1,0,1]
	v_pk_fma_f16 v4, v128, v145, v4 op_sel:[0,1,0]
	v_pk_fma_f16 v6, v128, v146, v6 op_sel_hi:[1,0,1]
	v_pk_fma_f16 v5, v128, v146, v5 op_sel:[0,1,0]
	v_pk_fma_f16 v78, v101, v109, v78 op_sel:[0,1,0]
	v_pk_fma_f16 v79, v101, v110, v79 op_sel_hi:[1,0,1]
	v_pk_fma_f16 v72, v127, v145, v72 op_sel:[0,1,0]
	v_pk_fma_f16 v73, v127, v146, v73 op_sel_hi:[1,0,1]
	v_pk_fma_f16 v7, v129, v147, v7 op_sel_hi:[1,0,1]
	v_pk_fma_f16 v10, v129, v147, v10 op_sel:[0,1,0]
	v_pk_fma_f16 v11, v129, v148, v11 op_sel_hi:[1,0,1]
	v_pk_fma_f16 v67, v130, v147, v67 op_sel:[0,1,0]
	v_pk_fma_f16 v68, v130, v148, v68 op_sel_hi:[1,0,1]
	v_pk_fma_f16 v69, v131, v147, v69 op_sel_hi:[1,0,1]
	v_pk_fma_f16 v74, v131, v147, v74 op_sel:[0,1,0]
	v_pk_fma_f16 v75, v131, v148, v75 op_sel_hi:[1,0,1]
	v_pk_fma_f16 v70, v132, v147, v70 op_sel_hi:[1,0,1]
	v_pk_fma_f16 v76, v132, v147, v76 op_sel:[0,1,0]
	v_pk_fma_f16 v77, v132, v148, v77 op_sel_hi:[1,0,1]
	v_pk_fma_f16 v71, v133, v147, v71 op_sel_hi:[1,0,1]
	v_pk_fma_f16 v64, v134, v147, v64 op_sel_hi:[1,0,1]
	v_pk_fma_f16 v8, v134, v147, v8 op_sel:[0,1,0]
	v_pk_fma_f16 v9, v134, v148, v9 op_sel_hi:[1,0,1]
	v_pk_fma_f16 v65, v135, v147, v65 op_sel_hi:[1,0,1]
	v_pk_fma_f16 v66, v136, v147, v66 op_sel_hi:[1,0,1]
	v_pk_fma_f16 v4, v136, v147, v4 op_sel:[0,1,0]
	v_pk_fma_f16 v6, v136, v148, v6 op_sel_hi:[1,0,1]
	v_pk_fma_f16 v5, v136, v148, v5 op_sel:[0,1,0]
	v_pk_fma_f16 v78, v117, v111, v78 op_sel:[0,1,0]
	v_pk_fma_f16 v79, v117, v112, v79 op_sel_hi:[1,0,1]
	v_pk_fma_f16 v72, v135, v147, v72 op_sel:[0,1,0]
	v_pk_fma_f16 v73, v135, v148, v73 op_sel_hi:[1,0,1]
	v_pk_fma_f16 v7, v137, v149, v7 op_sel_hi:[1,0,1]
	v_pk_fma_f16 v10, v137, v149, v10 op_sel:[0,1,0]
	v_pk_fma_f16 v11, v137, v150, v11 op_sel_hi:[1,0,1]
	v_pk_fma_f16 v67, v138, v149, v67 op_sel:[0,1,0]
	v_pk_fma_f16 v68, v138, v150, v68 op_sel_hi:[1,0,1]
	v_pk_fma_f16 v69, v139, v149, v69 op_sel_hi:[1,0,1]
	v_pk_fma_f16 v74, v139, v149, v74 op_sel:[0,1,0]
	v_pk_fma_f16 v75, v139, v150, v75 op_sel_hi:[1,0,1]
	v_pk_fma_f16 v70, v140, v149, v70 op_sel_hi:[1,0,1]
	v_pk_fma_f16 v76, v140, v149, v76 op_sel:[0,1,0]
	v_pk_fma_f16 v77, v140, v150, v77 op_sel_hi:[1,0,1]
	;; [unrolled: 24-line block ×3, first 2 shown]
	v_pk_fma_f16 v100, v157, v151, v71 op_sel_hi:[1,0,1]
	v_pk_fma_f16 v101, v158, v151, v64 op_sel_hi:[1,0,1]
	v_pk_fma_f16 v102, v158, v151, v8 op_sel:[0,1,0]
	v_pk_fma_f16 v103, v158, v152, v9 op_sel_hi:[1,0,1]
	v_pk_fma_f16 v104, v159, v151, v65 op_sel_hi:[1,0,1]
	;; [unrolled: 1-line block ×3, first 2 shown]
	v_pk_fma_f16 v108, v160, v151, v4 op_sel:[0,1,0]
	v_pk_fma_f16 v109, v160, v152, v6 op_sel_hi:[1,0,1]
	v_pk_fma_f16 v110, v160, v152, v5 op_sel:[0,1,0]
	ds_load_2addr_b64 v[64:67], v63 offset0:64 offset1:96
	ds_load_b128 v[68:71], v40 offset:528
	ds_load_b128 v[8:11], v40 offset:544
	;; [unrolled: 1-line block ×3, first 2 shown]
	v_pk_fma_f16 v78, v133, v147, v78 op_sel:[0,1,0]
	v_pk_fma_f16 v79, v133, v148, v79 op_sel_hi:[1,0,1]
	v_pk_fma_f16 v105, v159, v151, v72 op_sel:[0,1,0]
	v_pk_fma_f16 v106, v159, v152, v73 op_sel_hi:[1,0,1]
	s_waitcnt lgkmcnt(4)
	v_pk_fma_f16 v87, v55, v59, v87 op_sel_hi:[1,0,1]
	v_pk_fma_f16 v88, v55, v59, v88 op_sel:[0,1,0]
	v_pk_fma_f16 v89, v55, v60, v89 op_sel_hi:[1,0,1]
	v_pk_fma_f16 v90, v55, v60, v90 op_sel:[0,1,0]
	;; [unrolled: 2-line block ×7, first 2 shown]
	ds_load_2addr_b64 v[72:75], v63 offset0:128 offset1:160
	v_pk_fma_f16 v77, v58, v60, v77 op_sel_hi:[1,0,1]
	v_pk_fma_f16 v99, v58, v60, v99 op_sel:[0,1,0]
	ds_load_2addr_b64 v[55:58], v63 offset0:192 offset1:224
	v_pk_fma_f16 v78, v141, v149, v78 op_sel:[0,1,0]
	v_pk_fma_f16 v79, v141, v150, v79 op_sel_hi:[1,0,1]
	v_pk_fma_f16 v84, v157, v152, v84 op_sel:[0,1,0]
	v_pk_fma_f16 v85, v158, v152, v85 op_sel:[0,1,0]
	v_pk_fma_f16 v86, v159, v152, v86 op_sel:[0,1,0]
	v_pk_fma_f16 v78, v157, v151, v78 op_sel:[0,1,0]
	v_pk_fma_f16 v79, v157, v152, v79 op_sel_hi:[1,0,1]
	s_waitcnt lgkmcnt(5)
	v_pk_fma_f16 v100, v64, v59, v100 op_sel_hi:[1,0,1]
	v_pk_fma_f16 v84, v64, v60, v84 op_sel:[0,1,0]
	v_pk_fma_f16 v101, v65, v59, v101 op_sel_hi:[1,0,1]
	v_pk_fma_f16 v78, v64, v59, v78 op_sel:[0,1,0]
	;; [unrolled: 2-line block ×8, first 2 shown]
	ds_load_2addr_b64 v[64:67], v52 offset1:32
	s_waitcnt lgkmcnt(2)
	v_pk_fma_f16 v87, v72, v61, v87 op_sel_hi:[1,0,1]
	v_pk_fma_f16 v88, v72, v61, v88 op_sel:[0,1,0]
	v_pk_fma_f16 v89, v72, v62, v89 op_sel_hi:[1,0,1]
	v_pk_fma_f16 v90, v72, v62, v90 op_sel:[0,1,0]
	;; [unrolled: 2-line block ×8, first 2 shown]
	s_waitcnt lgkmcnt(1)
	v_pk_fma_f16 v100, v55, v61, v100 op_sel_hi:[1,0,1]
	v_pk_fma_f16 v78, v55, v61, v78 op_sel:[0,1,0]
	v_pk_fma_f16 v79, v55, v62, v79 op_sel_hi:[1,0,1]
	v_pk_fma_f16 v84, v55, v62, v84 op_sel:[0,1,0]
	;; [unrolled: 2-line block ×7, first 2 shown]
	ds_load_2addr_b64 v[72:75], v52 offset0:64 offset1:96
	v_pk_fma_f16 v108, v58, v62, v108 op_sel_hi:[1,0,1]
	v_pk_fma_f16 v111, v58, v62, v60 op_sel:[0,1,0]
	ds_load_2addr_b64 v[55:58], v52 offset0:128 offset1:160
	s_waitcnt lgkmcnt(2)
	v_pk_fma_f16 v87, v64, v68, v87 op_sel_hi:[1,0,1]
	v_pk_fma_f16 v88, v64, v68, v88 op_sel:[0,1,0]
	v_pk_fma_f16 v89, v64, v69, v89 op_sel_hi:[1,0,1]
	v_pk_fma_f16 v64, v64, v69, v90 op_sel:[0,1,0]
	;; [unrolled: 2-line block ×8, first 2 shown]
	s_waitcnt lgkmcnt(1)
	v_pk_fma_f16 v99, v72, v68, v100 op_sel_hi:[1,0,1]
	v_pk_fma_f16 v78, v72, v68, v78 op_sel:[0,1,0]
	v_pk_fma_f16 v79, v72, v69, v79 op_sel_hi:[1,0,1]
	v_pk_fma_f16 v72, v72, v69, v84 op_sel:[0,1,0]
	;; [unrolled: 2-line block ×7, first 2 shown]
	ds_load_2addr_b64 v[59:62], v52 offset0:192 offset1:224
	v_pk_fma_f16 v104, v75, v69, v108 op_sel_hi:[1,0,1]
	v_pk_fma_f16 v69, v75, v69, v111 op_sel:[0,1,0]
	s_waitcnt lgkmcnt(1)
	v_pk_fma_f16 v75, v55, v70, v87 op_sel_hi:[1,0,1]
	v_pk_fma_f16 v87, v55, v70, v88 op_sel:[0,1,0]
	v_pk_fma_f16 v88, v55, v71, v89 op_sel_hi:[1,0,1]
	v_pk_fma_f16 v89, v55, v71, v64 op_sel:[0,1,0]
	v_pk_fma_f16 v105, v56, v71, v65 op_sel:[0,1,0]
	;; [unrolled: 1-line block ×3, first 2 shown]
	ds_load_2addr_b64 v[64:67], v53 offset1:32
	v_pk_fma_f16 v90, v56, v70, v90 op_sel_hi:[1,0,1]
	v_pk_fma_f16 v91, v56, v70, v91 op_sel:[0,1,0]
	v_pk_fma_f16 v93, v56, v71, v93 op_sel_hi:[1,0,1]
	v_pk_fma_f16 v94, v57, v70, v94 op_sel_hi:[1,0,1]
	v_pk_fma_f16 v95, v57, v70, v95 op_sel:[0,1,0]
	v_pk_fma_f16 v96, v57, v71, v96 op_sel_hi:[1,0,1]
	;; [unrolled: 3-line block ×3, first 2 shown]
	v_pk_fma_f16 v98, v58, v71, v98 op_sel:[0,1,0]
	ds_load_2addr_b64 v[55:58], v53 offset0:64 offset1:96
	s_or_b32 s4, s13, 0x50
	s_waitcnt lgkmcnt(2)
	v_pk_fma_f16 v99, v59, v70, v99 op_sel_hi:[1,0,1]
	v_pk_fma_f16 v78, v59, v70, v78 op_sel:[0,1,0]
	v_pk_fma_f16 v79, v59, v71, v79 op_sel_hi:[1,0,1]
	v_pk_fma_f16 v72, v59, v71, v72 op_sel:[0,1,0]
	;; [unrolled: 2-line block ×8, first 2 shown]
	s_waitcnt lgkmcnt(1)
	v_pk_fma_f16 v71, v64, v8, v75 op_sel_hi:[1,0,1]
	v_pk_fma_f16 v75, v64, v8, v87 op_sel:[0,1,0]
	v_pk_fma_f16 v87, v64, v9, v88 op_sel_hi:[1,0,1]
	v_pk_fma_f16 v88, v64, v9, v89 op_sel:[0,1,0]
	;; [unrolled: 2-line block ×7, first 2 shown]
	ds_load_2addr_b64 v[59:62], v53 offset0:128 offset1:160
	v_pk_fma_f16 v77, v67, v9, v77 op_sel_hi:[1,0,1]
	v_pk_fma_f16 v98, v67, v9, v98 op_sel:[0,1,0]
	ds_load_2addr_b64 v[64:67], v53 offset0:192 offset1:224
	s_mul_hi_i32 s21, s4, s10
	s_mul_i32 s20, s4, s10
	s_waitcnt lgkmcnt(2)
	v_pk_fma_f16 v99, v55, v8, v99 op_sel_hi:[1,0,1]
	s_lshl_b64 s[20:21], s[20:21], 2
	v_pk_fma_f16 v78, v55, v8, v78 op_sel:[0,1,0]
	s_add_u32 s4, s11, s20
	v_pk_fma_f16 v79, v55, v9, v79 op_sel_hi:[1,0,1]
	v_pk_fma_f16 v55, v55, v9, v72 op_sel:[0,1,0]
	v_pk_fma_f16 v72, v56, v8, v84 op_sel_hi:[1,0,1]
	v_pk_fma_f16 v177, v56, v8, v100 op_sel:[0,1,0]
	;; [unrolled: 2-line block ×4, first 2 shown]
	s_addc_u32 s19, s16, s21
	v_add_co_u32 v8, vcc_lo, s4, v27
	v_pk_fma_f16 v178, v56, v9, v101 op_sel_hi:[1,0,1]
	v_pk_fma_f16 v179, v56, v9, v73 op_sel:[0,1,0]
	v_pk_fma_f16 v182, v57, v9, v103 op_sel_hi:[1,0,1]
	v_pk_fma_f16 v183, v57, v9, v74 op_sel:[0,1,0]
	;; [unrolled: 2-line block ×3, first 2 shown]
	v_add_co_ci_u32_e32 v9, vcc_lo, s19, v28, vcc_lo
	v_add_co_u32 v161, vcc_lo, s4, v29
	v_add_co_ci_u32_e32 v162, vcc_lo, s19, v30, vcc_lo
	v_add_co_u32 v8, vcc_lo, v8, v92
	s_delay_alu instid0(VALU_DEP_4) | instskip(NEXT) | instid1(VALU_DEP_4)
	v_add_co_ci_u32_e32 v9, vcc_lo, 0, v9, vcc_lo
	v_add_co_u32 v173, vcc_lo, v161, v92
	s_delay_alu instid0(VALU_DEP_4)
	v_add_co_ci_u32_e32 v174, vcc_lo, 0, v162, vcc_lo
	s_waitcnt lgkmcnt(1)
	v_pk_fma_f16 v188, v59, v10, v71 op_sel_hi:[1,0,1]
	v_pk_fma_f16 v189, v59, v10, v75 op_sel:[0,1,0]
	v_pk_fma_f16 v190, v59, v11, v87 op_sel_hi:[1,0,1]
	v_pk_fma_f16 v191, v59, v11, v88 op_sel:[0,1,0]
	;; [unrolled: 2-line block ×8, first 2 shown]
	s_waitcnt lgkmcnt(0)
	v_pk_fma_f16 v204, v64, v10, v99 op_sel_hi:[1,0,1]
	v_pk_fma_f16 v205, v64, v10, v78 op_sel:[0,1,0]
	v_pk_fma_f16 v206, v64, v11, v79 op_sel_hi:[1,0,1]
	v_pk_fma_f16 v64, v64, v11, v55 op_sel:[0,1,0]
	v_pk_fma_f16 v207, v65, v10, v72 op_sel_hi:[1,0,1]
	ds_load_2addr_b64 v[55:58], v54 offset1:32
	ds_load_2addr_b64 v[59:62], v54 offset0:64 offset1:96
	ds_load_2addr_b64 v[68:71], v54 offset0:128 offset1:160
	ds_load_2addr_b64 v[72:75], v54 offset0:192 offset1:224
	ds_load_2addr_b64 v[76:79], v51 offset1:32
	ds_load_2addr_b64 v[84:87], v51 offset0:64 offset1:96
	ds_load_2addr_b64 v[88:91], v51 offset0:128 offset1:160
	;; [unrolled: 1-line block ×3, first 2 shown]
	ds_load_2addr_b64 v[97:100], v50 offset1:32
	ds_load_2addr_b64 v[101:104], v50 offset0:64 offset1:96
	ds_load_b128 v[105:108], v40 offset:576
	ds_load_b128 v[109:112], v40 offset:592
	ds_load_2addr_b64 v[113:116], v50 offset0:128 offset1:160
	ds_load_2addr_b64 v[117:120], v50 offset0:192 offset1:224
	ds_load_2addr_b64 v[121:124], v49 offset1:32
	ds_load_2addr_b64 v[125:128], v49 offset0:64 offset1:96
	ds_load_2addr_b64 v[129:132], v49 offset0:128 offset1:160
	;; [unrolled: 1-line block ×3, first 2 shown]
	ds_load_2addr_b64 v[137:140], v48 offset1:32
	ds_load_2addr_b64 v[141:144], v48 offset0:64 offset1:96
	ds_load_b128 v[145:148], v40 offset:608
	ds_load_b128 v[149:152], v40 offset:624
	ds_load_2addr_b64 v[153:156], v48 offset0:128 offset1:160
	ds_load_2addr_b64 v[157:160], v48 offset0:192 offset1:224
	s_waitcnt lgkmcnt(0)
	s_barrier
	buffer_gl0_inv
	s_clause 0x3
	global_load_b128 v[161:164], v[8:9], off
	global_load_b128 v[165:168], v[8:9], off offset:512
	global_load_b128 v[169:172], v[173:174], off
	global_load_b128 v[173:176], v[173:174], off offset:512
	v_pk_fma_f16 v8, v65, v10, v177 op_sel:[0,1,0]
	v_pk_fma_f16 v9, v65, v11, v178 op_sel_hi:[1,0,1]
	v_pk_fma_f16 v65, v65, v11, v179 op_sel:[0,1,0]
	v_pk_fma_f16 v177, v66, v10, v180 op_sel_hi:[1,0,1]
	;; [unrolled: 2-line block ×24, first 2 shown]
	v_pk_fma_f16 v56, v69, v7, v56 op_sel:[0,1,0]
	v_pk_fma_f16 v57, v70, v7, v57 op_sel:[0,1,0]
	;; [unrolled: 1-line block ×4, first 2 shown]
	v_pk_fma_f16 v180, v69, v7, v186 op_sel_hi:[1,0,1]
	v_pk_fma_f16 v69, v70, v6, v187 op_sel_hi:[1,0,1]
	v_pk_fma_f16 v181, v70, v6, v188 op_sel:[0,1,0]
	v_pk_fma_f16 v182, v70, v7, v189 op_sel_hi:[1,0,1]
	v_pk_fma_f16 v70, v71, v6, v190 op_sel_hi:[1,0,1]
	v_pk_fma_f16 v183, v71, v6, v191 op_sel:[0,1,0]
	;; [unrolled: 3-line block ×3, first 2 shown]
	v_pk_fma_f16 v186, v72, v7, v195 op_sel_hi:[1,0,1]
	v_pk_fma_f16 v59, v72, v7, v59 op_sel:[0,1,0]
	v_pk_fma_f16 v64, v73, v6, v64 op_sel_hi:[1,0,1]
	v_pk_fma_f16 v8, v73, v6, v8 op_sel:[0,1,0]
	v_pk_fma_f16 v60, v73, v7, v60 op_sel:[0,1,0]
	v_pk_fma_f16 v65, v74, v6, v65 op_sel_hi:[1,0,1]
	v_pk_fma_f16 v72, v74, v6, v177 op_sel:[0,1,0]
	;; [unrolled: 3-line block ×3, first 2 shown]
	v_pk_fma_f16 v6, v75, v7, v10 op_sel_hi:[1,0,1]
	v_pk_fma_f16 v10, v76, v105, v62 op_sel:[0,1,0]
	v_pk_fma_f16 v55, v76, v106, v55 op_sel:[0,1,0]
	v_pk_fma_f16 v62, v77, v105, v68 op_sel_hi:[1,0,1]
	v_pk_fma_f16 v56, v77, v106, v56 op_sel:[0,1,0]
	v_pk_fma_f16 v57, v78, v106, v57 op_sel:[0,1,0]
	;; [unrolled: 1-line block ×7, first 2 shown]
	v_pk_fma_f16 v62, v89, v107, v62 op_sel_hi:[1,0,1]
	v_pk_fma_f16 v56, v89, v108, v56 op_sel:[0,1,0]
	v_pk_fma_f16 v57, v90, v108, v57 op_sel:[0,1,0]
	;; [unrolled: 1-line block ×7, first 2 shown]
	v_pk_fma_f16 v62, v98, v109, v62 op_sel_hi:[1,0,1]
	v_pk_fma_f16 v56, v98, v110, v56 op_sel:[0,1,0]
	v_pk_fma_f16 v57, v99, v110, v57 op_sel:[0,1,0]
	;; [unrolled: 1-line block ×3, first 2 shown]
	v_pk_fma_f16 v9, v73, v7, v9 op_sel_hi:[1,0,1]
	v_pk_fma_f16 v5, v75, v7, v5 op_sel:[0,1,0]
	v_pk_fma_f16 v73, v74, v7, v178 op_sel_hi:[1,0,1]
	v_pk_fma_f16 v7, v76, v105, v11 op_sel_hi:[1,0,1]
	;; [unrolled: 1-line block ×3, first 2 shown]
	v_pk_fma_f16 v67, v77, v105, v179 op_sel:[0,1,0]
	v_pk_fma_f16 v68, v77, v106, v180 op_sel_hi:[1,0,1]
	v_pk_fma_f16 v69, v78, v105, v69 op_sel_hi:[1,0,1]
	v_pk_fma_f16 v74, v78, v105, v181 op_sel:[0,1,0]
	v_pk_fma_f16 v75, v78, v106, v182 op_sel_hi:[1,0,1]
	v_pk_fma_f16 v70, v79, v105, v70 op_sel_hi:[1,0,1]
	v_pk_fma_f16 v76, v79, v105, v183 op_sel:[0,1,0]
	v_pk_fma_f16 v77, v79, v106, v184 op_sel_hi:[1,0,1]
	v_pk_fma_f16 v59, v101, v110, v59 op_sel:[0,1,0]
	v_pk_fma_f16 v60, v102, v110, v60 op_sel:[0,1,0]
	;; [unrolled: 1-line block ×4, first 2 shown]
	v_pk_fma_f16 v62, v114, v111, v62 op_sel_hi:[1,0,1]
	v_pk_fma_f16 v56, v114, v112, v56 op_sel:[0,1,0]
	v_pk_fma_f16 v57, v115, v112, v57 op_sel:[0,1,0]
	;; [unrolled: 1-line block ×3, first 2 shown]
	v_pk_fma_f16 v71, v84, v105, v71 op_sel_hi:[1,0,1]
	v_pk_fma_f16 v64, v85, v105, v64 op_sel_hi:[1,0,1]
	v_pk_fma_f16 v8, v85, v105, v8 op_sel:[0,1,0]
	v_pk_fma_f16 v9, v85, v106, v9 op_sel_hi:[1,0,1]
	v_pk_fma_f16 v65, v86, v105, v65 op_sel_hi:[1,0,1]
	;; [unrolled: 1-line block ×3, first 2 shown]
	v_pk_fma_f16 v4, v87, v105, v4 op_sel:[0,1,0]
	v_pk_fma_f16 v6, v87, v106, v6 op_sel_hi:[1,0,1]
	v_pk_fma_f16 v5, v87, v106, v5 op_sel:[0,1,0]
	v_pk_fma_f16 v72, v86, v105, v72 op_sel:[0,1,0]
	v_pk_fma_f16 v73, v86, v106, v73 op_sel_hi:[1,0,1]
	v_pk_fma_f16 v7, v88, v107, v7 op_sel_hi:[1,0,1]
	v_pk_fma_f16 v10, v88, v107, v10 op_sel:[0,1,0]
	v_pk_fma_f16 v11, v88, v108, v11 op_sel_hi:[1,0,1]
	v_pk_fma_f16 v67, v89, v107, v67 op_sel:[0,1,0]
	v_pk_fma_f16 v68, v89, v108, v68 op_sel_hi:[1,0,1]
	v_pk_fma_f16 v69, v90, v107, v69 op_sel_hi:[1,0,1]
	v_pk_fma_f16 v74, v90, v107, v74 op_sel:[0,1,0]
	v_pk_fma_f16 v75, v90, v108, v75 op_sel_hi:[1,0,1]
	;; [unrolled: 3-line block ×3, first 2 shown]
	v_pk_fma_f16 v59, v117, v112, v59 op_sel:[0,1,0]
	v_pk_fma_f16 v60, v118, v112, v60 op_sel:[0,1,0]
	;; [unrolled: 1-line block ×4, first 2 shown]
	v_pk_fma_f16 v62, v122, v145, v62 op_sel_hi:[1,0,1]
	v_pk_fma_f16 v56, v122, v146, v56 op_sel:[0,1,0]
	v_pk_fma_f16 v57, v123, v146, v57 op_sel:[0,1,0]
	;; [unrolled: 1-line block ×3, first 2 shown]
	v_pk_fma_f16 v71, v93, v107, v71 op_sel_hi:[1,0,1]
	v_pk_fma_f16 v64, v94, v107, v64 op_sel_hi:[1,0,1]
	v_pk_fma_f16 v8, v94, v107, v8 op_sel:[0,1,0]
	v_pk_fma_f16 v9, v94, v108, v9 op_sel_hi:[1,0,1]
	v_pk_fma_f16 v65, v95, v107, v65 op_sel_hi:[1,0,1]
	;; [unrolled: 1-line block ×3, first 2 shown]
	v_pk_fma_f16 v4, v96, v107, v4 op_sel:[0,1,0]
	v_pk_fma_f16 v6, v96, v108, v6 op_sel_hi:[1,0,1]
	v_pk_fma_f16 v5, v96, v108, v5 op_sel:[0,1,0]
	v_pk_fma_f16 v72, v95, v107, v72 op_sel:[0,1,0]
	v_pk_fma_f16 v73, v95, v108, v73 op_sel_hi:[1,0,1]
	v_pk_fma_f16 v7, v97, v109, v7 op_sel_hi:[1,0,1]
	v_pk_fma_f16 v10, v97, v109, v10 op_sel:[0,1,0]
	v_pk_fma_f16 v11, v97, v110, v11 op_sel_hi:[1,0,1]
	v_pk_fma_f16 v67, v98, v109, v67 op_sel:[0,1,0]
	v_pk_fma_f16 v68, v98, v110, v68 op_sel_hi:[1,0,1]
	v_pk_fma_f16 v69, v99, v109, v69 op_sel_hi:[1,0,1]
	v_pk_fma_f16 v74, v99, v109, v74 op_sel:[0,1,0]
	v_pk_fma_f16 v75, v99, v110, v75 op_sel_hi:[1,0,1]
	;; [unrolled: 3-line block ×3, first 2 shown]
	v_pk_fma_f16 v59, v125, v146, v59 op_sel:[0,1,0]
	v_pk_fma_f16 v60, v126, v146, v60 op_sel:[0,1,0]
	;; [unrolled: 1-line block ×4, first 2 shown]
	v_pk_fma_f16 v62, v130, v147, v62 op_sel_hi:[1,0,1]
	v_pk_fma_f16 v56, v130, v148, v56 op_sel:[0,1,0]
	v_pk_fma_f16 v57, v131, v148, v57 op_sel:[0,1,0]
	;; [unrolled: 1-line block ×3, first 2 shown]
	v_pk_fma_f16 v71, v101, v109, v71 op_sel_hi:[1,0,1]
	v_pk_fma_f16 v64, v102, v109, v64 op_sel_hi:[1,0,1]
	v_pk_fma_f16 v8, v102, v109, v8 op_sel:[0,1,0]
	v_pk_fma_f16 v9, v102, v110, v9 op_sel_hi:[1,0,1]
	v_pk_fma_f16 v65, v103, v109, v65 op_sel_hi:[1,0,1]
	;; [unrolled: 1-line block ×3, first 2 shown]
	v_pk_fma_f16 v4, v104, v109, v4 op_sel:[0,1,0]
	v_pk_fma_f16 v6, v104, v110, v6 op_sel_hi:[1,0,1]
	v_pk_fma_f16 v5, v104, v110, v5 op_sel:[0,1,0]
	v_pk_fma_f16 v78, v84, v105, v185 op_sel:[0,1,0]
	v_pk_fma_f16 v79, v84, v106, v186 op_sel_hi:[1,0,1]
	v_pk_fma_f16 v72, v103, v109, v72 op_sel:[0,1,0]
	v_pk_fma_f16 v73, v103, v110, v73 op_sel_hi:[1,0,1]
	v_pk_fma_f16 v7, v113, v111, v7 op_sel_hi:[1,0,1]
	v_pk_fma_f16 v10, v113, v111, v10 op_sel:[0,1,0]
	v_pk_fma_f16 v11, v113, v112, v11 op_sel_hi:[1,0,1]
	v_pk_fma_f16 v67, v114, v111, v67 op_sel:[0,1,0]
	v_pk_fma_f16 v68, v114, v112, v68 op_sel_hi:[1,0,1]
	v_pk_fma_f16 v69, v115, v111, v69 op_sel_hi:[1,0,1]
	v_pk_fma_f16 v74, v115, v111, v74 op_sel:[0,1,0]
	v_pk_fma_f16 v75, v115, v112, v75 op_sel_hi:[1,0,1]
	;; [unrolled: 3-line block ×3, first 2 shown]
	v_pk_fma_f16 v59, v133, v148, v59 op_sel:[0,1,0]
	v_pk_fma_f16 v60, v134, v148, v60 op_sel:[0,1,0]
	;; [unrolled: 1-line block ×4, first 2 shown]
	v_pk_fma_f16 v62, v138, v149, v62 op_sel_hi:[1,0,1]
	v_pk_fma_f16 v56, v138, v150, v56 op_sel:[0,1,0]
	v_pk_fma_f16 v57, v139, v150, v57 op_sel:[0,1,0]
	;; [unrolled: 1-line block ×3, first 2 shown]
	v_pk_fma_f16 v71, v117, v111, v71 op_sel_hi:[1,0,1]
	v_pk_fma_f16 v64, v118, v111, v64 op_sel_hi:[1,0,1]
	v_pk_fma_f16 v8, v118, v111, v8 op_sel:[0,1,0]
	v_pk_fma_f16 v9, v118, v112, v9 op_sel_hi:[1,0,1]
	v_pk_fma_f16 v65, v119, v111, v65 op_sel_hi:[1,0,1]
	;; [unrolled: 1-line block ×3, first 2 shown]
	v_pk_fma_f16 v4, v120, v111, v4 op_sel:[0,1,0]
	v_pk_fma_f16 v6, v120, v112, v6 op_sel_hi:[1,0,1]
	v_pk_fma_f16 v5, v120, v112, v5 op_sel:[0,1,0]
	v_pk_fma_f16 v78, v93, v107, v78 op_sel:[0,1,0]
	v_pk_fma_f16 v79, v93, v108, v79 op_sel_hi:[1,0,1]
	v_pk_fma_f16 v72, v119, v111, v72 op_sel:[0,1,0]
	v_pk_fma_f16 v73, v119, v112, v73 op_sel_hi:[1,0,1]
	v_pk_fma_f16 v7, v121, v145, v7 op_sel_hi:[1,0,1]
	v_pk_fma_f16 v10, v121, v145, v10 op_sel:[0,1,0]
	v_pk_fma_f16 v11, v121, v146, v11 op_sel_hi:[1,0,1]
	v_pk_fma_f16 v67, v122, v145, v67 op_sel:[0,1,0]
	v_pk_fma_f16 v68, v122, v146, v68 op_sel_hi:[1,0,1]
	v_pk_fma_f16 v69, v123, v145, v69 op_sel_hi:[1,0,1]
	v_pk_fma_f16 v74, v123, v145, v74 op_sel:[0,1,0]
	v_pk_fma_f16 v75, v123, v146, v75 op_sel_hi:[1,0,1]
	;; [unrolled: 3-line block ×3, first 2 shown]
	v_pk_fma_f16 v84, v141, v150, v59 op_sel:[0,1,0]
	v_pk_fma_f16 v85, v142, v150, v60 op_sel:[0,1,0]
	;; [unrolled: 1-line block ×4, first 2 shown]
	v_pk_fma_f16 v91, v154, v151, v62 op_sel_hi:[1,0,1]
	v_pk_fma_f16 v95, v154, v152, v56 op_sel:[0,1,0]
	v_pk_fma_f16 v97, v155, v152, v57 op_sel:[0,1,0]
	;; [unrolled: 1-line block ×3, first 2 shown]
	s_waitcnt vmcnt(3)
	ds_store_b128 v42, v[161:164]
	s_waitcnt vmcnt(2)
	ds_store_b128 v43, v[165:168]
	;; [unrolled: 2-line block ×4, first 2 shown]
	s_waitcnt lgkmcnt(0)
	s_barrier
	buffer_gl0_inv
	ds_load_2addr_b64 v[55:58], v63 offset1:32
	ds_load_b128 v[59:62], v40 offset:640
	v_pk_fma_f16 v71, v125, v145, v71 op_sel_hi:[1,0,1]
	v_pk_fma_f16 v64, v126, v145, v64 op_sel_hi:[1,0,1]
	v_pk_fma_f16 v8, v126, v145, v8 op_sel:[0,1,0]
	v_pk_fma_f16 v9, v126, v146, v9 op_sel_hi:[1,0,1]
	v_pk_fma_f16 v65, v127, v145, v65 op_sel_hi:[1,0,1]
	v_pk_fma_f16 v66, v128, v145, v66 op_sel_hi:[1,0,1]
	v_pk_fma_f16 v4, v128, v145, v4 op_sel:[0,1,0]
	v_pk_fma_f16 v6, v128, v146, v6 op_sel_hi:[1,0,1]
	v_pk_fma_f16 v5, v128, v146, v5 op_sel:[0,1,0]
	v_pk_fma_f16 v78, v101, v109, v78 op_sel:[0,1,0]
	v_pk_fma_f16 v79, v101, v110, v79 op_sel_hi:[1,0,1]
	v_pk_fma_f16 v72, v127, v145, v72 op_sel:[0,1,0]
	v_pk_fma_f16 v73, v127, v146, v73 op_sel_hi:[1,0,1]
	v_pk_fma_f16 v7, v129, v147, v7 op_sel_hi:[1,0,1]
	v_pk_fma_f16 v10, v129, v147, v10 op_sel:[0,1,0]
	v_pk_fma_f16 v11, v129, v148, v11 op_sel_hi:[1,0,1]
	v_pk_fma_f16 v67, v130, v147, v67 op_sel:[0,1,0]
	v_pk_fma_f16 v68, v130, v148, v68 op_sel_hi:[1,0,1]
	v_pk_fma_f16 v69, v131, v147, v69 op_sel_hi:[1,0,1]
	v_pk_fma_f16 v74, v131, v147, v74 op_sel:[0,1,0]
	v_pk_fma_f16 v75, v131, v148, v75 op_sel_hi:[1,0,1]
	v_pk_fma_f16 v70, v132, v147, v70 op_sel_hi:[1,0,1]
	v_pk_fma_f16 v76, v132, v147, v76 op_sel:[0,1,0]
	v_pk_fma_f16 v77, v132, v148, v77 op_sel_hi:[1,0,1]
	v_pk_fma_f16 v71, v133, v147, v71 op_sel_hi:[1,0,1]
	v_pk_fma_f16 v64, v134, v147, v64 op_sel_hi:[1,0,1]
	v_pk_fma_f16 v8, v134, v147, v8 op_sel:[0,1,0]
	v_pk_fma_f16 v9, v134, v148, v9 op_sel_hi:[1,0,1]
	v_pk_fma_f16 v65, v135, v147, v65 op_sel_hi:[1,0,1]
	v_pk_fma_f16 v66, v136, v147, v66 op_sel_hi:[1,0,1]
	v_pk_fma_f16 v4, v136, v147, v4 op_sel:[0,1,0]
	v_pk_fma_f16 v6, v136, v148, v6 op_sel_hi:[1,0,1]
	v_pk_fma_f16 v5, v136, v148, v5 op_sel:[0,1,0]
	v_pk_fma_f16 v78, v117, v111, v78 op_sel:[0,1,0]
	v_pk_fma_f16 v79, v117, v112, v79 op_sel_hi:[1,0,1]
	v_pk_fma_f16 v72, v135, v147, v72 op_sel:[0,1,0]
	v_pk_fma_f16 v73, v135, v148, v73 op_sel_hi:[1,0,1]
	v_pk_fma_f16 v7, v137, v149, v7 op_sel_hi:[1,0,1]
	v_pk_fma_f16 v10, v137, v149, v10 op_sel:[0,1,0]
	v_pk_fma_f16 v11, v137, v150, v11 op_sel_hi:[1,0,1]
	v_pk_fma_f16 v67, v138, v149, v67 op_sel:[0,1,0]
	v_pk_fma_f16 v68, v138, v150, v68 op_sel_hi:[1,0,1]
	v_pk_fma_f16 v69, v139, v149, v69 op_sel_hi:[1,0,1]
	v_pk_fma_f16 v74, v139, v149, v74 op_sel:[0,1,0]
	v_pk_fma_f16 v75, v139, v150, v75 op_sel_hi:[1,0,1]
	v_pk_fma_f16 v70, v140, v149, v70 op_sel_hi:[1,0,1]
	v_pk_fma_f16 v76, v140, v149, v76 op_sel:[0,1,0]
	v_pk_fma_f16 v77, v140, v150, v77 op_sel_hi:[1,0,1]
	;; [unrolled: 24-line block ×3, first 2 shown]
	v_pk_fma_f16 v100, v157, v151, v71 op_sel_hi:[1,0,1]
	v_pk_fma_f16 v101, v158, v151, v64 op_sel_hi:[1,0,1]
	v_pk_fma_f16 v102, v158, v151, v8 op_sel:[0,1,0]
	v_pk_fma_f16 v103, v158, v152, v9 op_sel_hi:[1,0,1]
	v_pk_fma_f16 v104, v159, v151, v65 op_sel_hi:[1,0,1]
	v_pk_fma_f16 v107, v160, v151, v66 op_sel_hi:[1,0,1]
	v_pk_fma_f16 v108, v160, v151, v4 op_sel:[0,1,0]
	v_pk_fma_f16 v109, v160, v152, v6 op_sel_hi:[1,0,1]
	v_pk_fma_f16 v110, v160, v152, v5 op_sel:[0,1,0]
	ds_load_2addr_b64 v[64:67], v63 offset0:64 offset1:96
	ds_load_b128 v[68:71], v40 offset:656
	ds_load_b128 v[8:11], v40 offset:672
	;; [unrolled: 1-line block ×3, first 2 shown]
	v_pk_fma_f16 v78, v133, v147, v78 op_sel:[0,1,0]
	v_pk_fma_f16 v79, v133, v148, v79 op_sel_hi:[1,0,1]
	v_pk_fma_f16 v105, v159, v151, v72 op_sel:[0,1,0]
	v_pk_fma_f16 v106, v159, v152, v73 op_sel_hi:[1,0,1]
	s_waitcnt lgkmcnt(4)
	v_pk_fma_f16 v87, v55, v59, v87 op_sel_hi:[1,0,1]
	v_pk_fma_f16 v88, v55, v59, v88 op_sel:[0,1,0]
	v_pk_fma_f16 v89, v55, v60, v89 op_sel_hi:[1,0,1]
	v_pk_fma_f16 v90, v55, v60, v90 op_sel:[0,1,0]
	;; [unrolled: 2-line block ×7, first 2 shown]
	ds_load_2addr_b64 v[72:75], v63 offset0:128 offset1:160
	v_pk_fma_f16 v77, v58, v60, v77 op_sel_hi:[1,0,1]
	v_pk_fma_f16 v99, v58, v60, v99 op_sel:[0,1,0]
	ds_load_2addr_b64 v[55:58], v63 offset0:192 offset1:224
	v_pk_fma_f16 v78, v141, v149, v78 op_sel:[0,1,0]
	v_pk_fma_f16 v79, v141, v150, v79 op_sel_hi:[1,0,1]
	v_pk_fma_f16 v84, v157, v152, v84 op_sel:[0,1,0]
	v_pk_fma_f16 v85, v158, v152, v85 op_sel:[0,1,0]
	;; [unrolled: 1-line block ×4, first 2 shown]
	v_pk_fma_f16 v79, v157, v152, v79 op_sel_hi:[1,0,1]
	s_waitcnt lgkmcnt(5)
	v_pk_fma_f16 v100, v64, v59, v100 op_sel_hi:[1,0,1]
	v_pk_fma_f16 v84, v64, v60, v84 op_sel:[0,1,0]
	v_pk_fma_f16 v101, v65, v59, v101 op_sel_hi:[1,0,1]
	v_pk_fma_f16 v78, v64, v59, v78 op_sel:[0,1,0]
	;; [unrolled: 2-line block ×8, first 2 shown]
	ds_load_2addr_b64 v[64:67], v52 offset1:32
	s_waitcnt lgkmcnt(2)
	v_pk_fma_f16 v87, v72, v61, v87 op_sel_hi:[1,0,1]
	v_pk_fma_f16 v88, v72, v61, v88 op_sel:[0,1,0]
	v_pk_fma_f16 v89, v72, v62, v89 op_sel_hi:[1,0,1]
	v_pk_fma_f16 v90, v72, v62, v90 op_sel:[0,1,0]
	;; [unrolled: 2-line block ×8, first 2 shown]
	s_waitcnt lgkmcnt(1)
	v_pk_fma_f16 v100, v55, v61, v100 op_sel_hi:[1,0,1]
	v_pk_fma_f16 v78, v55, v61, v78 op_sel:[0,1,0]
	v_pk_fma_f16 v79, v55, v62, v79 op_sel_hi:[1,0,1]
	v_pk_fma_f16 v84, v55, v62, v84 op_sel:[0,1,0]
	;; [unrolled: 2-line block ×7, first 2 shown]
	ds_load_2addr_b64 v[72:75], v52 offset0:64 offset1:96
	v_pk_fma_f16 v108, v58, v62, v108 op_sel_hi:[1,0,1]
	v_pk_fma_f16 v111, v58, v62, v60 op_sel:[0,1,0]
	ds_load_2addr_b64 v[55:58], v52 offset0:128 offset1:160
	s_waitcnt lgkmcnt(2)
	v_pk_fma_f16 v87, v64, v68, v87 op_sel_hi:[1,0,1]
	v_pk_fma_f16 v88, v64, v68, v88 op_sel:[0,1,0]
	v_pk_fma_f16 v89, v64, v69, v89 op_sel_hi:[1,0,1]
	v_pk_fma_f16 v64, v64, v69, v90 op_sel:[0,1,0]
	;; [unrolled: 2-line block ×8, first 2 shown]
	s_waitcnt lgkmcnt(1)
	v_pk_fma_f16 v99, v72, v68, v100 op_sel_hi:[1,0,1]
	v_pk_fma_f16 v78, v72, v68, v78 op_sel:[0,1,0]
	v_pk_fma_f16 v79, v72, v69, v79 op_sel_hi:[1,0,1]
	v_pk_fma_f16 v72, v72, v69, v84 op_sel:[0,1,0]
	;; [unrolled: 2-line block ×7, first 2 shown]
	ds_load_2addr_b64 v[59:62], v52 offset0:192 offset1:224
	v_pk_fma_f16 v104, v75, v69, v108 op_sel_hi:[1,0,1]
	v_pk_fma_f16 v69, v75, v69, v111 op_sel:[0,1,0]
	s_waitcnt lgkmcnt(1)
	v_pk_fma_f16 v75, v55, v70, v87 op_sel_hi:[1,0,1]
	v_pk_fma_f16 v87, v55, v70, v88 op_sel:[0,1,0]
	v_pk_fma_f16 v88, v55, v71, v89 op_sel_hi:[1,0,1]
	v_pk_fma_f16 v89, v55, v71, v64 op_sel:[0,1,0]
	v_pk_fma_f16 v105, v56, v71, v65 op_sel:[0,1,0]
	;; [unrolled: 1-line block ×3, first 2 shown]
	ds_load_2addr_b64 v[64:67], v53 offset1:32
	v_pk_fma_f16 v90, v56, v70, v90 op_sel_hi:[1,0,1]
	v_pk_fma_f16 v91, v56, v70, v91 op_sel:[0,1,0]
	v_pk_fma_f16 v93, v56, v71, v93 op_sel_hi:[1,0,1]
	v_pk_fma_f16 v94, v57, v70, v94 op_sel_hi:[1,0,1]
	v_pk_fma_f16 v95, v57, v70, v95 op_sel:[0,1,0]
	v_pk_fma_f16 v96, v57, v71, v96 op_sel_hi:[1,0,1]
	;; [unrolled: 3-line block ×3, first 2 shown]
	v_pk_fma_f16 v98, v58, v71, v98 op_sel:[0,1,0]
	ds_load_2addr_b64 v[55:58], v53 offset0:64 offset1:96
	s_or_b32 s4, s13, 0x60
	s_waitcnt lgkmcnt(2)
	v_pk_fma_f16 v99, v59, v70, v99 op_sel_hi:[1,0,1]
	v_pk_fma_f16 v78, v59, v70, v78 op_sel:[0,1,0]
	v_pk_fma_f16 v79, v59, v71, v79 op_sel_hi:[1,0,1]
	v_pk_fma_f16 v72, v59, v71, v72 op_sel:[0,1,0]
	;; [unrolled: 2-line block ×8, first 2 shown]
	s_waitcnt lgkmcnt(1)
	v_pk_fma_f16 v71, v64, v8, v75 op_sel_hi:[1,0,1]
	v_pk_fma_f16 v75, v64, v8, v87 op_sel:[0,1,0]
	v_pk_fma_f16 v87, v64, v9, v88 op_sel_hi:[1,0,1]
	v_pk_fma_f16 v88, v64, v9, v89 op_sel:[0,1,0]
	;; [unrolled: 2-line block ×7, first 2 shown]
	ds_load_2addr_b64 v[59:62], v53 offset0:128 offset1:160
	v_pk_fma_f16 v77, v67, v9, v77 op_sel_hi:[1,0,1]
	v_pk_fma_f16 v98, v67, v9, v98 op_sel:[0,1,0]
	ds_load_2addr_b64 v[64:67], v53 offset0:192 offset1:224
	s_mul_hi_i32 s21, s4, s10
	s_mul_i32 s20, s4, s10
	s_waitcnt lgkmcnt(2)
	v_pk_fma_f16 v99, v55, v8, v99 op_sel_hi:[1,0,1]
	s_lshl_b64 s[20:21], s[20:21], 2
	v_pk_fma_f16 v78, v55, v8, v78 op_sel:[0,1,0]
	s_add_u32 s4, s11, s20
	v_pk_fma_f16 v79, v55, v9, v79 op_sel_hi:[1,0,1]
	v_pk_fma_f16 v55, v55, v9, v72 op_sel:[0,1,0]
	v_pk_fma_f16 v72, v56, v8, v84 op_sel_hi:[1,0,1]
	v_pk_fma_f16 v177, v56, v8, v100 op_sel:[0,1,0]
	;; [unrolled: 2-line block ×4, first 2 shown]
	s_addc_u32 s19, s16, s21
	v_add_co_u32 v8, vcc_lo, s4, v27
	v_pk_fma_f16 v178, v56, v9, v101 op_sel_hi:[1,0,1]
	v_pk_fma_f16 v179, v56, v9, v73 op_sel:[0,1,0]
	v_pk_fma_f16 v182, v57, v9, v103 op_sel_hi:[1,0,1]
	v_pk_fma_f16 v183, v57, v9, v74 op_sel:[0,1,0]
	;; [unrolled: 2-line block ×3, first 2 shown]
	v_add_co_ci_u32_e32 v9, vcc_lo, s19, v28, vcc_lo
	v_add_co_u32 v161, vcc_lo, s4, v29
	v_add_co_ci_u32_e32 v162, vcc_lo, s19, v30, vcc_lo
	v_add_co_u32 v8, vcc_lo, v8, v92
	s_delay_alu instid0(VALU_DEP_4) | instskip(NEXT) | instid1(VALU_DEP_4)
	v_add_co_ci_u32_e32 v9, vcc_lo, 0, v9, vcc_lo
	v_add_co_u32 v173, vcc_lo, v161, v92
	s_delay_alu instid0(VALU_DEP_4)
	v_add_co_ci_u32_e32 v174, vcc_lo, 0, v162, vcc_lo
	s_waitcnt lgkmcnt(1)
	v_pk_fma_f16 v188, v59, v10, v71 op_sel_hi:[1,0,1]
	v_pk_fma_f16 v189, v59, v10, v75 op_sel:[0,1,0]
	v_pk_fma_f16 v190, v59, v11, v87 op_sel_hi:[1,0,1]
	v_pk_fma_f16 v191, v59, v11, v88 op_sel:[0,1,0]
	;; [unrolled: 2-line block ×8, first 2 shown]
	s_waitcnt lgkmcnt(0)
	v_pk_fma_f16 v204, v64, v10, v99 op_sel_hi:[1,0,1]
	v_pk_fma_f16 v205, v64, v10, v78 op_sel:[0,1,0]
	v_pk_fma_f16 v206, v64, v11, v79 op_sel_hi:[1,0,1]
	v_pk_fma_f16 v64, v64, v11, v55 op_sel:[0,1,0]
	v_pk_fma_f16 v207, v65, v10, v72 op_sel_hi:[1,0,1]
	ds_load_2addr_b64 v[55:58], v54 offset1:32
	ds_load_2addr_b64 v[59:62], v54 offset0:64 offset1:96
	ds_load_2addr_b64 v[68:71], v54 offset0:128 offset1:160
	;; [unrolled: 1-line block ×3, first 2 shown]
	ds_load_2addr_b64 v[76:79], v51 offset1:32
	ds_load_2addr_b64 v[84:87], v51 offset0:64 offset1:96
	ds_load_2addr_b64 v[88:91], v51 offset0:128 offset1:160
	;; [unrolled: 1-line block ×3, first 2 shown]
	ds_load_2addr_b64 v[97:100], v50 offset1:32
	ds_load_2addr_b64 v[101:104], v50 offset0:64 offset1:96
	ds_load_b128 v[105:108], v40 offset:704
	ds_load_b128 v[109:112], v40 offset:720
	ds_load_2addr_b64 v[113:116], v50 offset0:128 offset1:160
	ds_load_2addr_b64 v[117:120], v50 offset0:192 offset1:224
	ds_load_2addr_b64 v[121:124], v49 offset1:32
	ds_load_2addr_b64 v[125:128], v49 offset0:64 offset1:96
	ds_load_2addr_b64 v[129:132], v49 offset0:128 offset1:160
	ds_load_2addr_b64 v[133:136], v49 offset0:192 offset1:224
	ds_load_2addr_b64 v[137:140], v48 offset1:32
	ds_load_2addr_b64 v[141:144], v48 offset0:64 offset1:96
	ds_load_b128 v[145:148], v40 offset:736
	ds_load_b128 v[149:152], v40 offset:752
	ds_load_2addr_b64 v[153:156], v48 offset0:128 offset1:160
	ds_load_2addr_b64 v[157:160], v48 offset0:192 offset1:224
	s_waitcnt lgkmcnt(0)
	s_barrier
	buffer_gl0_inv
	s_clause 0x3
	global_load_b128 v[161:164], v[8:9], off
	global_load_b128 v[165:168], v[8:9], off offset:512
	global_load_b128 v[169:172], v[173:174], off
	global_load_b128 v[173:176], v[173:174], off offset:512
	v_pk_fma_f16 v8, v65, v10, v177 op_sel:[0,1,0]
	v_pk_fma_f16 v9, v65, v11, v178 op_sel_hi:[1,0,1]
	v_pk_fma_f16 v65, v65, v11, v179 op_sel:[0,1,0]
	v_pk_fma_f16 v177, v66, v10, v180 op_sel_hi:[1,0,1]
	;; [unrolled: 2-line block ×24, first 2 shown]
	v_pk_fma_f16 v56, v69, v7, v56 op_sel:[0,1,0]
	v_pk_fma_f16 v57, v70, v7, v57 op_sel:[0,1,0]
	;; [unrolled: 1-line block ×4, first 2 shown]
	v_pk_fma_f16 v180, v69, v7, v186 op_sel_hi:[1,0,1]
	v_pk_fma_f16 v69, v70, v6, v187 op_sel_hi:[1,0,1]
	v_pk_fma_f16 v181, v70, v6, v188 op_sel:[0,1,0]
	v_pk_fma_f16 v182, v70, v7, v189 op_sel_hi:[1,0,1]
	v_pk_fma_f16 v70, v71, v6, v190 op_sel_hi:[1,0,1]
	v_pk_fma_f16 v183, v71, v6, v191 op_sel:[0,1,0]
	v_pk_fma_f16 v184, v71, v7, v192 op_sel_hi:[1,0,1]
	v_pk_fma_f16 v71, v72, v6, v193 op_sel_hi:[1,0,1]
	v_pk_fma_f16 v185, v72, v6, v194 op_sel:[0,1,0]
	v_pk_fma_f16 v186, v72, v7, v195 op_sel_hi:[1,0,1]
	v_pk_fma_f16 v59, v72, v7, v59 op_sel:[0,1,0]
	v_pk_fma_f16 v64, v73, v6, v64 op_sel_hi:[1,0,1]
	v_pk_fma_f16 v8, v73, v6, v8 op_sel:[0,1,0]
	v_pk_fma_f16 v60, v73, v7, v60 op_sel:[0,1,0]
	v_pk_fma_f16 v65, v74, v6, v65 op_sel_hi:[1,0,1]
	v_pk_fma_f16 v72, v74, v6, v177 op_sel:[0,1,0]
	;; [unrolled: 3-line block ×3, first 2 shown]
	v_pk_fma_f16 v6, v75, v7, v10 op_sel_hi:[1,0,1]
	v_pk_fma_f16 v10, v76, v105, v62 op_sel:[0,1,0]
	v_pk_fma_f16 v55, v76, v106, v55 op_sel:[0,1,0]
	v_pk_fma_f16 v62, v77, v105, v68 op_sel_hi:[1,0,1]
	v_pk_fma_f16 v56, v77, v106, v56 op_sel:[0,1,0]
	v_pk_fma_f16 v57, v78, v106, v57 op_sel:[0,1,0]
	;; [unrolled: 1-line block ×7, first 2 shown]
	v_pk_fma_f16 v62, v89, v107, v62 op_sel_hi:[1,0,1]
	v_pk_fma_f16 v56, v89, v108, v56 op_sel:[0,1,0]
	v_pk_fma_f16 v57, v90, v108, v57 op_sel:[0,1,0]
	;; [unrolled: 1-line block ×7, first 2 shown]
	v_pk_fma_f16 v62, v98, v109, v62 op_sel_hi:[1,0,1]
	v_pk_fma_f16 v56, v98, v110, v56 op_sel:[0,1,0]
	v_pk_fma_f16 v57, v99, v110, v57 op_sel:[0,1,0]
	;; [unrolled: 1-line block ×3, first 2 shown]
	v_pk_fma_f16 v9, v73, v7, v9 op_sel_hi:[1,0,1]
	v_pk_fma_f16 v5, v75, v7, v5 op_sel:[0,1,0]
	v_pk_fma_f16 v73, v74, v7, v178 op_sel_hi:[1,0,1]
	v_pk_fma_f16 v7, v76, v105, v11 op_sel_hi:[1,0,1]
	;; [unrolled: 1-line block ×3, first 2 shown]
	v_pk_fma_f16 v67, v77, v105, v179 op_sel:[0,1,0]
	v_pk_fma_f16 v68, v77, v106, v180 op_sel_hi:[1,0,1]
	v_pk_fma_f16 v69, v78, v105, v69 op_sel_hi:[1,0,1]
	v_pk_fma_f16 v74, v78, v105, v181 op_sel:[0,1,0]
	v_pk_fma_f16 v75, v78, v106, v182 op_sel_hi:[1,0,1]
	v_pk_fma_f16 v70, v79, v105, v70 op_sel_hi:[1,0,1]
	v_pk_fma_f16 v76, v79, v105, v183 op_sel:[0,1,0]
	v_pk_fma_f16 v77, v79, v106, v184 op_sel_hi:[1,0,1]
	v_pk_fma_f16 v59, v101, v110, v59 op_sel:[0,1,0]
	v_pk_fma_f16 v60, v102, v110, v60 op_sel:[0,1,0]
	;; [unrolled: 1-line block ×4, first 2 shown]
	v_pk_fma_f16 v62, v114, v111, v62 op_sel_hi:[1,0,1]
	v_pk_fma_f16 v56, v114, v112, v56 op_sel:[0,1,0]
	v_pk_fma_f16 v57, v115, v112, v57 op_sel:[0,1,0]
	;; [unrolled: 1-line block ×3, first 2 shown]
	v_pk_fma_f16 v71, v84, v105, v71 op_sel_hi:[1,0,1]
	v_pk_fma_f16 v64, v85, v105, v64 op_sel_hi:[1,0,1]
	v_pk_fma_f16 v8, v85, v105, v8 op_sel:[0,1,0]
	v_pk_fma_f16 v9, v85, v106, v9 op_sel_hi:[1,0,1]
	v_pk_fma_f16 v65, v86, v105, v65 op_sel_hi:[1,0,1]
	;; [unrolled: 1-line block ×3, first 2 shown]
	v_pk_fma_f16 v4, v87, v105, v4 op_sel:[0,1,0]
	v_pk_fma_f16 v6, v87, v106, v6 op_sel_hi:[1,0,1]
	v_pk_fma_f16 v5, v87, v106, v5 op_sel:[0,1,0]
	v_pk_fma_f16 v72, v86, v105, v72 op_sel:[0,1,0]
	v_pk_fma_f16 v73, v86, v106, v73 op_sel_hi:[1,0,1]
	v_pk_fma_f16 v7, v88, v107, v7 op_sel_hi:[1,0,1]
	v_pk_fma_f16 v10, v88, v107, v10 op_sel:[0,1,0]
	v_pk_fma_f16 v11, v88, v108, v11 op_sel_hi:[1,0,1]
	v_pk_fma_f16 v67, v89, v107, v67 op_sel:[0,1,0]
	v_pk_fma_f16 v68, v89, v108, v68 op_sel_hi:[1,0,1]
	v_pk_fma_f16 v69, v90, v107, v69 op_sel_hi:[1,0,1]
	v_pk_fma_f16 v74, v90, v107, v74 op_sel:[0,1,0]
	v_pk_fma_f16 v75, v90, v108, v75 op_sel_hi:[1,0,1]
	;; [unrolled: 3-line block ×3, first 2 shown]
	v_pk_fma_f16 v59, v117, v112, v59 op_sel:[0,1,0]
	v_pk_fma_f16 v60, v118, v112, v60 op_sel:[0,1,0]
	;; [unrolled: 1-line block ×4, first 2 shown]
	v_pk_fma_f16 v62, v122, v145, v62 op_sel_hi:[1,0,1]
	v_pk_fma_f16 v56, v122, v146, v56 op_sel:[0,1,0]
	v_pk_fma_f16 v57, v123, v146, v57 op_sel:[0,1,0]
	;; [unrolled: 1-line block ×3, first 2 shown]
	v_pk_fma_f16 v71, v93, v107, v71 op_sel_hi:[1,0,1]
	v_pk_fma_f16 v64, v94, v107, v64 op_sel_hi:[1,0,1]
	v_pk_fma_f16 v8, v94, v107, v8 op_sel:[0,1,0]
	v_pk_fma_f16 v9, v94, v108, v9 op_sel_hi:[1,0,1]
	v_pk_fma_f16 v65, v95, v107, v65 op_sel_hi:[1,0,1]
	;; [unrolled: 1-line block ×3, first 2 shown]
	v_pk_fma_f16 v4, v96, v107, v4 op_sel:[0,1,0]
	v_pk_fma_f16 v6, v96, v108, v6 op_sel_hi:[1,0,1]
	v_pk_fma_f16 v5, v96, v108, v5 op_sel:[0,1,0]
	v_pk_fma_f16 v72, v95, v107, v72 op_sel:[0,1,0]
	v_pk_fma_f16 v73, v95, v108, v73 op_sel_hi:[1,0,1]
	v_pk_fma_f16 v7, v97, v109, v7 op_sel_hi:[1,0,1]
	v_pk_fma_f16 v10, v97, v109, v10 op_sel:[0,1,0]
	v_pk_fma_f16 v11, v97, v110, v11 op_sel_hi:[1,0,1]
	v_pk_fma_f16 v67, v98, v109, v67 op_sel:[0,1,0]
	v_pk_fma_f16 v68, v98, v110, v68 op_sel_hi:[1,0,1]
	v_pk_fma_f16 v69, v99, v109, v69 op_sel_hi:[1,0,1]
	v_pk_fma_f16 v74, v99, v109, v74 op_sel:[0,1,0]
	v_pk_fma_f16 v75, v99, v110, v75 op_sel_hi:[1,0,1]
	;; [unrolled: 3-line block ×3, first 2 shown]
	v_pk_fma_f16 v59, v125, v146, v59 op_sel:[0,1,0]
	v_pk_fma_f16 v60, v126, v146, v60 op_sel:[0,1,0]
	;; [unrolled: 1-line block ×4, first 2 shown]
	v_pk_fma_f16 v62, v130, v147, v62 op_sel_hi:[1,0,1]
	v_pk_fma_f16 v56, v130, v148, v56 op_sel:[0,1,0]
	v_pk_fma_f16 v57, v131, v148, v57 op_sel:[0,1,0]
	;; [unrolled: 1-line block ×3, first 2 shown]
	v_pk_fma_f16 v71, v101, v109, v71 op_sel_hi:[1,0,1]
	v_pk_fma_f16 v64, v102, v109, v64 op_sel_hi:[1,0,1]
	v_pk_fma_f16 v8, v102, v109, v8 op_sel:[0,1,0]
	v_pk_fma_f16 v9, v102, v110, v9 op_sel_hi:[1,0,1]
	v_pk_fma_f16 v65, v103, v109, v65 op_sel_hi:[1,0,1]
	v_pk_fma_f16 v66, v104, v109, v66 op_sel_hi:[1,0,1]
	v_pk_fma_f16 v4, v104, v109, v4 op_sel:[0,1,0]
	v_pk_fma_f16 v6, v104, v110, v6 op_sel_hi:[1,0,1]
	v_pk_fma_f16 v5, v104, v110, v5 op_sel:[0,1,0]
	v_pk_fma_f16 v78, v84, v105, v185 op_sel:[0,1,0]
	v_pk_fma_f16 v79, v84, v106, v186 op_sel_hi:[1,0,1]
	v_pk_fma_f16 v72, v103, v109, v72 op_sel:[0,1,0]
	v_pk_fma_f16 v73, v103, v110, v73 op_sel_hi:[1,0,1]
	v_pk_fma_f16 v7, v113, v111, v7 op_sel_hi:[1,0,1]
	v_pk_fma_f16 v10, v113, v111, v10 op_sel:[0,1,0]
	v_pk_fma_f16 v11, v113, v112, v11 op_sel_hi:[1,0,1]
	v_pk_fma_f16 v67, v114, v111, v67 op_sel:[0,1,0]
	v_pk_fma_f16 v68, v114, v112, v68 op_sel_hi:[1,0,1]
	v_pk_fma_f16 v69, v115, v111, v69 op_sel_hi:[1,0,1]
	v_pk_fma_f16 v74, v115, v111, v74 op_sel:[0,1,0]
	v_pk_fma_f16 v75, v115, v112, v75 op_sel_hi:[1,0,1]
	;; [unrolled: 3-line block ×3, first 2 shown]
	v_pk_fma_f16 v59, v133, v148, v59 op_sel:[0,1,0]
	v_pk_fma_f16 v60, v134, v148, v60 op_sel:[0,1,0]
	;; [unrolled: 1-line block ×4, first 2 shown]
	v_pk_fma_f16 v62, v138, v149, v62 op_sel_hi:[1,0,1]
	v_pk_fma_f16 v56, v138, v150, v56 op_sel:[0,1,0]
	v_pk_fma_f16 v57, v139, v150, v57 op_sel:[0,1,0]
	;; [unrolled: 1-line block ×3, first 2 shown]
	v_pk_fma_f16 v71, v117, v111, v71 op_sel_hi:[1,0,1]
	v_pk_fma_f16 v64, v118, v111, v64 op_sel_hi:[1,0,1]
	v_pk_fma_f16 v8, v118, v111, v8 op_sel:[0,1,0]
	v_pk_fma_f16 v9, v118, v112, v9 op_sel_hi:[1,0,1]
	v_pk_fma_f16 v65, v119, v111, v65 op_sel_hi:[1,0,1]
	;; [unrolled: 1-line block ×3, first 2 shown]
	v_pk_fma_f16 v4, v120, v111, v4 op_sel:[0,1,0]
	v_pk_fma_f16 v6, v120, v112, v6 op_sel_hi:[1,0,1]
	v_pk_fma_f16 v5, v120, v112, v5 op_sel:[0,1,0]
	v_pk_fma_f16 v78, v93, v107, v78 op_sel:[0,1,0]
	v_pk_fma_f16 v79, v93, v108, v79 op_sel_hi:[1,0,1]
	v_pk_fma_f16 v72, v119, v111, v72 op_sel:[0,1,0]
	v_pk_fma_f16 v73, v119, v112, v73 op_sel_hi:[1,0,1]
	v_pk_fma_f16 v7, v121, v145, v7 op_sel_hi:[1,0,1]
	v_pk_fma_f16 v10, v121, v145, v10 op_sel:[0,1,0]
	v_pk_fma_f16 v11, v121, v146, v11 op_sel_hi:[1,0,1]
	v_pk_fma_f16 v67, v122, v145, v67 op_sel:[0,1,0]
	v_pk_fma_f16 v68, v122, v146, v68 op_sel_hi:[1,0,1]
	v_pk_fma_f16 v69, v123, v145, v69 op_sel_hi:[1,0,1]
	v_pk_fma_f16 v74, v123, v145, v74 op_sel:[0,1,0]
	v_pk_fma_f16 v75, v123, v146, v75 op_sel_hi:[1,0,1]
	;; [unrolled: 3-line block ×3, first 2 shown]
	v_pk_fma_f16 v84, v141, v150, v59 op_sel:[0,1,0]
	v_pk_fma_f16 v85, v142, v150, v60 op_sel:[0,1,0]
	;; [unrolled: 1-line block ×4, first 2 shown]
	v_pk_fma_f16 v91, v154, v151, v62 op_sel_hi:[1,0,1]
	v_pk_fma_f16 v95, v154, v152, v56 op_sel:[0,1,0]
	v_pk_fma_f16 v97, v155, v152, v57 op_sel:[0,1,0]
	;; [unrolled: 1-line block ×3, first 2 shown]
	s_waitcnt vmcnt(3)
	ds_store_b128 v42, v[161:164]
	s_waitcnt vmcnt(2)
	ds_store_b128 v43, v[165:168]
	;; [unrolled: 2-line block ×4, first 2 shown]
	s_waitcnt lgkmcnt(0)
	s_barrier
	buffer_gl0_inv
	ds_load_2addr_b64 v[55:58], v63 offset1:32
	ds_load_b128 v[59:62], v40 offset:768
	v_pk_fma_f16 v71, v125, v145, v71 op_sel_hi:[1,0,1]
	v_pk_fma_f16 v64, v126, v145, v64 op_sel_hi:[1,0,1]
	v_pk_fma_f16 v8, v126, v145, v8 op_sel:[0,1,0]
	v_pk_fma_f16 v9, v126, v146, v9 op_sel_hi:[1,0,1]
	v_pk_fma_f16 v65, v127, v145, v65 op_sel_hi:[1,0,1]
	v_pk_fma_f16 v66, v128, v145, v66 op_sel_hi:[1,0,1]
	v_pk_fma_f16 v4, v128, v145, v4 op_sel:[0,1,0]
	v_pk_fma_f16 v6, v128, v146, v6 op_sel_hi:[1,0,1]
	v_pk_fma_f16 v5, v128, v146, v5 op_sel:[0,1,0]
	v_pk_fma_f16 v78, v101, v109, v78 op_sel:[0,1,0]
	v_pk_fma_f16 v79, v101, v110, v79 op_sel_hi:[1,0,1]
	v_pk_fma_f16 v72, v127, v145, v72 op_sel:[0,1,0]
	v_pk_fma_f16 v73, v127, v146, v73 op_sel_hi:[1,0,1]
	v_pk_fma_f16 v7, v129, v147, v7 op_sel_hi:[1,0,1]
	v_pk_fma_f16 v10, v129, v147, v10 op_sel:[0,1,0]
	v_pk_fma_f16 v11, v129, v148, v11 op_sel_hi:[1,0,1]
	v_pk_fma_f16 v67, v130, v147, v67 op_sel:[0,1,0]
	v_pk_fma_f16 v68, v130, v148, v68 op_sel_hi:[1,0,1]
	v_pk_fma_f16 v69, v131, v147, v69 op_sel_hi:[1,0,1]
	v_pk_fma_f16 v74, v131, v147, v74 op_sel:[0,1,0]
	v_pk_fma_f16 v75, v131, v148, v75 op_sel_hi:[1,0,1]
	v_pk_fma_f16 v70, v132, v147, v70 op_sel_hi:[1,0,1]
	v_pk_fma_f16 v76, v132, v147, v76 op_sel:[0,1,0]
	v_pk_fma_f16 v77, v132, v148, v77 op_sel_hi:[1,0,1]
	v_pk_fma_f16 v71, v133, v147, v71 op_sel_hi:[1,0,1]
	v_pk_fma_f16 v64, v134, v147, v64 op_sel_hi:[1,0,1]
	v_pk_fma_f16 v8, v134, v147, v8 op_sel:[0,1,0]
	v_pk_fma_f16 v9, v134, v148, v9 op_sel_hi:[1,0,1]
	v_pk_fma_f16 v65, v135, v147, v65 op_sel_hi:[1,0,1]
	v_pk_fma_f16 v66, v136, v147, v66 op_sel_hi:[1,0,1]
	v_pk_fma_f16 v4, v136, v147, v4 op_sel:[0,1,0]
	v_pk_fma_f16 v6, v136, v148, v6 op_sel_hi:[1,0,1]
	v_pk_fma_f16 v5, v136, v148, v5 op_sel:[0,1,0]
	v_pk_fma_f16 v78, v117, v111, v78 op_sel:[0,1,0]
	v_pk_fma_f16 v79, v117, v112, v79 op_sel_hi:[1,0,1]
	v_pk_fma_f16 v72, v135, v147, v72 op_sel:[0,1,0]
	v_pk_fma_f16 v73, v135, v148, v73 op_sel_hi:[1,0,1]
	v_pk_fma_f16 v7, v137, v149, v7 op_sel_hi:[1,0,1]
	v_pk_fma_f16 v10, v137, v149, v10 op_sel:[0,1,0]
	v_pk_fma_f16 v11, v137, v150, v11 op_sel_hi:[1,0,1]
	v_pk_fma_f16 v67, v138, v149, v67 op_sel:[0,1,0]
	v_pk_fma_f16 v68, v138, v150, v68 op_sel_hi:[1,0,1]
	v_pk_fma_f16 v69, v139, v149, v69 op_sel_hi:[1,0,1]
	v_pk_fma_f16 v74, v139, v149, v74 op_sel:[0,1,0]
	v_pk_fma_f16 v75, v139, v150, v75 op_sel_hi:[1,0,1]
	v_pk_fma_f16 v70, v140, v149, v70 op_sel_hi:[1,0,1]
	v_pk_fma_f16 v76, v140, v149, v76 op_sel:[0,1,0]
	v_pk_fma_f16 v77, v140, v150, v77 op_sel_hi:[1,0,1]
	;; [unrolled: 24-line block ×3, first 2 shown]
	v_pk_fma_f16 v100, v157, v151, v71 op_sel_hi:[1,0,1]
	v_pk_fma_f16 v101, v158, v151, v64 op_sel_hi:[1,0,1]
	v_pk_fma_f16 v102, v158, v151, v8 op_sel:[0,1,0]
	v_pk_fma_f16 v103, v158, v152, v9 op_sel_hi:[1,0,1]
	v_pk_fma_f16 v104, v159, v151, v65 op_sel_hi:[1,0,1]
	v_pk_fma_f16 v107, v160, v151, v66 op_sel_hi:[1,0,1]
	v_pk_fma_f16 v108, v160, v151, v4 op_sel:[0,1,0]
	v_pk_fma_f16 v109, v160, v152, v6 op_sel_hi:[1,0,1]
	v_pk_fma_f16 v110, v160, v152, v5 op_sel:[0,1,0]
	ds_load_2addr_b64 v[64:67], v63 offset0:64 offset1:96
	ds_load_b128 v[68:71], v40 offset:784
	ds_load_b128 v[8:11], v40 offset:800
	;; [unrolled: 1-line block ×3, first 2 shown]
	v_pk_fma_f16 v78, v133, v147, v78 op_sel:[0,1,0]
	v_pk_fma_f16 v79, v133, v148, v79 op_sel_hi:[1,0,1]
	v_pk_fma_f16 v105, v159, v151, v72 op_sel:[0,1,0]
	v_pk_fma_f16 v106, v159, v152, v73 op_sel_hi:[1,0,1]
	s_waitcnt lgkmcnt(4)
	v_pk_fma_f16 v87, v55, v59, v87 op_sel_hi:[1,0,1]
	v_pk_fma_f16 v88, v55, v59, v88 op_sel:[0,1,0]
	v_pk_fma_f16 v89, v55, v60, v89 op_sel_hi:[1,0,1]
	v_pk_fma_f16 v90, v55, v60, v90 op_sel:[0,1,0]
	;; [unrolled: 2-line block ×7, first 2 shown]
	ds_load_2addr_b64 v[72:75], v63 offset0:128 offset1:160
	v_pk_fma_f16 v77, v58, v60, v77 op_sel_hi:[1,0,1]
	v_pk_fma_f16 v99, v58, v60, v99 op_sel:[0,1,0]
	ds_load_2addr_b64 v[55:58], v63 offset0:192 offset1:224
	v_pk_fma_f16 v78, v141, v149, v78 op_sel:[0,1,0]
	v_pk_fma_f16 v79, v141, v150, v79 op_sel_hi:[1,0,1]
	v_pk_fma_f16 v84, v157, v152, v84 op_sel:[0,1,0]
	v_pk_fma_f16 v85, v158, v152, v85 op_sel:[0,1,0]
	;; [unrolled: 1-line block ×4, first 2 shown]
	v_pk_fma_f16 v79, v157, v152, v79 op_sel_hi:[1,0,1]
	s_waitcnt lgkmcnt(5)
	v_pk_fma_f16 v100, v64, v59, v100 op_sel_hi:[1,0,1]
	v_pk_fma_f16 v84, v64, v60, v84 op_sel:[0,1,0]
	v_pk_fma_f16 v101, v65, v59, v101 op_sel_hi:[1,0,1]
	v_pk_fma_f16 v78, v64, v59, v78 op_sel:[0,1,0]
	;; [unrolled: 2-line block ×8, first 2 shown]
	ds_load_2addr_b64 v[64:67], v52 offset1:32
	s_waitcnt lgkmcnt(2)
	v_pk_fma_f16 v87, v72, v61, v87 op_sel_hi:[1,0,1]
	v_pk_fma_f16 v88, v72, v61, v88 op_sel:[0,1,0]
	v_pk_fma_f16 v89, v72, v62, v89 op_sel_hi:[1,0,1]
	v_pk_fma_f16 v90, v72, v62, v90 op_sel:[0,1,0]
	v_pk_fma_f16 v91, v73, v61, v91 op_sel_hi:[1,0,1]
	v_pk_fma_f16 v93, v73, v61, v93 op_sel:[0,1,0]
	v_pk_fma_f16 v94, v73, v62, v94 op_sel_hi:[1,0,1]
	v_pk_fma_f16 v95, v73, v62, v95 op_sel:[0,1,0]
	v_pk_fma_f16 v96, v74, v61, v96 op_sel_hi:[1,0,1]
	v_pk_fma_f16 v109, v74, v61, v111 op_sel:[0,1,0]
	v_pk_fma_f16 v110, v74, v62, v112 op_sel_hi:[1,0,1]
	v_pk_fma_f16 v97, v74, v62, v97 op_sel:[0,1,0]
	v_pk_fma_f16 v98, v75, v61, v98 op_sel_hi:[1,0,1]
	v_pk_fma_f16 v76, v75, v61, v76 op_sel:[0,1,0]
	v_pk_fma_f16 v77, v75, v62, v77 op_sel_hi:[1,0,1]
	v_pk_fma_f16 v99, v75, v62, v99 op_sel:[0,1,0]
	s_waitcnt lgkmcnt(1)
	v_pk_fma_f16 v100, v55, v61, v100 op_sel_hi:[1,0,1]
	v_pk_fma_f16 v78, v55, v61, v78 op_sel:[0,1,0]
	v_pk_fma_f16 v79, v55, v62, v79 op_sel_hi:[1,0,1]
	v_pk_fma_f16 v84, v55, v62, v84 op_sel:[0,1,0]
	;; [unrolled: 2-line block ×7, first 2 shown]
	ds_load_2addr_b64 v[72:75], v52 offset0:64 offset1:96
	v_pk_fma_f16 v108, v58, v62, v108 op_sel_hi:[1,0,1]
	v_pk_fma_f16 v111, v58, v62, v60 op_sel:[0,1,0]
	ds_load_2addr_b64 v[55:58], v52 offset0:128 offset1:160
	s_waitcnt lgkmcnt(2)
	v_pk_fma_f16 v87, v64, v68, v87 op_sel_hi:[1,0,1]
	v_pk_fma_f16 v88, v64, v68, v88 op_sel:[0,1,0]
	v_pk_fma_f16 v89, v64, v69, v89 op_sel_hi:[1,0,1]
	v_pk_fma_f16 v64, v64, v69, v90 op_sel:[0,1,0]
	;; [unrolled: 2-line block ×8, first 2 shown]
	s_waitcnt lgkmcnt(1)
	v_pk_fma_f16 v99, v72, v68, v100 op_sel_hi:[1,0,1]
	v_pk_fma_f16 v78, v72, v68, v78 op_sel:[0,1,0]
	v_pk_fma_f16 v79, v72, v69, v79 op_sel_hi:[1,0,1]
	v_pk_fma_f16 v72, v72, v69, v84 op_sel:[0,1,0]
	;; [unrolled: 2-line block ×7, first 2 shown]
	ds_load_2addr_b64 v[59:62], v52 offset0:192 offset1:224
	v_pk_fma_f16 v104, v75, v69, v108 op_sel_hi:[1,0,1]
	v_pk_fma_f16 v69, v75, v69, v111 op_sel:[0,1,0]
	s_waitcnt lgkmcnt(1)
	v_pk_fma_f16 v75, v55, v70, v87 op_sel_hi:[1,0,1]
	v_pk_fma_f16 v87, v55, v70, v88 op_sel:[0,1,0]
	v_pk_fma_f16 v88, v55, v71, v89 op_sel_hi:[1,0,1]
	v_pk_fma_f16 v89, v55, v71, v64 op_sel:[0,1,0]
	v_pk_fma_f16 v105, v56, v71, v65 op_sel:[0,1,0]
	;; [unrolled: 1-line block ×3, first 2 shown]
	ds_load_2addr_b64 v[64:67], v53 offset1:32
	v_pk_fma_f16 v90, v56, v70, v90 op_sel_hi:[1,0,1]
	v_pk_fma_f16 v91, v56, v70, v91 op_sel:[0,1,0]
	v_pk_fma_f16 v93, v56, v71, v93 op_sel_hi:[1,0,1]
	v_pk_fma_f16 v94, v57, v70, v94 op_sel_hi:[1,0,1]
	v_pk_fma_f16 v95, v57, v70, v95 op_sel:[0,1,0]
	v_pk_fma_f16 v96, v57, v71, v96 op_sel_hi:[1,0,1]
	;; [unrolled: 3-line block ×3, first 2 shown]
	v_pk_fma_f16 v98, v58, v71, v98 op_sel:[0,1,0]
	ds_load_2addr_b64 v[55:58], v53 offset0:64 offset1:96
	s_or_b32 s4, s13, 0x70
	s_waitcnt lgkmcnt(2)
	v_pk_fma_f16 v99, v59, v70, v99 op_sel_hi:[1,0,1]
	v_pk_fma_f16 v78, v59, v70, v78 op_sel:[0,1,0]
	v_pk_fma_f16 v79, v59, v71, v79 op_sel_hi:[1,0,1]
	v_pk_fma_f16 v72, v59, v71, v72 op_sel:[0,1,0]
	;; [unrolled: 2-line block ×8, first 2 shown]
	s_waitcnt lgkmcnt(1)
	v_pk_fma_f16 v71, v64, v8, v75 op_sel_hi:[1,0,1]
	v_pk_fma_f16 v75, v64, v8, v87 op_sel:[0,1,0]
	v_pk_fma_f16 v87, v64, v9, v88 op_sel_hi:[1,0,1]
	v_pk_fma_f16 v88, v64, v9, v89 op_sel:[0,1,0]
	;; [unrolled: 2-line block ×7, first 2 shown]
	ds_load_2addr_b64 v[59:62], v53 offset0:128 offset1:160
	v_pk_fma_f16 v77, v67, v9, v77 op_sel_hi:[1,0,1]
	v_pk_fma_f16 v98, v67, v9, v98 op_sel:[0,1,0]
	ds_load_2addr_b64 v[64:67], v53 offset0:192 offset1:224
	s_mul_hi_i32 s21, s4, s10
	s_mul_i32 s20, s4, s10
	s_waitcnt lgkmcnt(2)
	v_pk_fma_f16 v99, v55, v8, v99 op_sel_hi:[1,0,1]
	s_lshl_b64 s[20:21], s[20:21], 2
	v_pk_fma_f16 v78, v55, v8, v78 op_sel:[0,1,0]
	s_add_u32 s4, s11, s20
	v_pk_fma_f16 v79, v55, v9, v79 op_sel_hi:[1,0,1]
	v_pk_fma_f16 v55, v55, v9, v72 op_sel:[0,1,0]
	v_pk_fma_f16 v72, v56, v8, v84 op_sel_hi:[1,0,1]
	v_pk_fma_f16 v177, v56, v8, v100 op_sel:[0,1,0]
	;; [unrolled: 2-line block ×4, first 2 shown]
	s_addc_u32 s19, s16, s21
	v_add_co_u32 v8, vcc_lo, s4, v27
	v_pk_fma_f16 v178, v56, v9, v101 op_sel_hi:[1,0,1]
	v_pk_fma_f16 v179, v56, v9, v73 op_sel:[0,1,0]
	v_pk_fma_f16 v182, v57, v9, v103 op_sel_hi:[1,0,1]
	v_pk_fma_f16 v183, v57, v9, v74 op_sel:[0,1,0]
	;; [unrolled: 2-line block ×3, first 2 shown]
	v_add_co_ci_u32_e32 v9, vcc_lo, s19, v28, vcc_lo
	v_add_co_u32 v161, vcc_lo, s4, v29
	v_add_co_ci_u32_e32 v162, vcc_lo, s19, v30, vcc_lo
	v_add_co_u32 v8, vcc_lo, v8, v92
	s_delay_alu instid0(VALU_DEP_4) | instskip(NEXT) | instid1(VALU_DEP_4)
	v_add_co_ci_u32_e32 v9, vcc_lo, 0, v9, vcc_lo
	v_add_co_u32 v173, vcc_lo, v161, v92
	s_delay_alu instid0(VALU_DEP_4)
	v_add_co_ci_u32_e32 v174, vcc_lo, 0, v162, vcc_lo
	s_waitcnt lgkmcnt(1)
	v_pk_fma_f16 v188, v59, v10, v71 op_sel_hi:[1,0,1]
	v_pk_fma_f16 v189, v59, v10, v75 op_sel:[0,1,0]
	v_pk_fma_f16 v190, v59, v11, v87 op_sel_hi:[1,0,1]
	v_pk_fma_f16 v191, v59, v11, v88 op_sel:[0,1,0]
	;; [unrolled: 2-line block ×8, first 2 shown]
	s_waitcnt lgkmcnt(0)
	v_pk_fma_f16 v204, v64, v10, v99 op_sel_hi:[1,0,1]
	v_pk_fma_f16 v205, v64, v10, v78 op_sel:[0,1,0]
	v_pk_fma_f16 v206, v64, v11, v79 op_sel_hi:[1,0,1]
	v_pk_fma_f16 v64, v64, v11, v55 op_sel:[0,1,0]
	v_pk_fma_f16 v207, v65, v10, v72 op_sel_hi:[1,0,1]
	ds_load_2addr_b64 v[55:58], v54 offset1:32
	ds_load_2addr_b64 v[59:62], v54 offset0:64 offset1:96
	ds_load_2addr_b64 v[68:71], v54 offset0:128 offset1:160
	;; [unrolled: 1-line block ×3, first 2 shown]
	ds_load_2addr_b64 v[76:79], v51 offset1:32
	ds_load_2addr_b64 v[84:87], v51 offset0:64 offset1:96
	ds_load_2addr_b64 v[88:91], v51 offset0:128 offset1:160
	;; [unrolled: 1-line block ×3, first 2 shown]
	ds_load_2addr_b64 v[97:100], v50 offset1:32
	ds_load_2addr_b64 v[101:104], v50 offset0:64 offset1:96
	ds_load_b128 v[105:108], v40 offset:832
	ds_load_b128 v[109:112], v40 offset:848
	ds_load_2addr_b64 v[113:116], v50 offset0:128 offset1:160
	ds_load_2addr_b64 v[117:120], v50 offset0:192 offset1:224
	ds_load_2addr_b64 v[121:124], v49 offset1:32
	ds_load_2addr_b64 v[125:128], v49 offset0:64 offset1:96
	ds_load_2addr_b64 v[129:132], v49 offset0:128 offset1:160
	;; [unrolled: 1-line block ×3, first 2 shown]
	ds_load_2addr_b64 v[137:140], v48 offset1:32
	ds_load_2addr_b64 v[141:144], v48 offset0:64 offset1:96
	ds_load_b128 v[145:148], v40 offset:864
	ds_load_b128 v[149:152], v40 offset:880
	ds_load_2addr_b64 v[153:156], v48 offset0:128 offset1:160
	ds_load_2addr_b64 v[157:160], v48 offset0:192 offset1:224
	s_waitcnt lgkmcnt(0)
	s_barrier
	buffer_gl0_inv
	s_clause 0x3
	global_load_b128 v[161:164], v[8:9], off
	global_load_b128 v[165:168], v[8:9], off offset:512
	global_load_b128 v[169:172], v[173:174], off
	global_load_b128 v[173:176], v[173:174], off offset:512
	v_pk_fma_f16 v8, v65, v10, v177 op_sel:[0,1,0]
	v_pk_fma_f16 v9, v65, v11, v178 op_sel_hi:[1,0,1]
	v_pk_fma_f16 v65, v65, v11, v179 op_sel:[0,1,0]
	v_pk_fma_f16 v92, v66, v10, v180 op_sel_hi:[1,0,1]
	;; [unrolled: 2-line block ×53, first 2 shown]
	v_pk_fma_f16 v58, v79, v106, v58 op_sel:[0,1,0]
	v_pk_fma_f16 v8, v102, v109, v8 op_sel:[0,1,0]
	v_pk_fma_f16 v9, v102, v110, v9 op_sel_hi:[1,0,1]
	v_pk_fma_f16 v4, v104, v109, v4 op_sel:[0,1,0]
	v_pk_fma_f16 v6, v104, v110, v6 op_sel_hi:[1,0,1]
	v_pk_fma_f16 v5, v104, v110, v5 op_sel:[0,1,0]
	v_pk_fma_f16 v7, v113, v111, v7 op_sel_hi:[1,0,1]
	v_pk_fma_f16 v10, v113, v111, v10 op_sel:[0,1,0]
	v_pk_fma_f16 v11, v113, v112, v11 op_sel_hi:[1,0,1]
	v_pk_fma_f16 v71, v84, v105, v71 op_sel_hi:[1,0,1]
	v_pk_fma_f16 v59, v84, v106, v59 op_sel:[0,1,0]
	v_pk_fma_f16 v64, v85, v105, v64 op_sel_hi:[1,0,1]
	v_pk_fma_f16 v60, v85, v106, v60 op_sel:[0,1,0]
	v_pk_fma_f16 v65, v86, v105, v65 op_sel_hi:[1,0,1]
	v_pk_fma_f16 v61, v86, v106, v61 op_sel:[0,1,0]
	v_pk_fma_f16 v66, v87, v105, v66 op_sel_hi:[1,0,1]
	v_pk_fma_f16 v72, v86, v105, v72 op_sel:[0,1,0]
	v_pk_fma_f16 v73, v86, v106, v73 op_sel_hi:[1,0,1]
	v_pk_fma_f16 v55, v88, v108, v55 op_sel:[0,1,0]
	v_pk_fma_f16 v62, v89, v107, v62 op_sel_hi:[1,0,1]
	v_pk_fma_f16 v67, v89, v107, v67 op_sel:[0,1,0]
	v_pk_fma_f16 v68, v89, v108, v68 op_sel_hi:[1,0,1]
	v_pk_fma_f16 v56, v89, v108, v56 op_sel:[0,1,0]
	v_pk_fma_f16 v69, v90, v107, v69 op_sel_hi:[1,0,1]
	v_pk_fma_f16 v74, v90, v107, v74 op_sel:[0,1,0]
	v_pk_fma_f16 v75, v90, v108, v75 op_sel_hi:[1,0,1]
	v_pk_fma_f16 v57, v90, v108, v57 op_sel:[0,1,0]
	v_pk_fma_f16 v70, v91, v107, v70 op_sel_hi:[1,0,1]
	v_pk_fma_f16 v76, v91, v107, v76 op_sel:[0,1,0]
	v_pk_fma_f16 v77, v91, v108, v77 op_sel_hi:[1,0,1]
	v_pk_fma_f16 v58, v91, v108, v58 op_sel:[0,1,0]
	v_pk_fma_f16 v8, v118, v111, v8 op_sel:[0,1,0]
	v_pk_fma_f16 v9, v118, v112, v9 op_sel_hi:[1,0,1]
	v_pk_fma_f16 v4, v120, v111, v4 op_sel:[0,1,0]
	v_pk_fma_f16 v6, v120, v112, v6 op_sel_hi:[1,0,1]
	v_pk_fma_f16 v5, v120, v112, v5 op_sel:[0,1,0]
	v_pk_fma_f16 v7, v121, v145, v7 op_sel_hi:[1,0,1]
	v_pk_fma_f16 v10, v121, v145, v10 op_sel:[0,1,0]
	v_pk_fma_f16 v11, v121, v146, v11 op_sel_hi:[1,0,1]
	v_pk_fma_f16 v71, v93, v107, v71 op_sel_hi:[1,0,1]
	v_pk_fma_f16 v59, v93, v108, v59 op_sel:[0,1,0]
	v_pk_fma_f16 v64, v94, v107, v64 op_sel_hi:[1,0,1]
	v_pk_fma_f16 v60, v94, v108, v60 op_sel:[0,1,0]
	v_pk_fma_f16 v65, v95, v107, v65 op_sel_hi:[1,0,1]
	v_pk_fma_f16 v61, v95, v108, v61 op_sel:[0,1,0]
	v_pk_fma_f16 v66, v96, v107, v66 op_sel_hi:[1,0,1]
	v_pk_fma_f16 v72, v95, v107, v72 op_sel:[0,1,0]
	v_pk_fma_f16 v73, v95, v108, v73 op_sel_hi:[1,0,1]
	v_pk_fma_f16 v55, v97, v110, v55 op_sel:[0,1,0]
	v_pk_fma_f16 v62, v98, v109, v62 op_sel_hi:[1,0,1]
	v_pk_fma_f16 v67, v98, v109, v67 op_sel:[0,1,0]
	v_pk_fma_f16 v68, v98, v110, v68 op_sel_hi:[1,0,1]
	v_pk_fma_f16 v56, v98, v110, v56 op_sel:[0,1,0]
	v_pk_fma_f16 v69, v99, v109, v69 op_sel_hi:[1,0,1]
	v_pk_fma_f16 v74, v99, v109, v74 op_sel:[0,1,0]
	v_pk_fma_f16 v75, v99, v110, v75 op_sel_hi:[1,0,1]
	v_pk_fma_f16 v57, v99, v110, v57 op_sel:[0,1,0]
	v_pk_fma_f16 v70, v100, v109, v70 op_sel_hi:[1,0,1]
	v_pk_fma_f16 v76, v100, v109, v76 op_sel:[0,1,0]
	v_pk_fma_f16 v77, v100, v110, v77 op_sel_hi:[1,0,1]
	;; [unrolled: 30-line block ×3, first 2 shown]
	v_pk_fma_f16 v76, v116, v111, v76 op_sel:[0,1,0]
	v_pk_fma_f16 v77, v116, v112, v77 op_sel_hi:[1,0,1]
	v_pk_fma_f16 v58, v116, v112, v58 op_sel:[0,1,0]
	v_pk_fma_f16 v8, v134, v147, v8 op_sel:[0,1,0]
	v_pk_fma_f16 v9, v134, v148, v9 op_sel_hi:[1,0,1]
	v_pk_fma_f16 v4, v136, v147, v4 op_sel:[0,1,0]
	v_pk_fma_f16 v6, v136, v148, v6 op_sel_hi:[1,0,1]
	;; [unrolled: 2-line block ×4, first 2 shown]
	v_pk_fma_f16 v71, v117, v111, v71 op_sel_hi:[1,0,1]
	v_pk_fma_f16 v59, v117, v112, v59 op_sel:[0,1,0]
	v_pk_fma_f16 v64, v118, v111, v64 op_sel_hi:[1,0,1]
	v_pk_fma_f16 v60, v118, v112, v60 op_sel:[0,1,0]
	v_pk_fma_f16 v65, v119, v111, v65 op_sel_hi:[1,0,1]
	v_pk_fma_f16 v61, v119, v112, v61 op_sel:[0,1,0]
	v_pk_fma_f16 v66, v120, v111, v66 op_sel_hi:[1,0,1]
	v_pk_fma_f16 v78, v93, v107, v78 op_sel:[0,1,0]
	v_pk_fma_f16 v79, v93, v108, v79 op_sel_hi:[1,0,1]
	v_pk_fma_f16 v72, v119, v111, v72 op_sel:[0,1,0]
	v_pk_fma_f16 v73, v119, v112, v73 op_sel_hi:[1,0,1]
	v_pk_fma_f16 v55, v121, v146, v55 op_sel:[0,1,0]
	v_pk_fma_f16 v62, v122, v145, v62 op_sel_hi:[1,0,1]
	v_pk_fma_f16 v67, v122, v145, v67 op_sel:[0,1,0]
	v_pk_fma_f16 v68, v122, v146, v68 op_sel_hi:[1,0,1]
	v_pk_fma_f16 v56, v122, v146, v56 op_sel:[0,1,0]
	v_pk_fma_f16 v69, v123, v145, v69 op_sel_hi:[1,0,1]
	v_pk_fma_f16 v74, v123, v145, v74 op_sel:[0,1,0]
	v_pk_fma_f16 v75, v123, v146, v75 op_sel_hi:[1,0,1]
	v_pk_fma_f16 v57, v123, v146, v57 op_sel:[0,1,0]
	v_pk_fma_f16 v70, v124, v145, v70 op_sel_hi:[1,0,1]
	v_pk_fma_f16 v76, v124, v145, v76 op_sel:[0,1,0]
	v_pk_fma_f16 v77, v124, v146, v77 op_sel_hi:[1,0,1]
	v_pk_fma_f16 v58, v124, v146, v58 op_sel:[0,1,0]
	v_pk_fma_f16 v84, v142, v149, v8 op_sel:[0,1,0]
	v_pk_fma_f16 v85, v142, v150, v9 op_sel_hi:[1,0,1]
	v_pk_fma_f16 v86, v144, v149, v4 op_sel:[0,1,0]
	v_pk_fma_f16 v87, v144, v150, v6 op_sel_hi:[1,0,1]
	;; [unrolled: 2-line block ×4, first 2 shown]
	s_waitcnt vmcnt(3)
	ds_store_b128 v42, v[161:164]
	s_waitcnt vmcnt(2)
	ds_store_b128 v43, v[165:168]
	;; [unrolled: 2-line block ×4, first 2 shown]
	s_waitcnt lgkmcnt(0)
	s_barrier
	buffer_gl0_inv
	ds_load_2addr_b64 v[4:7], v63 offset1:32
	ds_load_b128 v[8:11], v40 offset:896
	v_pk_fma_f16 v71, v125, v145, v71 op_sel_hi:[1,0,1]
	v_pk_fma_f16 v59, v125, v146, v59 op_sel:[0,1,0]
	v_pk_fma_f16 v64, v126, v145, v64 op_sel_hi:[1,0,1]
	v_pk_fma_f16 v60, v126, v146, v60 op_sel:[0,1,0]
	;; [unrolled: 2-line block ×39, first 2 shown]
	v_pk_fma_f16 v109, v160, v151, v66 op_sel_hi:[1,0,1]
	ds_load_2addr_b64 v[55:58], v63 offset0:64 offset1:96
	ds_load_b128 v[59:62], v40 offset:912
	ds_load_b128 v[64:67], v40 offset:928
	ds_load_b128 v[68:71], v40 offset:944
	v_pk_fma_f16 v78, v133, v147, v78 op_sel:[0,1,0]
	v_pk_fma_f16 v79, v133, v148, v79 op_sel_hi:[1,0,1]
	v_pk_fma_f16 v106, v159, v151, v72 op_sel:[0,1,0]
	v_pk_fma_f16 v107, v159, v152, v73 op_sel_hi:[1,0,1]
	s_waitcnt lgkmcnt(4)
	v_pk_fma_f16 v89, v4, v8, v89 op_sel_hi:[1,0,1]
	v_pk_fma_f16 v90, v4, v8, v90 op_sel:[0,1,0]
	v_pk_fma_f16 v91, v4, v9, v91 op_sel_hi:[1,0,1]
	v_pk_fma_f16 v92, v4, v9, v92 op_sel:[0,1,0]
	;; [unrolled: 2-line block ×7, first 2 shown]
	ds_load_2addr_b64 v[72:75], v63 offset0:128 offset1:160
	v_pk_fma_f16 v77, v7, v9, v77 op_sel_hi:[1,0,1]
	v_pk_fma_f16 v100, v7, v9, v100 op_sel:[0,1,0]
	ds_load_2addr_b64 v[4:7], v63 offset0:192 offset1:224
	v_pk_fma_f16 v78, v141, v149, v78 op_sel:[0,1,0]
	v_pk_fma_f16 v79, v141, v150, v79 op_sel_hi:[1,0,1]
	v_pk_fma_f16 v84, v158, v151, v84 op_sel:[0,1,0]
	v_pk_fma_f16 v85, v158, v152, v85 op_sel_hi:[1,0,1]
	v_pk_fma_f16 v86, v160, v151, v86 op_sel:[0,1,0]
	v_pk_fma_f16 v78, v157, v151, v78 op_sel:[0,1,0]
	v_pk_fma_f16 v79, v157, v152, v79 op_sel_hi:[1,0,1]
	v_pk_fma_f16 v87, v160, v152, v87 op_sel_hi:[1,0,1]
	v_pk_fma_f16 v88, v160, v152, v88 op_sel:[0,1,0]
	s_waitcnt lgkmcnt(5)
	v_pk_fma_f16 v101, v55, v8, v101 op_sel_hi:[1,0,1]
	v_pk_fma_f16 v78, v55, v8, v78 op_sel:[0,1,0]
	v_pk_fma_f16 v79, v55, v9, v79 op_sel_hi:[1,0,1]
	v_pk_fma_f16 v102, v55, v9, v102 op_sel:[0,1,0]
	v_pk_fma_f16 v103, v56, v8, v103 op_sel_hi:[1,0,1]
	v_pk_fma_f16 v84, v56, v8, v84 op_sel:[0,1,0]
	v_pk_fma_f16 v85, v56, v9, v85 op_sel_hi:[1,0,1]
	v_pk_fma_f16 v104, v56, v9, v104 op_sel:[0,1,0]
	v_pk_fma_f16 v105, v57, v8, v105 op_sel_hi:[1,0,1]
	v_pk_fma_f16 v106, v57, v8, v106 op_sel:[0,1,0]
	v_pk_fma_f16 v107, v57, v9, v107 op_sel_hi:[1,0,1]
	v_pk_fma_f16 v108, v57, v9, v108 op_sel:[0,1,0]
	v_pk_fma_f16 v109, v58, v8, v109 op_sel_hi:[1,0,1]
	v_pk_fma_f16 v8, v58, v8, v86 op_sel:[0,1,0]
	v_pk_fma_f16 v63, v58, v9, v87 op_sel_hi:[1,0,1]
	v_pk_fma_f16 v9, v58, v9, v88 op_sel:[0,1,0]
	ds_load_2addr_b64 v[55:58], v52 offset1:32
	s_waitcnt lgkmcnt(2)
	v_pk_fma_f16 v86, v72, v10, v89 op_sel_hi:[1,0,1]
	v_pk_fma_f16 v87, v72, v10, v90 op_sel:[0,1,0]
	v_pk_fma_f16 v88, v72, v11, v91 op_sel_hi:[1,0,1]
	v_pk_fma_f16 v89, v72, v11, v92 op_sel:[0,1,0]
	;; [unrolled: 2-line block ×8, first 2 shown]
	s_waitcnt lgkmcnt(1)
	v_pk_fma_f16 v100, v4, v10, v101 op_sel_hi:[1,0,1]
	v_pk_fma_f16 v78, v4, v10, v78 op_sel:[0,1,0]
	v_pk_fma_f16 v79, v4, v11, v79 op_sel_hi:[1,0,1]
	v_pk_fma_f16 v101, v4, v11, v102 op_sel:[0,1,0]
	;; [unrolled: 2-line block ×7, first 2 shown]
	ds_load_2addr_b64 v[72:75], v52 offset0:64 offset1:96
	v_pk_fma_f16 v63, v7, v11, v63 op_sel_hi:[1,0,1]
	v_pk_fma_f16 v109, v7, v11, v9 op_sel:[0,1,0]
	ds_load_2addr_b64 v[4:7], v52 offset0:128 offset1:160
	s_waitcnt lgkmcnt(2)
	v_pk_fma_f16 v86, v55, v59, v86 op_sel_hi:[1,0,1]
	v_pk_fma_f16 v87, v55, v59, v87 op_sel:[0,1,0]
	v_pk_fma_f16 v88, v55, v60, v88 op_sel_hi:[1,0,1]
	v_pk_fma_f16 v55, v55, v60, v89 op_sel:[0,1,0]
	;; [unrolled: 2-line block ×8, first 2 shown]
	s_waitcnt lgkmcnt(1)
	v_pk_fma_f16 v97, v72, v59, v100 op_sel_hi:[1,0,1]
	v_pk_fma_f16 v78, v72, v59, v78 op_sel:[0,1,0]
	v_pk_fma_f16 v79, v72, v60, v79 op_sel_hi:[1,0,1]
	v_pk_fma_f16 v72, v72, v60, v101 op_sel:[0,1,0]
	;; [unrolled: 2-line block ×7, first 2 shown]
	ds_load_2addr_b64 v[8:11], v52 offset0:192 offset1:224
	v_pk_fma_f16 v52, v75, v60, v63 op_sel_hi:[1,0,1]
	v_pk_fma_f16 v60, v75, v60, v109 op_sel:[0,1,0]
	s_waitcnt lgkmcnt(1)
	v_pk_fma_f16 v63, v4, v61, v86 op_sel_hi:[1,0,1]
	v_pk_fma_f16 v75, v4, v61, v87 op_sel:[0,1,0]
	v_pk_fma_f16 v86, v4, v62, v88 op_sel_hi:[1,0,1]
	v_pk_fma_f16 v87, v4, v62, v55 op_sel:[0,1,0]
	v_pk_fma_f16 v88, v5, v61, v89 op_sel_hi:[1,0,1]
	v_pk_fma_f16 v89, v5, v61, v90 op_sel:[0,1,0]
	v_pk_fma_f16 v90, v5, v62, v91 op_sel_hi:[1,0,1]
	v_pk_fma_f16 v91, v5, v62, v56 op_sel:[0,1,0]
	v_pk_fma_f16 v103, v6, v62, v57 op_sel:[0,1,0]
	ds_load_2addr_b64 v[55:58], v53 offset1:32
	v_pk_fma_f16 v92, v6, v61, v92 op_sel_hi:[1,0,1]
	v_pk_fma_f16 v93, v6, v61, v93 op_sel:[0,1,0]
	v_pk_fma_f16 v94, v6, v62, v94 op_sel_hi:[1,0,1]
	v_pk_fma_f16 v95, v7, v61, v95 op_sel_hi:[1,0,1]
	v_pk_fma_f16 v76, v7, v61, v76 op_sel:[0,1,0]
	v_pk_fma_f16 v77, v7, v62, v77 op_sel_hi:[1,0,1]
	v_pk_fma_f16 v96, v7, v62, v96 op_sel:[0,1,0]
	ds_load_2addr_b64 v[4:7], v53 offset0:64 offset1:96
	s_waitcnt lgkmcnt(2)
	v_pk_fma_f16 v97, v8, v61, v97 op_sel_hi:[1,0,1]
	v_pk_fma_f16 v78, v8, v61, v78 op_sel:[0,1,0]
	v_pk_fma_f16 v79, v8, v62, v79 op_sel_hi:[1,0,1]
	v_pk_fma_f16 v72, v8, v62, v72 op_sel:[0,1,0]
	;; [unrolled: 2-line block ×8, first 2 shown]
	s_waitcnt lgkmcnt(1)
	v_pk_fma_f16 v61, v55, v64, v63 op_sel_hi:[1,0,1]
	v_pk_fma_f16 v62, v55, v64, v75 op_sel:[0,1,0]
	v_pk_fma_f16 v63, v55, v65, v86 op_sel_hi:[1,0,1]
	v_pk_fma_f16 v75, v55, v65, v87 op_sel:[0,1,0]
	;; [unrolled: 2-line block ×7, first 2 shown]
	ds_load_2addr_b64 v[8:11], v53 offset0:128 offset1:160
	v_pk_fma_f16 v77, v58, v65, v77 op_sel_hi:[1,0,1]
	v_pk_fma_f16 v95, v58, v65, v96 op_sel:[0,1,0]
	ds_load_2addr_b64 v[55:58], v53 offset0:192 offset1:224
	s_waitcnt lgkmcnt(2)
	v_pk_fma_f16 v96, v4, v64, v97 op_sel_hi:[1,0,1]
	v_pk_fma_f16 v78, v4, v64, v78 op_sel:[0,1,0]
	v_pk_fma_f16 v79, v4, v65, v79 op_sel_hi:[1,0,1]
	v_pk_fma_f16 v72, v4, v65, v72 op_sel:[0,1,0]
	;; [unrolled: 2-line block ×8, first 2 shown]
	ds_load_2addr_b64 v[4:7], v54 offset1:32
	s_waitcnt lgkmcnt(2)
	v_pk_fma_f16 v60, v8, v66, v61 op_sel_hi:[1,0,1]
	v_pk_fma_f16 v61, v8, v66, v62 op_sel:[0,1,0]
	v_pk_fma_f16 v62, v8, v67, v63 op_sel_hi:[1,0,1]
	v_pk_fma_f16 v63, v8, v67, v75 op_sel:[0,1,0]
	;; [unrolled: 2-line block ×8, first 2 shown]
	s_waitcnt lgkmcnt(1)
	v_pk_fma_f16 v93, v55, v66, v96 op_sel_hi:[1,0,1]
	v_pk_fma_f16 v78, v55, v66, v78 op_sel:[0,1,0]
	v_pk_fma_f16 v79, v55, v67, v79 op_sel_hi:[1,0,1]
	v_pk_fma_f16 v72, v55, v67, v72 op_sel:[0,1,0]
	;; [unrolled: 2-line block ×7, first 2 shown]
	ds_load_2addr_b64 v[8:11], v54 offset0:64 offset1:96
	v_pk_fma_f16 v52, v58, v67, v52 op_sel_hi:[1,0,1]
	v_pk_fma_f16 v53, v58, v67, v53 op_sel:[0,1,0]
	ds_load_2addr_b64 v[55:58], v54 offset0:128 offset1:160
	s_waitcnt lgkmcnt(2)
	v_pk_fma_f16 v60, v4, v68, v60 op_sel_hi:[1,0,1]
	v_pk_fma_f16 v61, v4, v68, v61 op_sel:[0,1,0]
	v_pk_fma_f16 v62, v4, v69, v62 op_sel_hi:[1,0,1]
	v_pk_fma_f16 v63, v4, v69, v63 op_sel:[0,1,0]
	;; [unrolled: 2-line block ×8, first 2 shown]
	ds_load_2addr_b64 v[4:7], v54 offset0:192 offset1:224
	s_waitcnt lgkmcnt(2)
	v_pk_fma_f16 v91, v8, v68, v93 op_sel_hi:[1,0,1]
	v_pk_fma_f16 v78, v8, v68, v78 op_sel:[0,1,0]
	v_pk_fma_f16 v79, v8, v69, v79 op_sel_hi:[1,0,1]
	v_pk_fma_f16 v72, v8, v69, v72 op_sel:[0,1,0]
	;; [unrolled: 2-line block ×8, first 2 shown]
	s_waitcnt lgkmcnt(1)
	v_pk_fma_f16 v60, v55, v70, v60 op_sel_hi:[1,0,1]
	v_pk_fma_f16 v61, v55, v70, v61 op_sel:[0,1,0]
	v_pk_fma_f16 v62, v55, v71, v62 op_sel_hi:[1,0,1]
	v_pk_fma_f16 v63, v55, v71, v63 op_sel:[0,1,0]
	ds_load_2addr_b64 v[8:11], v51 offset1:32
	ds_load_b128 v[52:55], v40 offset:960
	v_pk_fma_f16 v64, v56, v70, v64 op_sel_hi:[1,0,1]
	v_pk_fma_f16 v65, v56, v70, v65 op_sel:[0,1,0]
	v_pk_fma_f16 v66, v56, v71, v66 op_sel_hi:[1,0,1]
	v_pk_fma_f16 v67, v56, v71, v67 op_sel:[0,1,0]
	;; [unrolled: 2-line block ×6, first 2 shown]
	s_waitcnt lgkmcnt(2)
	v_pk_fma_f16 v91, v4, v70, v91 op_sel_hi:[1,0,1]
	v_pk_fma_f16 v78, v4, v70, v78 op_sel:[0,1,0]
	v_pk_fma_f16 v92, v5, v70, v92 op_sel_hi:[1,0,1]
	v_pk_fma_f16 v84, v5, v70, v84 op_sel:[0,1,0]
	;; [unrolled: 2-line block ×4, first 2 shown]
	ds_load_2addr_b64 v[56:59], v51 offset0:64 offset1:96
	v_pk_fma_f16 v79, v4, v71, v79 op_sel_hi:[1,0,1]
	v_pk_fma_f16 v72, v4, v71, v72 op_sel:[0,1,0]
	v_pk_fma_f16 v85, v5, v71, v85 op_sel_hi:[1,0,1]
	v_pk_fma_f16 v73, v5, v71, v73 op_sel:[0,1,0]
	;; [unrolled: 2-line block ×4, first 2 shown]
	s_waitcnt lgkmcnt(1)
	v_pk_fma_f16 v71, v8, v52, v60 op_sel_hi:[1,0,1]
	v_pk_fma_f16 v97, v8, v52, v61 op_sel:[0,1,0]
	v_pk_fma_f16 v98, v8, v53, v62 op_sel_hi:[1,0,1]
	v_pk_fma_f16 v99, v8, v53, v63 op_sel:[0,1,0]
	;; [unrolled: 2-line block ×7, first 2 shown]
	ds_load_2addr_b64 v[60:63], v51 offset0:128 offset1:160
	v_pk_fma_f16 v77, v11, v53, v77 op_sel_hi:[1,0,1]
	v_pk_fma_f16 v90, v11, v53, v90 op_sel:[0,1,0]
	ds_load_2addr_b64 v[8:11], v51 offset0:192 offset1:224
	s_waitcnt lgkmcnt(2)
	v_pk_fma_f16 v91, v56, v52, v91 op_sel_hi:[1,0,1]
	v_pk_fma_f16 v78, v56, v52, v78 op_sel:[0,1,0]
	v_pk_fma_f16 v92, v57, v52, v92 op_sel_hi:[1,0,1]
	v_pk_fma_f16 v84, v57, v52, v84 op_sel:[0,1,0]
	;; [unrolled: 2-line block ×4, first 2 shown]
	ds_load_b128 v[4:7], v40 offset:976
	v_pk_fma_f16 v79, v56, v53, v79 op_sel_hi:[1,0,1]
	v_pk_fma_f16 v72, v56, v53, v72 op_sel:[0,1,0]
	v_pk_fma_f16 v85, v57, v53, v85 op_sel_hi:[1,0,1]
	v_pk_fma_f16 v73, v57, v53, v73 op_sel:[0,1,0]
	;; [unrolled: 2-line block ×4, first 2 shown]
	s_waitcnt lgkmcnt(2)
	v_pk_fma_f16 v70, v60, v54, v71 op_sel_hi:[1,0,1]
	v_pk_fma_f16 v71, v60, v54, v97 op_sel:[0,1,0]
	v_pk_fma_f16 v64, v61, v54, v64 op_sel_hi:[1,0,1]
	v_pk_fma_f16 v65, v61, v54, v65 op_sel:[0,1,0]
	;; [unrolled: 2-line block ×6, first 2 shown]
	ds_load_2addr_b64 v[56:59], v50 offset1:32
	v_pk_fma_f16 v77, v63, v55, v77 op_sel_hi:[1,0,1]
	v_pk_fma_f16 v63, v63, v55, v90 op_sel:[0,1,0]
	s_waitcnt lgkmcnt(2)
	v_pk_fma_f16 v88, v8, v54, v91 op_sel_hi:[1,0,1]
	v_pk_fma_f16 v78, v8, v54, v78 op_sel:[0,1,0]
	v_pk_fma_f16 v89, v9, v54, v92 op_sel_hi:[1,0,1]
	v_pk_fma_f16 v84, v9, v54, v84 op_sel:[0,1,0]
	;; [unrolled: 2-line block ×4, first 2 shown]
	ds_load_2addr_b64 v[51:54], v50 offset0:64 offset1:96
	v_pk_fma_f16 v97, v60, v55, v98 op_sel_hi:[1,0,1]
	v_pk_fma_f16 v60, v60, v55, v99 op_sel:[0,1,0]
	v_pk_fma_f16 v79, v8, v55, v79 op_sel_hi:[1,0,1]
	v_pk_fma_f16 v72, v8, v55, v72 op_sel:[0,1,0]
	;; [unrolled: 2-line block ×5, first 2 shown]
	ds_load_2addr_b64 v[8:11], v50 offset0:128 offset1:160
	s_waitcnt lgkmcnt(2)
	v_pk_fma_f16 v69, v56, v4, v70 op_sel_hi:[1,0,1]
	v_pk_fma_f16 v70, v56, v4, v71 op_sel:[0,1,0]
	v_pk_fma_f16 v71, v56, v5, v97 op_sel_hi:[1,0,1]
	v_pk_fma_f16 v56, v56, v5, v60 op_sel:[0,1,0]
	;; [unrolled: 2-line block ×8, first 2 shown]
	s_waitcnt lgkmcnt(1)
	v_pk_fma_f16 v77, v51, v4, v88 op_sel_hi:[1,0,1]
	v_pk_fma_f16 v78, v51, v4, v78 op_sel:[0,1,0]
	v_pk_fma_f16 v79, v51, v5, v79 op_sel_hi:[1,0,1]
	v_pk_fma_f16 v72, v51, v5, v72 op_sel:[0,1,0]
	;; [unrolled: 2-line block ×6, first 2 shown]
	ds_load_2addr_b64 v[50:53], v50 offset0:192 offset1:224
	v_pk_fma_f16 v90, v54, v4, v93 op_sel_hi:[1,0,1]
	v_pk_fma_f16 v4, v54, v4, v94 op_sel:[0,1,0]
	v_pk_fma_f16 v68, v54, v5, v68 op_sel_hi:[1,0,1]
	v_pk_fma_f16 v5, v54, v5, v55 op_sel:[0,1,0]
	s_waitcnt lgkmcnt(1)
	v_pk_fma_f16 v69, v8, v6, v69 op_sel_hi:[1,0,1]
	v_pk_fma_f16 v70, v8, v6, v70 op_sel:[0,1,0]
	v_pk_fma_f16 v71, v8, v7, v71 op_sel_hi:[1,0,1]
	v_pk_fma_f16 v91, v8, v7, v56 op_sel:[0,1,0]
	;; [unrolled: 2-line block ×7, first 2 shown]
	v_pk_fma_f16 v76, v11, v7, v76 op_sel_hi:[1,0,1]
	ds_load_2addr_b64 v[54:57], v49 offset1:32
	ds_load_b128 v[58:61], v40 offset:992
	v_pk_fma_f16 v63, v11, v7, v63 op_sel:[0,1,0]
	ds_load_2addr_b64 v[8:11], v49 offset0:64 offset1:96
	s_waitcnt lgkmcnt(3)
	v_pk_fma_f16 v77, v50, v6, v77 op_sel_hi:[1,0,1]
	v_pk_fma_f16 v78, v50, v6, v78 op_sel:[0,1,0]
	v_pk_fma_f16 v79, v50, v7, v79 op_sel_hi:[1,0,1]
	v_pk_fma_f16 v72, v50, v7, v72 op_sel:[0,1,0]
	;; [unrolled: 2-line block ×8, first 2 shown]
	ds_load_2addr_b64 v[50:53], v49 offset0:128 offset1:160
	ds_load_b128 v[4:7], v40 offset:1008
	s_waitcnt lgkmcnt(3)
	v_pk_fma_f16 v69, v54, v58, v69 op_sel_hi:[1,0,1]
	v_pk_fma_f16 v70, v54, v58, v70 op_sel:[0,1,0]
	v_pk_fma_f16 v71, v54, v59, v71 op_sel_hi:[1,0,1]
	v_pk_fma_f16 v91, v54, v59, v91 op_sel:[0,1,0]
	;; [unrolled: 2-line block ×8, first 2 shown]
	s_waitcnt lgkmcnt(2)
	v_pk_fma_f16 v77, v8, v58, v77 op_sel_hi:[1,0,1]
	v_pk_fma_f16 v78, v8, v58, v78 op_sel:[0,1,0]
	v_pk_fma_f16 v79, v8, v59, v79 op_sel_hi:[1,0,1]
	v_pk_fma_f16 v72, v8, v59, v72 op_sel:[0,1,0]
	;; [unrolled: 2-line block ×7, first 2 shown]
	ds_load_2addr_b64 v[54:57], v49 offset0:192 offset1:224
	v_pk_fma_f16 v68, v11, v59, v68 op_sel_hi:[1,0,1]
	v_pk_fma_f16 v59, v11, v59, v97 op_sel:[0,1,0]
	ds_load_2addr_b64 v[8:11], v48 offset1:32
	s_waitcnt lgkmcnt(3)
	v_pk_fma_f16 v69, v50, v60, v69 op_sel_hi:[1,0,1]
	v_pk_fma_f16 v70, v50, v60, v70 op_sel:[0,1,0]
	v_pk_fma_f16 v71, v50, v61, v71 op_sel_hi:[1,0,1]
	v_pk_fma_f16 v91, v50, v61, v91 op_sel:[0,1,0]
	;; [unrolled: 2-line block ×8, first 2 shown]
	ds_load_2addr_b64 v[49:52], v48 offset0:64 offset1:96
	s_waitcnt lgkmcnt(2)
	v_pk_fma_f16 v63, v54, v60, v77 op_sel_hi:[1,0,1]
	v_pk_fma_f16 v77, v54, v60, v78 op_sel:[0,1,0]
	v_pk_fma_f16 v78, v54, v61, v79 op_sel_hi:[1,0,1]
	v_pk_fma_f16 v72, v54, v61, v72 op_sel:[0,1,0]
	;; [unrolled: 2-line block ×8, first 2 shown]
	s_waitcnt lgkmcnt(1)
	v_pk_fma_f16 v61, v8, v4, v69 op_sel_hi:[1,0,1]
	v_pk_fma_f16 v68, v8, v4, v70 op_sel:[0,1,0]
	v_pk_fma_f16 v69, v8, v5, v71 op_sel_hi:[1,0,1]
	v_pk_fma_f16 v70, v8, v5, v91 op_sel:[0,1,0]
	v_pk_fma_f16 v71, v9, v4, v92 op_sel_hi:[1,0,1]
	v_pk_fma_f16 v90, v9, v4, v64 op_sel:[0,1,0]
	v_pk_fma_f16 v65, v9, v5, v65 op_sel_hi:[1,0,1]
	v_pk_fma_f16 v91, v9, v5, v93 op_sel:[0,1,0]
	v_pk_fma_f16 v92, v10, v4, v94 op_sel_hi:[1,0,1]
	v_pk_fma_f16 v66, v10, v4, v66 op_sel:[0,1,0]
	v_pk_fma_f16 v93, v10, v5, v67 op_sel_hi:[1,0,1]
	v_pk_fma_f16 v94, v10, v5, v95 op_sel:[0,1,0]
	v_pk_fma_f16 v62, v11, v4, v62 op_sel_hi:[1,0,1]
	v_pk_fma_f16 v75, v11, v4, v75 op_sel:[0,1,0]
	ds_load_2addr_b64 v[54:57], v48 offset0:128 offset1:160
	v_pk_fma_f16 v76, v11, v5, v76 op_sel_hi:[1,0,1]
	v_pk_fma_f16 v53, v11, v5, v53 op_sel:[0,1,0]
	ds_load_2addr_b64 v[8:11], v48 offset0:192 offset1:224
	s_waitcnt lgkmcnt(0)
	s_barrier
	buffer_gl0_inv
	s_load_b32 s4, s[2:3], 0x4
	v_pk_fma_f16 v95, v49, v4, v63 op_sel_hi:[1,0,1]
	v_pk_fma_f16 v96, v49, v4, v77 op_sel:[0,1,0]
	v_pk_fma_f16 v97, v49, v5, v78 op_sel_hi:[1,0,1]
	v_pk_fma_f16 v49, v49, v5, v72 op_sel:[0,1,0]
	;; [unrolled: 2-line block ×9, first 2 shown]
	v_pk_fma_f16 v59, v54, v7, v69 op_sel_hi:[1,0,1]
	s_waitcnt lgkmcnt(0)
	s_lshl_b32 s4, s4, 7
	v_pk_fma_f16 v54, v54, v7, v70 op_sel:[0,1,0]
	v_pk_fma_f16 v78, v55, v6, v71 op_sel_hi:[1,0,1]
	v_pk_fma_f16 v72, v55, v6, v90 op_sel:[0,1,0]
	v_pk_fma_f16 v63, v55, v7, v65 op_sel_hi:[1,0,1]
	;; [unrolled: 2-line block ×14, first 2 shown]
	v_pk_fma_f16 v48, v11, v7, v5 op_sel:[0,1,0]
	s_add_i32 s13, s4, s13
	s_delay_alu instid0(SALU_CYCLE_1)
	s_cmp_ge_i32 s13, s34
	s_cbranch_scc1 .LBB25_87
; %bb.86:                               ;   in Loop: Header=BB25_17 Depth=1
	v_dual_mov_b32 v91, v0 :: v_dual_mov_b32 v88, v81
	v_dual_mov_b32 v89, v1 :: v_dual_mov_b32 v90, v80
	;; [unrolled: 1-line block ×4, first 2 shown]
	s_branch .LBB25_17
.LBB25_87:
	v_mov_b32_e32 v6, v32
.LBB25_88:
	v_cmp_lt_i32_e32 vcc_lo, v47, v33
	s_cmp_lg_u64 s[24:25], 0
	s_cselect_b32 s2, -1, 0
	s_cmp_eq_u32 s14, 0
	v_cndmask_b32_e32 v4, v6, v47, vcc_lo
	v_cmp_lt_i32_e32 vcc_lo, v15, v33
	s_cselect_b32 s3, -1, 0
	s_delay_alu instid0(SALU_CYCLE_1) | instskip(SKIP_2) | instid1(VALU_DEP_2)
	s_and_b32 s2, s3, s2
	v_cndmask_b32_e32 v9, v6, v15, vcc_lo
	v_cmp_lt_i32_e32 vcc_lo, v14, v33
	v_lshlrev_b32_e32 v9, 2, v9
	v_lshlrev_b32_e32 v4, 2, v4
	ds_bpermute_b32 v5, v4, v80
	s_waitcnt lgkmcnt(0)
	v_add_f32_e32 v5, v80, v5
	ds_bpermute_b32 v7, v4, v81
	ds_bpermute_b32 v8, v4, v82
	;; [unrolled: 1-line block ×4, first 2 shown]
	s_waitcnt lgkmcnt(2)
	v_dual_add_f32 v7, v81, v7 :: v_dual_add_f32 v8, v82, v8
	s_waitcnt lgkmcnt(1)
	v_add_f32_e32 v4, v83, v4
	ds_bpermute_b32 v11, v9, v7
	v_cndmask_b32_e32 v14, v6, v14, vcc_lo
	ds_bpermute_b32 v15, v9, v8
	ds_bpermute_b32 v9, v9, v4
	v_cmp_lt_i32_e32 vcc_lo, v13, v33
	s_waitcnt lgkmcnt(3)
	v_add_f32_e32 v5, v5, v10
	v_cndmask_b32_e32 v13, v6, v13, vcc_lo
	v_cmp_lt_i32_e32 vcc_lo, v12, v33
	s_waitcnt lgkmcnt(2)
	v_dual_add_f32 v7, v7, v11 :: v_dual_lshlrev_b32 v14, 2, v14
	s_waitcnt lgkmcnt(1)
	v_add_f32_e32 v8, v8, v15
	ds_bpermute_b32 v10, v14, v7
	s_waitcnt lgkmcnt(1)
	v_add_f32_e32 v4, v4, v9
	ds_bpermute_b32 v9, v14, v5
	ds_bpermute_b32 v11, v14, v8
	v_lshlrev_b32_e32 v13, 2, v13
	s_waitcnt lgkmcnt(2)
	v_add_f32_e32 v7, v7, v10
	ds_bpermute_b32 v14, v14, v4
	s_waitcnt lgkmcnt(1)
	v_dual_add_f32 v5, v5, v9 :: v_dual_add_f32 v8, v8, v11
	ds_bpermute_b32 v10, v13, v7
	ds_bpermute_b32 v11, v13, v8
	s_waitcnt lgkmcnt(2)
	v_add_f32_e32 v4, v4, v14
	ds_bpermute_b32 v9, v13, v5
	v_cndmask_b32_e32 v6, v6, v12, vcc_lo
	s_and_b32 vcc_lo, exec_lo, s2
	s_waitcnt lgkmcnt(2)
	v_add_f32_e32 v7, v7, v10
	ds_bpermute_b32 v13, v13, v4
	s_waitcnt lgkmcnt(1)
	v_dual_add_f32 v8, v8, v11 :: v_dual_add_f32 v5, v5, v9
	s_waitcnt lgkmcnt(0)
	v_dual_add_f32 v9, v4, v13 :: v_dual_lshlrev_b32 v6, 2, v6
	ds_bpermute_b32 v4, v6, v5
	ds_bpermute_b32 v10, v6, v7
	ds_bpermute_b32 v11, v6, v8
	ds_bpermute_b32 v12, v6, v9
	s_waitcnt lgkmcnt(2)
	v_dual_add_f32 v4, v5, v4 :: v_dual_add_f32 v5, v7, v10
	s_waitcnt lgkmcnt(0)
	v_dual_add_f32 v6, v8, v11 :: v_dual_add_f32 v7, v9, v12
	s_cbranch_vccz .LBB25_91
; %bb.89:
	s_ashr_i32 s13, s12, 31
	v_dual_mov_b32 v8, 0 :: v_dual_max_f32 v13, v1, v1
	s_lshl_b64 s[2:3], s[12:13], 2
	s_delay_alu instid0(SALU_CYCLE_1)
	s_add_u32 s2, s24, s2
	s_addc_u32 s3, s25, s3
	global_load_b128 v[8:11], v8, s[2:3]
	v_max_f32_e32 v12, v0, v0
	s_waitcnt vmcnt(0)
	v_dual_max_f32 v14, v2, v2 :: v_dual_max_f32 v15, v8, v8
	v_dual_max_f32 v19, v9, v9 :: v_dual_max_f32 v20, v10, v10
	v_max_f32_e32 v21, v11, v11
	s_delay_alu instid0(VALU_DEP_2) | instskip(NEXT) | instid1(VALU_DEP_1)
	v_dual_max_f32 v13, v13, v19 :: v_dual_max_f32 v14, v14, v20
	v_dual_max_f32 v18, v3, v3 :: v_dual_sub_f32 v19, v1, v13
	s_delay_alu instid0(VALU_DEP_1) | instskip(NEXT) | instid1(VALU_DEP_3)
	v_dual_max_f32 v12, v12, v15 :: v_dual_max_f32 v15, v18, v21
	v_dual_sub_f32 v20, v2, v14 :: v_dual_sub_f32 v9, v9, v13
	v_sub_f32_e32 v10, v10, v14
	s_delay_alu instid0(VALU_DEP_3) | instskip(NEXT) | instid1(VALU_DEP_4)
	v_sub_f32_e32 v18, v0, v12
	v_dual_sub_f32 v8, v8, v12 :: v_dual_sub_f32 v21, v3, v15
	v_dual_mov_b32 v0, v12 :: v_dual_mov_b32 v3, v15
	v_dual_mov_b32 v1, v13 :: v_dual_mov_b32 v2, v14
	s_delay_alu instid0(VALU_DEP_3) | instskip(SKIP_3) | instid1(VALU_DEP_4)
	v_dual_mul_f32 v13, 0x3fb8aa3b, v8 :: v_dual_mul_f32 v12, 0x3fb8aa3b, v18
	v_sub_f32_e32 v11, v11, v15
	v_dual_mul_f32 v15, 0x3fb8aa3b, v9 :: v_dual_mul_f32 v14, 0x3fb8aa3b, v19
	v_mul_f32_e32 v23, 0x3fb8aa3b, v10
	v_fma_f32 v26, 0x3fb8aa3b, v18, -v12
	v_rndne_f32_e32 v27, v12
	v_fma_f32 v28, 0x3fb8aa3b, v8, -v13
	v_rndne_f32_e32 v29, v13
	v_fma_f32 v33, 0x3fb8aa3b, v9, -v15
	v_fma_f32 v37, 0x3fb8aa3b, v10, -v23
	v_fmac_f32_e32 v26, 0x32a5705f, v18
	v_sub_f32_e32 v12, v12, v27
	v_dual_mul_f32 v22, 0x3fb8aa3b, v20 :: v_dual_mul_f32 v25, 0x3fb8aa3b, v11
	v_fma_f32 v30, 0x3fb8aa3b, v19, -v14
	v_rndne_f32_e32 v32, v14
	v_dual_fmac_f32 v28, 0x32a5705f, v8 :: v_dual_fmac_f32 v37, 0x32a5705f, v10
	v_sub_f32_e32 v13, v13, v29
	v_dual_fmac_f32 v33, 0x32a5705f, v9 :: v_dual_add_f32 v12, v12, v26
	v_rndne_f32_e32 v34, v15
	v_mul_f32_e32 v24, 0x3fb8aa3b, v21
	v_fma_f32 v35, 0x3fb8aa3b, v20, -v22
	v_rndne_f32_e32 v38, v23
	v_fmac_f32_e32 v30, 0x32a5705f, v19
	v_sub_f32_e32 v14, v14, v32
	v_add_f32_e32 v13, v13, v28
	v_exp_f32_e32 v12, v12
	v_sub_f32_e32 v23, v23, v38
	v_rndne_f32_e32 v36, v22
	v_fma_f32 v41, 0x3fb8aa3b, v11, -v25
	v_rndne_f32_e32 v42, v25
	v_cvt_i32_f32_e32 v27, v27
	v_sub_f32_e32 v15, v15, v34
	v_fma_f32 v39, 0x3fb8aa3b, v21, -v24
	v_rndne_f32_e32 v40, v24
	v_dual_fmac_f32 v35, 0x32a5705f, v20 :: v_dual_add_f32 v14, v14, v30
	s_delay_alu instid0(VALU_DEP_4) | instskip(SKIP_4) | instid1(VALU_DEP_2)
	v_add_f32_e32 v15, v15, v33
	v_exp_f32_e32 v13, v13
	v_cvt_i32_f32_e32 v29, v29
	v_dual_sub_f32 v22, v22, v36 :: v_dual_fmac_f32 v39, 0x32a5705f, v21
	v_dual_sub_f32 v24, v24, v40 :: v_dual_fmac_f32 v41, 0x32a5705f, v11
	v_dual_sub_f32 v25, v25, v42 :: v_dual_add_f32 v22, v22, v35
	v_exp_f32_e32 v14, v14
	v_ldexp_f32 v12, v12, v27
	v_cmp_ngt_f32_e32 vcc_lo, 0xc2ce8ed0, v18
	v_cvt_i32_f32_e32 v32, v32
	v_add_f32_e32 v25, v25, v41
	v_exp_f32_e32 v15, v15
	v_ldexp_f32 v13, v13, v29
	v_cndmask_b32_e32 v12, 0, v12, vcc_lo
	v_cmp_ngt_f32_e32 vcc_lo, 0xc2ce8ed0, v8
	v_cvt_i32_f32_e32 v34, v34
	v_dual_add_f32 v23, v23, v37 :: v_dual_add_f32 v24, v24, v39
	v_exp_f32_e32 v22, v22
	v_ldexp_f32 v14, v14, v32
	v_cndmask_b32_e32 v13, 0, v13, vcc_lo
	v_cmp_ngt_f32_e32 vcc_lo, 0xc2ce8ed0, v19
	v_cvt_i32_f32_e32 v36, v36
	v_exp_f32_e32 v23, v23
	v_ldexp_f32 v15, v15, v34
	v_cvt_i32_f32_e32 v38, v38
	v_cndmask_b32_e32 v14, 0, v14, vcc_lo
	v_cmp_ngt_f32_e32 vcc_lo, 0xc2ce8ed0, v9
	v_exp_f32_e32 v24, v24
	v_ldexp_f32 v22, v22, v36
	v_exp_f32_e32 v25, v25
	v_cvt_i32_f32_e32 v26, v40
	v_cndmask_b32_e32 v15, 0, v15, vcc_lo
	v_cmp_ngt_f32_e32 vcc_lo, 0xc2ce8ed0, v20
	v_ldexp_f32 v23, v23, v38
	v_cvt_i32_f32_e32 v28, v42
	v_cndmask_b32_e32 v22, 0, v22, vcc_lo
	v_cmp_ngt_f32_e32 vcc_lo, 0xc2ce8ed0, v10
	v_ldexp_f32 v24, v24, v26
	s_delay_alu instid0(TRANS32_DEP_1) | instid1(VALU_DEP_4)
	v_ldexp_f32 v25, v25, v28
	v_cndmask_b32_e32 v23, 0, v23, vcc_lo
	v_cmp_ngt_f32_e32 vcc_lo, 0xc2ce8ed0, v21
	s_delay_alu instid0(VALU_DEP_4)
	v_cndmask_b32_e32 v24, 0, v24, vcc_lo
	v_cmp_ngt_f32_e32 vcc_lo, 0xc2ce8ed0, v11
	v_cndmask_b32_e32 v25, 0, v25, vcc_lo
	v_cmp_nlt_f32_e32 vcc_lo, 0x42b17218, v18
	v_cndmask_b32_e32 v12, 0x7f800000, v12, vcc_lo
	v_cmp_nlt_f32_e32 vcc_lo, 0x42b17218, v8
	;; [unrolled: 2-line block ×7, first 2 shown]
	s_delay_alu instid0(VALU_DEP_2) | instskip(SKIP_4) | instid1(VALU_DEP_3)
	v_dual_fmac_f32 v10, v6, v14 :: v_dual_fmac_f32 v9, v5, v13
	v_fmac_f32_e32 v8, v4, v12
	v_cvt_f16_f32_e32 v4, v12
	v_cndmask_b32_e32 v15, 0x7f800000, v24, vcc_lo
	v_cmp_nlt_f32_e32 vcc_lo, 0x42b17218, v11
	v_pk_mul_f16 v67, v4, v67 op_sel_hi:[0,1]
	v_pk_mul_f16 v78, v4, v78 op_sel_hi:[0,1]
	;; [unrolled: 1-line block ×8, first 2 shown]
	v_mov_b32_e32 v4, v8
	v_cvt_f16_f32_e32 v5, v13
	v_cndmask_b32_e32 v11, 0x7f800000, v25, vcc_lo
	s_delay_alu instid0(VALU_DEP_2)
	v_pk_mul_f16 v64, v5, v64 op_sel_hi:[0,1]
	v_pk_mul_f16 v72, v5, v72 op_sel_hi:[0,1]
	;; [unrolled: 1-line block ×8, first 2 shown]
	v_mov_b32_e32 v5, v9
	v_cvt_f16_f32_e32 v6, v14
	s_delay_alu instid0(VALU_DEP_1)
	v_pk_mul_f16 v59, v6, v59 op_sel_hi:[0,1]
	v_pk_mul_f16 v63, v6, v63 op_sel_hi:[0,1]
	;; [unrolled: 1-line block ×8, first 2 shown]
	v_dual_mov_b32 v6, v10 :: v_dual_fmac_f32 v11, v7, v15
	v_cvt_f16_f32_e32 v7, v15
	s_delay_alu instid0(VALU_DEP_1)
	v_pk_mul_f16 v54, v7, v54 op_sel_hi:[0,1]
	v_pk_mul_f16 v55, v7, v55 op_sel_hi:[0,1]
	;; [unrolled: 1-line block ×8, first 2 shown]
	v_mov_b32_e32 v7, v11
	s_mov_b32 s2, exec_lo
	v_cmpx_gt_i32_e64 s6, v16
	s_cbranch_execnz .LBB25_92
.LBB25_90:
	s_nop 0
	s_sendmsg sendmsg(MSG_DEALLOC_VGPRS)
	s_endpgm
.LBB25_91:
	s_delay_alu instid0(VALU_DEP_1)
	v_dual_mov_b32 v11, v7 :: v_dual_mov_b32 v10, v6
	v_dual_mov_b32 v9, v5 :: v_dual_mov_b32 v8, v4
	s_mov_b32 s2, exec_lo
	v_cmpx_gt_i32_e64 s6, v16
	s_cbranch_execz .LBB25_90
.LBB25_92:
	s_load_b32 s1, s[0:1], 0xd4
	v_mov_b32_e32 v14, 1.0
	s_waitcnt lgkmcnt(0)
	s_cmp_lg_u32 s1, 1
	s_cselect_b32 s3, -1, 0
	s_cmp_eq_u32 s1, 1
	s_cselect_b32 s2, -1, 0
	s_and_b32 vcc_lo, exec_lo, s3
	s_cbranch_vccnz .LBB25_94
; %bb.93:
	v_div_scale_f32 v12, null, v4, v4, 1.0
	s_delay_alu instid0(VALU_DEP_1) | instskip(SKIP_2) | instid1(VALU_DEP_1)
	v_rcp_f32_e32 v13, v12
	s_waitcnt_depctr 0xfff
	v_fma_f32 v14, -v12, v13, 1.0
	v_fmac_f32_e32 v13, v14, v13
	v_div_scale_f32 v14, vcc_lo, 1.0, v4, 1.0
	s_delay_alu instid0(VALU_DEP_1) | instskip(NEXT) | instid1(VALU_DEP_1)
	v_mul_f32_e32 v15, v14, v13
	v_fma_f32 v18, -v12, v15, v14
	s_delay_alu instid0(VALU_DEP_1) | instskip(NEXT) | instid1(VALU_DEP_1)
	v_fmac_f32_e32 v15, v18, v13
	v_fma_f32 v12, -v12, v15, v14
	s_delay_alu instid0(VALU_DEP_1) | instskip(NEXT) | instid1(VALU_DEP_1)
	v_div_fmas_f32 v12, v12, v13, v15
	v_div_fixup_f32 v14, v12, v4, 1.0
.LBB25_94:
	v_mad_u64_u32 v[12:13], null, s33, s6, v[16:17]
	v_lshrrev_b32_e32 v4, 16, v78
	v_cmp_eq_u32_e32 vcc_lo, 0, v17
	v_cvt_f32_f16_e32 v17, v78
	v_lshrrev_b32_e32 v18, 16, v67
	v_mov_b32_e32 v28, 0
	v_lshrrev_b32_e32 v19, 16, v79
	v_mad_u64_u32 v[15:16], null, v12, s7, s[12:13]
	v_mul_f32_e32 v17, v14, v17
	v_cvt_f32_f16_e32 v16, v67
	v_cvt_f32_f16_e32 v23, v77
	;; [unrolled: 1-line block ×5, first 2 shown]
	v_mad_u64_u32 v[12:13], null, s1, v15, s[14:15]
	v_dual_mul_f32 v15, v14, v16 :: v_dual_mov_b32 v24, v28
	v_mul_f32_e32 v19, v14, v23
	v_lshrrev_b32_e32 v13, 16, v76
	v_cvt_f32_f16_e32 v20, v79
	v_lshrrev_b32_e32 v22, 16, v77
	v_lshl_add_u32 v27, v12, 9, v31
	v_mul_f32_e32 v18, v14, v4
	v_lshrrev_b32_e32 v4, 16, v75
	v_cvt_f32_f16_e32 v13, v13
	v_mul_f32_e32 v21, v14, v20
	v_add_nc_u32_e32 v23, 0x80, v27
	v_lshlrev_b64 v[25:26], 2, v[27:28]
	v_mul_f32_e32 v16, v14, v29
	v_cvt_f32_f16_e32 v4, v4
	v_cvt_f32_f16_e32 v20, v22
	v_lshlrev_b64 v[23:24], 2, v[23:24]
	v_mul_f32_e32 v22, v14, v30
	v_add_co_u32 v32, s0, s28, v25
	s_delay_alu instid0(VALU_DEP_1) | instskip(NEXT) | instid1(VALU_DEP_4)
	v_add_co_ci_u32_e64 v33, s0, s29, v26, s0
	v_add_co_u32 v34, s0, s28, v23
	s_delay_alu instid0(VALU_DEP_1)
	v_add_co_ci_u32_e64 v35, s0, s29, v24, s0
	v_add_nc_u32_e32 v23, 0x100, v27
	v_dual_mov_b32 v24, v28 :: v_dual_add_nc_u32 v27, 0x180, v27
	v_mul_f32_e32 v26, v14, v13
	v_lshrrev_b32_e32 v13, 16, v73
	v_cvt_f32_f16_e32 v36, v75
	s_delay_alu instid0(VALU_DEP_4)
	v_lshlrev_b64 v[38:39], 2, v[27:28]
	v_lshlrev_b64 v[29:30], 2, v[23:24]
	v_mul_f32_e32 v24, v14, v4
	v_lshrrev_b32_e32 v4, 16, v74
	v_cvt_f32_f16_e32 v13, v13
	v_cvt_f32_f16_e32 v25, v76
	v_mul_f32_e32 v23, v14, v36
	v_add_co_u32 v36, s0, s28, v29
	v_cvt_f32_f16_e32 v4, v4
	v_cvt_f32_f16_e32 v29, v74
	;; [unrolled: 1-line block ×3, first 2 shown]
	v_add_co_ci_u32_e64 v37, s0, s29, v30, s0
	v_mul_f32_e32 v28, v14, v13
	v_add_co_u32 v13, s0, s28, v38
	v_mul_f32_e32 v20, v14, v20
	v_mul_f32_e32 v25, v14, v25
	;; [unrolled: 1-line block ×5, first 2 shown]
	v_add_co_ci_u32_e64 v14, s0, s29, v39, s0
	s_and_b32 s0, vcc_lo, s3
	s_clause 0x3
	global_store_b128 v[32:33], v[15:18], off
	global_store_b128 v[34:35], v[19:22], off
	global_store_b128 v[36:37], v[23:26], off
	global_store_b128 v[13:14], v[27:30], off
	s_and_saveexec_b32 s3, s0
	s_cbranch_execz .LBB25_96
; %bb.95:
	v_ashrrev_i32_e32 v13, 31, v12
	v_mov_b32_e32 v15, v0
	v_mov_b32_e32 v16, v8
	s_delay_alu instid0(VALU_DEP_3) | instskip(NEXT) | instid1(VALU_DEP_1)
	v_lshlrev_b64 v[13:14], 3, v[12:13]
	v_add_co_u32 v13, vcc_lo, s30, v13
	s_delay_alu instid0(VALU_DEP_2)
	v_add_co_ci_u32_e32 v14, vcc_lo, s31, v14, vcc_lo
	global_store_b64 v[13:14], v[15:16], off
.LBB25_96:
	s_or_b32 exec_lo, exec_lo, s3
	v_cndmask_b32_e64 v13, 0, 1, s2
	v_mov_b32_e32 v0, 1.0
	s_and_not1_b32 vcc_lo, exec_lo, s2
	s_cbranch_vccnz .LBB25_98
; %bb.97:
	v_div_scale_f32 v0, null, v5, v5, 1.0
	s_delay_alu instid0(VALU_DEP_1) | instskip(SKIP_2) | instid1(VALU_DEP_1)
	v_rcp_f32_e32 v4, v0
	s_waitcnt_depctr 0xfff
	v_fma_f32 v8, -v0, v4, 1.0
	v_fmac_f32_e32 v4, v8, v4
	v_div_scale_f32 v8, vcc_lo, 1.0, v5, 1.0
	s_delay_alu instid0(VALU_DEP_1) | instskip(NEXT) | instid1(VALU_DEP_1)
	v_mul_f32_e32 v14, v8, v4
	v_fma_f32 v15, -v0, v14, v8
	s_delay_alu instid0(VALU_DEP_1) | instskip(NEXT) | instid1(VALU_DEP_1)
	v_fmac_f32_e32 v14, v15, v4
	v_fma_f32 v0, -v0, v14, v8
	s_delay_alu instid0(VALU_DEP_1) | instskip(NEXT) | instid1(VALU_DEP_1)
	v_div_fmas_f32 v0, v0, v4, v14
	v_div_fixup_f32 v0, v0, v5, 1.0
.LBB25_98:
	v_dual_mov_b32 v27, 0 :: v_dual_add_nc_u32 v4, s1, v12
	v_lshrrev_b32_e32 v5, 16, v72
	v_cvt_f32_f16_e32 v8, v72
	v_lshrrev_b32_e32 v20, 16, v71
	s_delay_alu instid0(VALU_DEP_4)
	v_lshl_add_u32 v26, v4, 9, v31
	v_lshrrev_b32_e32 v12, 16, v64
	v_cvt_f32_f16_e32 v5, v5
	v_mul_f32_e32 v16, v0, v8
	v_cvt_f32_f16_e32 v8, v20
	v_lshlrev_b64 v[18:19], 2, v[26:27]
	v_cvt_f32_f16_e32 v14, v64
	v_mul_f32_e32 v17, v0, v5
	v_lshrrev_b32_e32 v5, 16, v69
	v_cvt_f32_f16_e32 v12, v12
	v_mul_f32_e32 v21, v0, v8
	v_add_co_u32 v32, vcc_lo, s28, v18
	v_add_co_ci_u32_e32 v33, vcc_lo, s29, v19, vcc_lo
	v_dual_mov_b32 v19, v27 :: v_dual_add_nc_u32 v18, 0x80, v26
	v_cvt_f32_f16_e32 v5, v5
	v_lshrrev_b32_e32 v8, 16, v68
	v_mul_f32_e32 v14, v0, v14
	v_mul_f32_e32 v15, v0, v12
	v_lshlrev_b64 v[22:23], 2, v[18:19]
	v_mul_f32_e32 v19, v0, v5
	v_lshrrev_b32_e32 v5, 16, v70
	v_cvt_f32_f16_e32 v12, v71
	v_cvt_f32_f16_e32 v8, v8
	;; [unrolled: 1-line block ×3, first 2 shown]
	v_add_co_u32 v34, vcc_lo, s28, v22
	v_add_nc_u32_e32 v22, 0x100, v26
	v_add_co_ci_u32_e32 v35, vcc_lo, s29, v23, vcc_lo
	v_mov_b32_e32 v23, v27
	v_cvt_f32_f16_e32 v5, v5
	v_add_nc_u32_e32 v26, 0x180, v26
	v_mul_f32_e32 v20, v0, v12
	v_cvt_f32_f16_e32 v12, v70
	v_lshlrev_b64 v[28:29], 2, v[22:23]
	v_cvt_f32_f16_e32 v30, v68
	v_mul_f32_e32 v25, v0, v5
	v_mul_f32_e32 v23, v0, v8
	v_lshrrev_b32_e32 v5, 16, v66
	v_lshrrev_b32_e32 v8, 16, v65
	v_lshlrev_b64 v[38:39], 2, v[26:27]
	v_mul_f32_e32 v18, v0, v24
	v_mul_f32_e32 v24, v0, v12
	;; [unrolled: 1-line block ×3, first 2 shown]
	v_add_co_u32 v36, vcc_lo, s28, v28
	v_cvt_f32_f16_e32 v5, v5
	v_cvt_f32_f16_e32 v12, v66
	;; [unrolled: 1-line block ×4, first 2 shown]
	v_add_co_ci_u32_e32 v37, vcc_lo, s29, v29, vcc_lo
	v_add_co_u32 v38, vcc_lo, s28, v38
	v_mul_f32_e32 v29, v0, v5
	v_mul_f32_e32 v28, v0, v12
	;; [unrolled: 1-line block ×4, first 2 shown]
	v_add_co_ci_u32_e32 v39, vcc_lo, s29, v39, vcc_lo
	s_clause 0x3
	global_store_b128 v[32:33], v[14:17], off
	global_store_b128 v[34:35], v[18:21], off
	;; [unrolled: 1-line block ×4, first 2 shown]
	s_and_saveexec_b32 s2, s0
	s_cbranch_execz .LBB25_100
; %bb.99:
	v_ashrrev_i32_e32 v5, 31, v4
	v_mov_b32_e32 v8, v1
	s_delay_alu instid0(VALU_DEP_2) | instskip(NEXT) | instid1(VALU_DEP_1)
	v_lshlrev_b64 v[14:15], 3, v[4:5]
	v_add_co_u32 v14, vcc_lo, s30, v14
	s_delay_alu instid0(VALU_DEP_2)
	v_add_co_ci_u32_e32 v15, vcc_lo, s31, v15, vcc_lo
	global_store_b64 v[14:15], v[8:9], off
.LBB25_100:
	s_or_b32 exec_lo, exec_lo, s2
	v_cmp_ne_u32_e32 vcc_lo, 1, v13
	v_mov_b32_e32 v1, 1.0
	s_cbranch_vccnz .LBB25_102
; %bb.101:
	v_div_scale_f32 v0, null, v6, v6, 1.0
	s_delay_alu instid0(VALU_DEP_1) | instskip(SKIP_2) | instid1(VALU_DEP_1)
	v_rcp_f32_e32 v1, v0
	s_waitcnt_depctr 0xfff
	v_fma_f32 v5, -v0, v1, 1.0
	v_fmac_f32_e32 v1, v5, v1
	v_div_scale_f32 v5, vcc_lo, 1.0, v6, 1.0
	s_delay_alu instid0(VALU_DEP_1) | instskip(NEXT) | instid1(VALU_DEP_1)
	v_mul_f32_e32 v8, v5, v1
	v_fma_f32 v9, -v0, v8, v5
	s_delay_alu instid0(VALU_DEP_1) | instskip(NEXT) | instid1(VALU_DEP_1)
	v_fmac_f32_e32 v8, v9, v1
	v_fma_f32 v0, -v0, v8, v5
	s_delay_alu instid0(VALU_DEP_1) | instskip(NEXT) | instid1(VALU_DEP_1)
	v_div_fmas_f32 v0, v0, v1, v8
	v_div_fixup_f32 v1, v0, v6, 1.0
.LBB25_102:
	v_lshrrev_b32_e32 v6, 16, v63
	v_dual_mov_b32 v5, 0 :: v_dual_add_nc_u32 v0, s1, v4
	v_cvt_f32_f16_e32 v12, v63
	v_lshrrev_b32_e32 v18, 16, v62
	s_delay_alu instid0(VALU_DEP_4) | instskip(NEXT) | instid1(VALU_DEP_4)
	v_cvt_f32_f16_e32 v6, v6
	v_lshl_add_u32 v4, v0, 9, v31
	v_lshrrev_b32_e32 v8, 16, v59
	v_mul_f32_e32 v16, v1, v12
	v_cvt_f32_f16_e32 v12, v18
	s_delay_alu instid0(VALU_DEP_4)
	v_dual_mul_f32 v17, v1, v6 :: v_dual_add_nc_u32 v18, 0x80, v4
	v_lshrrev_b32_e32 v6, 16, v60
	v_mov_b32_e32 v19, v5
	v_cvt_f32_f16_e32 v15, v8
	v_lshlrev_b64 v[8:9], 2, v[4:5]
	v_mul_f32_e32 v21, v1, v12
	v_cvt_f32_f16_e32 v6, v6
	v_lshlrev_b64 v[22:23], 2, v[18:19]
	v_lshrrev_b32_e32 v12, 16, v58
	v_mul_f32_e32 v15, v1, v15
	v_add_co_u32 v8, vcc_lo, s28, v8
	v_mul_f32_e32 v19, v1, v6
	v_lshrrev_b32_e32 v6, 16, v61
	v_add_co_ci_u32_e32 v9, vcc_lo, s29, v9, vcc_lo
	v_add_co_u32 v32, vcc_lo, s28, v22
	v_add_nc_u32_e32 v22, 0x100, v4
	v_add_co_ci_u32_e32 v33, vcc_lo, s29, v23, vcc_lo
	v_mov_b32_e32 v23, v5
	v_cvt_f32_f16_e32 v6, v6
	v_cvt_f32_f16_e32 v12, v12
	v_add_nc_u32_e32 v4, 0x180, v4
	v_cvt_f32_f16_e32 v24, v60
	v_lshlrev_b64 v[26:27], 2, v[22:23]
	v_mul_f32_e32 v25, v1, v6
	v_mul_f32_e32 v23, v1, v12
	v_lshrrev_b32_e32 v6, 16, v57
	v_lshrrev_b32_e32 v12, 16, v56
	v_cvt_f32_f16_e32 v14, v59
	v_lshlrev_b64 v[4:5], 2, v[4:5]
	v_cvt_f32_f16_e32 v20, v62
	v_mul_f32_e32 v18, v1, v24
	v_cvt_f32_f16_e32 v24, v61
	v_cvt_f32_f16_e32 v28, v58
	v_add_co_u32 v34, vcc_lo, s28, v26
	v_cvt_f32_f16_e32 v6, v6
	v_cvt_f32_f16_e32 v26, v57
	;; [unrolled: 1-line block ×4, first 2 shown]
	v_mul_f32_e32 v14, v1, v14
	v_add_co_ci_u32_e32 v35, vcc_lo, s29, v27, vcc_lo
	v_mul_f32_e32 v20, v1, v20
	v_add_co_u32 v4, vcc_lo, s28, v4
	v_mul_f32_e32 v24, v1, v24
	v_mul_f32_e32 v22, v1, v28
	;; [unrolled: 1-line block ×6, first 2 shown]
	v_add_co_ci_u32_e32 v5, vcc_lo, s29, v5, vcc_lo
	s_clause 0x3
	global_store_b128 v[8:9], v[14:17], off
	global_store_b128 v[32:33], v[18:21], off
	global_store_b128 v[34:35], v[22:25], off
	global_store_b128 v[4:5], v[26:29], off
	s_and_saveexec_b32 s2, s0
	s_cbranch_execz .LBB25_104
; %bb.103:
	v_ashrrev_i32_e32 v1, 31, v0
	v_mov_b32_e32 v9, v2
	s_delay_alu instid0(VALU_DEP_2) | instskip(NEXT) | instid1(VALU_DEP_1)
	v_lshlrev_b64 v[4:5], 3, v[0:1]
	v_add_co_u32 v4, vcc_lo, s30, v4
	s_delay_alu instid0(VALU_DEP_2)
	v_add_co_ci_u32_e32 v5, vcc_lo, s31, v5, vcc_lo
	global_store_b64 v[4:5], v[9:10], off
.LBB25_104:
	s_or_b32 exec_lo, exec_lo, s2
	v_cmp_ne_u32_e32 vcc_lo, 1, v13
	v_mov_b32_e32 v1, 1.0
	s_cbranch_vccnz .LBB25_106
; %bb.105:
	v_div_scale_f32 v1, null, v7, v7, 1.0
	s_delay_alu instid0(VALU_DEP_1) | instskip(SKIP_2) | instid1(VALU_DEP_1)
	v_rcp_f32_e32 v2, v1
	s_waitcnt_depctr 0xfff
	v_fma_f32 v4, -v1, v2, 1.0
	v_fmac_f32_e32 v2, v4, v2
	v_div_scale_f32 v4, vcc_lo, 1.0, v7, 1.0
	s_delay_alu instid0(VALU_DEP_1) | instskip(NEXT) | instid1(VALU_DEP_1)
	v_mul_f32_e32 v5, v4, v2
	v_fma_f32 v6, -v1, v5, v4
	s_delay_alu instid0(VALU_DEP_1) | instskip(NEXT) | instid1(VALU_DEP_1)
	v_fmac_f32_e32 v5, v6, v2
	v_fma_f32 v1, -v1, v5, v4
	s_delay_alu instid0(VALU_DEP_1) | instskip(NEXT) | instid1(VALU_DEP_1)
	v_div_fmas_f32 v1, v1, v2, v5
	v_div_fixup_f32 v1, v1, v7, 1.0
.LBB25_106:
	v_dual_mov_b32 v9, 0 :: v_dual_add_nc_u32 v0, s1, v0
	v_lshrrev_b32_e32 v2, 16, v55
	v_cvt_f32_f16_e32 v4, v55
	v_cvt_f32_f16_e32 v7, v54
	s_delay_alu instid0(VALU_DEP_4)
	v_lshl_add_u32 v8, v0, 9, v31
	v_lshrrev_b32_e32 v10, 16, v53
	v_cvt_f32_f16_e32 v2, v2
	v_mul_f32_e32 v6, v1, v4
	v_mul_f32_e32 v4, v1, v7
	v_lshlrev_b64 v[12:13], 2, v[8:9]
	v_lshrrev_b32_e32 v5, 16, v54
	v_mul_f32_e32 v7, v1, v2
	v_lshrrev_b32_e32 v2, 16, v51
	v_cvt_f32_f16_e32 v10, v10
	v_cvt_f32_f16_e32 v18, v51
	v_add_co_u32 v24, vcc_lo, s28, v12
	v_add_nc_u32_e32 v12, 0x80, v8
	v_add_co_ci_u32_e32 v25, vcc_lo, s29, v13, vcc_lo
	v_mov_b32_e32 v13, v9
	v_cvt_f32_f16_e32 v2, v2
	v_cvt_f32_f16_e32 v5, v5
	v_mul_f32_e32 v15, v1, v10
	v_lshrrev_b32_e32 v10, 16, v50
	v_lshlrev_b64 v[16:17], 2, v[12:13]
	v_mul_f32_e32 v13, v1, v2
	v_lshrrev_b32_e32 v2, 16, v52
	v_mul_f32_e32 v5, v1, v5
	v_cvt_f32_f16_e32 v10, v10
	v_cvt_f32_f16_e32 v14, v53
	v_add_co_u32 v26, vcc_lo, s28, v16
	v_add_nc_u32_e32 v16, 0x100, v8
	v_add_co_ci_u32_e32 v27, vcc_lo, s29, v17, vcc_lo
	v_mov_b32_e32 v17, v9
	v_cvt_f32_f16_e32 v2, v2
	v_add_nc_u32_e32 v8, 0x180, v8
	v_mul_f32_e32 v12, v1, v18
	v_cvt_f32_f16_e32 v18, v52
	v_lshlrev_b64 v[20:21], 2, v[16:17]
	v_mul_f32_e32 v19, v1, v2
	v_mul_f32_e32 v17, v1, v10
	v_lshrrev_b32_e32 v2, 16, v48
	v_lshrrev_b32_e32 v10, 16, v49
	v_lshlrev_b64 v[8:9], 2, v[8:9]
	v_cvt_f32_f16_e32 v22, v50
	v_add_co_u32 v28, vcc_lo, s28, v20
	v_cvt_f32_f16_e32 v2, v2
	v_cvt_f32_f16_e32 v20, v48
	;; [unrolled: 1-line block ×4, first 2 shown]
	v_add_co_ci_u32_e32 v29, vcc_lo, s29, v21, vcc_lo
	v_mul_f32_e32 v14, v1, v14
	v_mul_f32_e32 v18, v1, v18
	;; [unrolled: 1-line block ×7, first 2 shown]
	v_add_co_u32 v1, vcc_lo, s28, v8
	v_add_co_ci_u32_e32 v2, vcc_lo, s29, v9, vcc_lo
	s_clause 0x3
	global_store_b128 v[24:25], v[4:7], off
	global_store_b128 v[26:27], v[12:15], off
	;; [unrolled: 1-line block ×4, first 2 shown]
	s_and_b32 exec_lo, exec_lo, s0
	s_cbranch_execz .LBB25_90
; %bb.107:
	v_ashrrev_i32_e32 v1, 31, v0
	v_mov_b32_e32 v10, v3
	s_delay_alu instid0(VALU_DEP_2) | instskip(NEXT) | instid1(VALU_DEP_1)
	v_lshlrev_b64 v[0:1], 3, v[0:1]
	v_add_co_u32 v0, vcc_lo, s30, v0
	s_delay_alu instid0(VALU_DEP_2)
	v_add_co_ci_u32_e32 v1, vcc_lo, s31, v1, vcc_lo
	global_store_b64 v[0:1], v[10:11], off
	s_nop 0
	s_sendmsg sendmsg(MSG_DEALLOC_VGPRS)
	s_endpgm
	.section	.rodata,"a",@progbits
	.p2align	6, 0x0
	.amdhsa_kernel _ZL15flash_attn_tileILi576ELi512ELi8ELi4ELb1EEvPKcS1_S1_S1_S1_PKiPfP15HIP_vector_typeIfLj2EEffffjfiS5_IjLj3EEiiiiiiiiiiiliiliiiiil
		.amdhsa_group_segment_fixed_size 63488
		.amdhsa_private_segment_fixed_size 0
		.amdhsa_kernarg_size 464
		.amdhsa_user_sgpr_count 13
		.amdhsa_user_sgpr_dispatch_ptr 0
		.amdhsa_user_sgpr_queue_ptr 0
		.amdhsa_user_sgpr_kernarg_segment_ptr 1
		.amdhsa_user_sgpr_dispatch_id 0
		.amdhsa_user_sgpr_private_segment_size 0
		.amdhsa_wavefront_size32 1
		.amdhsa_uses_dynamic_stack 0
		.amdhsa_enable_private_segment 0
		.amdhsa_system_sgpr_workgroup_id_x 1
		.amdhsa_system_sgpr_workgroup_id_y 1
		.amdhsa_system_sgpr_workgroup_id_z 1
		.amdhsa_system_sgpr_workgroup_info 0
		.amdhsa_system_vgpr_workitem_id 1
		.amdhsa_next_free_vgpr 208
		.amdhsa_next_free_sgpr 40
		.amdhsa_reserve_vcc 1
		.amdhsa_float_round_mode_32 0
		.amdhsa_float_round_mode_16_64 0
		.amdhsa_float_denorm_mode_32 3
		.amdhsa_float_denorm_mode_16_64 3
		.amdhsa_dx10_clamp 1
		.amdhsa_ieee_mode 1
		.amdhsa_fp16_overflow 0
		.amdhsa_workgroup_processor_mode 1
		.amdhsa_memory_ordered 1
		.amdhsa_forward_progress 0
		.amdhsa_shared_vgpr_count 0
		.amdhsa_exception_fp_ieee_invalid_op 0
		.amdhsa_exception_fp_denorm_src 0
		.amdhsa_exception_fp_ieee_div_zero 0
		.amdhsa_exception_fp_ieee_overflow 0
		.amdhsa_exception_fp_ieee_underflow 0
		.amdhsa_exception_fp_ieee_inexact 0
		.amdhsa_exception_int_div_zero 0
	.end_amdhsa_kernel
	.section	.text._ZL15flash_attn_tileILi576ELi512ELi8ELi4ELb1EEvPKcS1_S1_S1_S1_PKiPfP15HIP_vector_typeIfLj2EEffffjfiS5_IjLj3EEiiiiiiiiiiiliiliiiiil,"axG",@progbits,_ZL15flash_attn_tileILi576ELi512ELi8ELi4ELb1EEvPKcS1_S1_S1_S1_PKiPfP15HIP_vector_typeIfLj2EEffffjfiS5_IjLj3EEiiiiiiiiiiiliiliiiiil,comdat
.Lfunc_end25:
	.size	_ZL15flash_attn_tileILi576ELi512ELi8ELi4ELb1EEvPKcS1_S1_S1_S1_PKiPfP15HIP_vector_typeIfLj2EEffffjfiS5_IjLj3EEiiiiiiiiiiiliiliiiiil, .Lfunc_end25-_ZL15flash_attn_tileILi576ELi512ELi8ELi4ELb1EEvPKcS1_S1_S1_S1_PKiPfP15HIP_vector_typeIfLj2EEffffjfiS5_IjLj3EEiiiiiiiiiiiliiliiiiil
                                        ; -- End function
	.section	.AMDGPU.csdata,"",@progbits
; Kernel info:
; codeLenInByte = 85448
; NumSgprs: 42
; NumVgprs: 208
; ScratchSize: 0
; MemoryBound: 0
; FloatMode: 240
; IeeeMode: 1
; LDSByteSize: 63488 bytes/workgroup (compile time only)
; SGPRBlocks: 5
; VGPRBlocks: 25
; NumSGPRsForWavesPerEU: 42
; NumVGPRsForWavesPerEU: 208
; Occupancy: 4
; WaveLimiterHint : 1
; COMPUTE_PGM_RSRC2:SCRATCH_EN: 0
; COMPUTE_PGM_RSRC2:USER_SGPR: 13
; COMPUTE_PGM_RSRC2:TRAP_HANDLER: 0
; COMPUTE_PGM_RSRC2:TGID_X_EN: 1
; COMPUTE_PGM_RSRC2:TGID_Y_EN: 1
; COMPUTE_PGM_RSRC2:TGID_Z_EN: 1
; COMPUTE_PGM_RSRC2:TIDIG_COMP_CNT: 1
	.section	.text._ZL15flash_attn_tileILi576ELi512ELi4ELi4ELb1EEvPKcS1_S1_S1_S1_PKiPfP15HIP_vector_typeIfLj2EEffffjfiS5_IjLj3EEiiiiiiiiiiiliiliiiiil,"axG",@progbits,_ZL15flash_attn_tileILi576ELi512ELi4ELi4ELb1EEvPKcS1_S1_S1_S1_PKiPfP15HIP_vector_typeIfLj2EEffffjfiS5_IjLj3EEiiiiiiiiiiiliiliiiiil,comdat
	.globl	_ZL15flash_attn_tileILi576ELi512ELi4ELi4ELb1EEvPKcS1_S1_S1_S1_PKiPfP15HIP_vector_typeIfLj2EEffffjfiS5_IjLj3EEiiiiiiiiiiiliiliiiiil ; -- Begin function _ZL15flash_attn_tileILi576ELi512ELi4ELi4ELb1EEvPKcS1_S1_S1_S1_PKiPfP15HIP_vector_typeIfLj2EEffffjfiS5_IjLj3EEiiiiiiiiiiiliiliiiiil
	.p2align	8
	.type	_ZL15flash_attn_tileILi576ELi512ELi4ELi4ELb1EEvPKcS1_S1_S1_S1_PKiPfP15HIP_vector_typeIfLj2EEffffjfiS5_IjLj3EEiiiiiiiiiiiliiliiiiil,@function
_ZL15flash_attn_tileILi576ELi512ELi4ELi4ELb1EEvPKcS1_S1_S1_S1_PKiPfP15HIP_vector_typeIfLj2EEffffjfiS5_IjLj3EEiiiiiiiiiiiliiliiiiil: ; @_ZL15flash_attn_tileILi576ELi512ELi4ELi4ELb1EEvPKcS1_S1_S1_S1_PKiPfP15HIP_vector_typeIfLj2EEffffjfiS5_IjLj3EEiiiiiiiiiiiliiliiiiil
; %bb.0:
	s_clause 0x1
	s_load_b128 s[4:7], s[0:1], 0x5c
	s_load_b64 s[34:35], s[0:1], 0x80
	s_mov_b64 s[36:37], 0
	s_waitcnt lgkmcnt(0)
	s_ashr_i32 s2, s7, 31
	s_delay_alu instid0(SALU_CYCLE_1) | instskip(NEXT) | instid1(SALU_CYCLE_1)
	s_lshr_b32 s2, s2, 30
	s_add_i32 s2, s7, s2
	s_delay_alu instid0(SALU_CYCLE_1) | instskip(NEXT) | instid1(SALU_CYCLE_1)
	s_ashr_i32 s2, s2, 2
	v_cvt_f32_u32_e32 v1, s2
	s_sub_i32 s8, 0, s2
	s_delay_alu instid0(VALU_DEP_1) | instskip(SKIP_2) | instid1(VALU_DEP_1)
	v_rcp_iflag_f32_e32 v1, v1
	s_waitcnt_depctr 0xfff
	v_mul_f32_e32 v1, 0x4f7ffffe, v1
	v_cvt_u32_f32_e32 v1, v1
	s_delay_alu instid0(VALU_DEP_1) | instskip(NEXT) | instid1(VALU_DEP_1)
	v_readfirstlane_b32 s3, v1
	s_mul_i32 s8, s8, s3
	s_delay_alu instid0(SALU_CYCLE_1) | instskip(NEXT) | instid1(SALU_CYCLE_1)
	s_mul_hi_u32 s8, s3, s8
	s_add_i32 s3, s3, s8
	s_delay_alu instid0(SALU_CYCLE_1) | instskip(NEXT) | instid1(SALU_CYCLE_1)
	s_mul_hi_u32 s3, s15, s3
	s_mul_i32 s8, s3, s2
	s_add_i32 s9, s3, 1
	s_sub_i32 s8, s15, s8
	s_delay_alu instid0(SALU_CYCLE_1)
	s_sub_i32 s10, s8, s2
	s_cmp_ge_u32 s8, s2
	s_cselect_b32 s3, s9, s3
	s_cselect_b32 s8, s10, s8
	s_add_i32 s9, s3, 1
	s_cmp_ge_u32 s8, s2
	s_cselect_b32 s33, s9, s3
	s_abs_i32 s2, s35
	s_abs_i32 s11, s7
	v_cvt_f32_u32_e32 v1, s2
	s_sub_i32 s8, 0, s2
	s_lshl_b32 s9, s15, 2
	s_mul_i32 s10, s33, s7
	s_delay_alu instid0(VALU_DEP_1) | instskip(SKIP_3) | instid1(VALU_DEP_1)
	v_rcp_iflag_f32_e32 v1, v1
	s_sub_i32 s12, s9, s10
	s_waitcnt_depctr 0xfff
	v_mul_f32_e32 v1, 0x4f7ffffe, v1
	v_cvt_u32_f32_e32 v1, v1
	s_delay_alu instid0(VALU_DEP_1) | instskip(NEXT) | instid1(VALU_DEP_1)
	v_readfirstlane_b32 s3, v1
	s_mul_i32 s8, s8, s3
	s_delay_alu instid0(SALU_CYCLE_1) | instskip(NEXT) | instid1(SALU_CYCLE_1)
	s_mul_hi_u32 s8, s3, s8
	s_add_i32 s3, s3, s8
	s_xor_b32 s8, s7, s35
	s_mul_hi_u32 s3, s11, s3
	s_ashr_i32 s8, s8, 31
	s_mul_i32 s9, s3, s2
	s_add_i32 s10, s3, 1
	s_sub_i32 s9, s11, s9
	s_delay_alu instid0(SALU_CYCLE_1)
	s_sub_i32 s11, s9, s2
	s_cmp_ge_u32 s9, s2
	s_cselect_b32 s3, s10, s3
	s_cselect_b32 s9, s11, s9
	s_add_i32 s10, s3, 1
	s_cmp_ge_u32 s9, s2
	s_cselect_b32 s2, s10, s3
	s_delay_alu instid0(SALU_CYCLE_1) | instskip(NEXT) | instid1(SALU_CYCLE_1)
	s_xor_b32 s2, s2, s8
	s_sub_i32 s35, s2, s8
	s_clause 0x1
	s_load_b512 s[16:31], s[0:1], 0x0
	s_load_b64 s[2:3], s[0:1], 0xb8
	s_abs_i32 s15, s35
	s_delay_alu instid0(SALU_CYCLE_1) | instskip(NEXT) | instid1(VALU_DEP_1)
	v_cvt_f32_u32_e32 v1, s15
	v_rcp_iflag_f32_e32 v1, v1
	s_waitcnt_depctr 0xfff
	v_mul_f32_e32 v1, 0x4f7ffffe, v1
	s_waitcnt lgkmcnt(0)
	s_cmp_eq_u64 s[22:23], 0
	s_delay_alu instid0(VALU_DEP_1) | instskip(NEXT) | instid1(VALU_DEP_1)
	v_cvt_u32_f32_e32 v1, v1
	v_readfirstlane_b32 s38, v1
	s_cbranch_scc1 .LBB26_2
; %bb.1:
	s_abs_i32 s2, s2
	s_abs_i32 s10, s33
	v_cvt_f32_u32_e32 v1, s2
	s_sub_i32 s9, 0, s2
	s_delay_alu instid0(VALU_DEP_1) | instskip(SKIP_2) | instid1(VALU_DEP_1)
	v_rcp_iflag_f32_e32 v1, v1
	s_waitcnt_depctr 0xfff
	v_mul_f32_e32 v1, 0x4f7ffffe, v1
	v_cvt_u32_f32_e32 v1, v1
	s_delay_alu instid0(VALU_DEP_1) | instskip(NEXT) | instid1(VALU_DEP_1)
	v_readfirstlane_b32 s8, v1
	s_mul_i32 s9, s9, s8
	s_delay_alu instid0(SALU_CYCLE_1) | instskip(NEXT) | instid1(SALU_CYCLE_1)
	s_mul_hi_u32 s9, s8, s9
	s_add_i32 s11, s8, s9
	s_load_b64 s[8:9], s[0:1], 0xc8
	s_mul_hi_u32 s11, s10, s11
	s_delay_alu instid0(SALU_CYCLE_1) | instskip(NEXT) | instid1(SALU_CYCLE_1)
	s_mul_i32 s11, s11, s2
	s_sub_i32 s10, s10, s11
	s_ashr_i32 s11, s33, 31
	s_sub_i32 s36, s10, s2
	s_cmp_ge_u32 s10, s2
	s_cselect_b32 s10, s36, s10
	s_delay_alu instid0(SALU_CYCLE_1) | instskip(SKIP_2) | instid1(SALU_CYCLE_1)
	s_sub_i32 s36, s10, s2
	s_cmp_ge_u32 s10, s2
	s_cselect_b32 s2, s36, s10
	s_xor_b32 s2, s2, s11
	s_delay_alu instid0(SALU_CYCLE_1)
	s_sub_i32 s2, s2, s11
	s_waitcnt lgkmcnt(0)
	s_mul_i32 s9, s2, s9
	s_mul_hi_u32 s10, s2, s8
	s_ashr_i32 s11, s2, 31
	s_add_i32 s9, s10, s9
	s_mul_i32 s11, s11, s8
	s_mul_i32 s2, s2, s8
	s_add_i32 s9, s9, s11
	s_add_u32 s36, s22, s2
	s_addc_u32 s37, s23, s9
.LBB26_2:
	v_bfe_u32 v2, v0, 10, 10
	s_load_b128 s[8:11], s[0:1], 0x70
	v_and_b32_e32 v193, 0x3ff, v0
	s_delay_alu instid0(VALU_DEP_2) | instskip(NEXT) | instid1(VALU_DEP_1)
	v_lshrrev_b32_e32 v1, 1, v2
	v_lshl_add_u32 v192, s13, 2, v1
	s_delay_alu instid0(VALU_DEP_1) | instskip(SKIP_3) | instid1(VALU_DEP_1)
	v_mul_hi_u32 v1, s4, v192
	s_waitcnt lgkmcnt(0)
	s_mul_i32 s2, s33, s10
	s_mul_i32 s4, s12, s9
	v_add_nc_u32_e32 v1, v192, v1
	s_delay_alu instid0(VALU_DEP_1)
	v_lshrrev_b32_e32 v1, s5, v1
	s_ashr_i32 s5, s2, 31
	s_add_u32 s2, s16, s2
	s_addc_u32 s5, s17, s5
	s_ashr_i32 s10, s4, 31
	v_mul_lo_u32 v1, v1, s6
	s_add_u32 s2, s2, s4
	s_addc_u32 s4, s5, s10
	s_ashr_i32 s5, s8, 31
	s_delay_alu instid0(SALU_CYCLE_1) | instskip(SKIP_1) | instid1(VALU_DEP_2)
	v_alignbit_b32 v4, s5, s8, 2
	s_lshr_b32 s5, s5, 2
	v_sub_nc_u32_e32 v3, v192, v1
	s_delay_alu instid0(VALU_DEP_1) | instskip(SKIP_1) | instid1(VALU_DEP_1)
	v_mad_u64_u32 v[5:6], null, v4, v3, 0
	v_lshlrev_b32_e32 v4, 1, v2
	v_and_b32_e32 v201, 2, v4
	s_delay_alu instid0(VALU_DEP_3) | instskip(NEXT) | instid1(VALU_DEP_1)
	v_mov_b32_e32 v1, v6
	v_mad_u64_u32 v[6:7], null, s5, v3, v[1:2]
	s_ashr_i32 s5, s9, 31
	s_delay_alu instid0(SALU_CYCLE_1) | instskip(SKIP_1) | instid1(SALU_CYCLE_1)
	v_alignbit_b32 v1, s5, s9, 2
	s_lshr_b32 s8, s5, 2
	v_mul_lo_u32 v9, s8, v201
	s_load_b32 s8, s[0:1], 0x40
	s_delay_alu instid0(VALU_DEP_2) | instskip(NEXT) | instid1(VALU_DEP_4)
	v_mad_u64_u32 v[7:8], null, v1, v201, 0
	v_lshlrev_b64 v[0:1], 2, v[5:6]
	v_lshlrev_b32_e32 v5, 4, v193
	s_delay_alu instid0(VALU_DEP_2) | instskip(NEXT) | instid1(VALU_DEP_4)
	v_add_co_u32 v6, vcc_lo, s2, v0
	v_or_b32_e32 v8, v8, v9
	s_delay_alu instid0(VALU_DEP_4) | instskip(NEXT) | instid1(VALU_DEP_3)
	v_add_co_ci_u32_e32 v9, vcc_lo, s4, v1, vcc_lo
	v_add_co_u32 v5, vcc_lo, v6, v5
	s_delay_alu instid0(VALU_DEP_3) | instskip(NEXT) | instid1(VALU_DEP_3)
	v_lshlrev_b64 v[0:1], 2, v[7:8]
	v_add_co_ci_u32_e32 v6, vcc_lo, 0, v9, vcc_lo
	v_lshlrev_b32_e32 v7, 1, v193
	v_mul_u32_u24_e32 v8, 0x240, v2
	s_mov_b32 s4, s9
	s_delay_alu instid0(VALU_DEP_4)
	v_add_co_u32 v0, vcc_lo, v5, v0
	v_add_co_ci_u32_e32 v1, vcc_lo, v6, v1, vcc_lo
	s_clause 0x3
	global_load_b128 v[9:12], v[0:1], off
	global_load_b128 v[13:16], v[0:1], off offset:512
	global_load_b128 v[17:20], v[0:1], off offset:1024
	;; [unrolled: 1-line block ×3, first 2 shown]
	v_cmp_gt_u32_e32 vcc_lo, 16, v193
	v_add_lshl_u32 v8, v8, v7, 2
	s_lshr_b64 s[4:5], s[4:5], 2
	s_waitcnt vmcnt(3) lgkmcnt(0)
	v_fma_mixlo_f16 v25, v9, s8, 0
	v_fma_mixlo_f16 v26, v11, s8, 0
	s_waitcnt vmcnt(2)
	v_fma_mixlo_f16 v27, v13, s8, 0
	v_fma_mixlo_f16 v28, v15, s8, 0
	s_waitcnt vmcnt(1)
	;; [unrolled: 3-line block ×3, first 2 shown]
	v_fma_mixlo_f16 v31, v21, s8, 0
	v_fma_mixlo_f16 v32, v23, s8, 0
	v_fma_mixhi_f16 v26, v12, s8, 0
	v_fma_mixhi_f16 v25, v10, s8, 0
	;; [unrolled: 1-line block ×8, first 2 shown]
	ds_store_2addr_b64 v8, v[25:26], v[27:28] offset1:32
	ds_store_2addr_b64 v8, v[29:30], v[31:32] offset0:64 offset1:96
	s_and_saveexec_b32 s2, vcc_lo
	s_cbranch_execz .LBB26_4
; %bb.3:
	global_load_b128 v[9:12], v[0:1], off offset:2048
	s_waitcnt vmcnt(0)
	v_fma_mixlo_f16 v1, v11, s8, 0
	v_fma_mixlo_f16 v0, v9, s8, 0
	s_delay_alu instid0(VALU_DEP_2) | instskip(NEXT) | instid1(VALU_DEP_2)
	v_fma_mixhi_f16 v1, v12, s8, 0
	v_fma_mixhi_f16 v0, v10, s8, 0
	ds_store_b64 v8, v[0:1] offset:1024
.LBB26_4:
	s_or_b32 exec_lo, exec_lo, s2
	v_or_b32_e32 v4, 1, v4
	s_delay_alu instid0(VALU_DEP_1) | instskip(SKIP_1) | instid1(VALU_DEP_2)
	v_and_b32_e32 v10, 3, v4
	v_mul_u32_u24_e32 v4, 0x120, v4
	v_mad_u64_u32 v[0:1], null, s4, v10, 0
	s_delay_alu instid0(VALU_DEP_2) | instskip(NEXT) | instid1(VALU_DEP_2)
	v_add_lshl_u32 v4, v4, v7, 2
	v_mad_u64_u32 v[8:9], null, s5, v10, v[1:2]
	s_delay_alu instid0(VALU_DEP_1) | instskip(NEXT) | instid1(VALU_DEP_1)
	v_mov_b32_e32 v1, v8
	v_lshlrev_b64 v[0:1], 2, v[0:1]
	s_delay_alu instid0(VALU_DEP_1) | instskip(NEXT) | instid1(VALU_DEP_1)
	v_add_co_u32 v0, s2, v5, v0
	v_add_co_ci_u32_e64 v1, s2, v6, v1, s2
	s_clause 0x3
	global_load_b128 v[8:11], v[0:1], off
	global_load_b128 v[12:15], v[0:1], off offset:512
	global_load_b128 v[16:19], v[0:1], off offset:1024
	;; [unrolled: 1-line block ×3, first 2 shown]
	s_waitcnt vmcnt(3)
	v_fma_mixlo_f16 v5, v8, s8, 0
	v_fma_mixlo_f16 v6, v10, s8, 0
	s_waitcnt vmcnt(2)
	v_fma_mixlo_f16 v7, v12, s8, 0
	v_fma_mixlo_f16 v8, v14, s8, 0
	;; [unrolled: 3-line block ×4, first 2 shown]
	v_fma_mixhi_f16 v6, v11, s8, 0
	v_fma_mixhi_f16 v5, v9, s8, 0
	;; [unrolled: 1-line block ×8, first 2 shown]
	ds_store_2addr_b64 v4, v[5:6], v[7:8] offset1:32
	ds_store_2addr_b64 v4, v[24:25], v[26:27] offset0:64 offset1:96
	s_and_saveexec_b32 s2, vcc_lo
	s_cbranch_execz .LBB26_6
; %bb.5:
	global_load_b128 v[5:8], v[0:1], off offset:2048
	s_waitcnt vmcnt(0)
	v_fma_mixlo_f16 v1, v7, s8, 0
	v_fma_mixlo_f16 v0, v5, s8, 0
	s_delay_alu instid0(VALU_DEP_2) | instskip(NEXT) | instid1(VALU_DEP_2)
	v_fma_mixhi_f16 v1, v8, s8, 0
	v_fma_mixhi_f16 v0, v6, s8, 0
	ds_store_b64 v4, v[0:1] offset:1024
.LBB26_6:
	s_or_b32 exec_lo, exec_lo, s2
	s_cmp_eq_u64 s[26:27], 0
	s_waitcnt lgkmcnt(0)
	s_barrier
	buffer_gl0_inv
	s_cbranch_scc1 .LBB26_8
; %bb.7:
	s_load_b32 s2, s[0:1], 0xd0
	s_mov_b32 s5, 0
	s_waitcnt lgkmcnt(0)
	s_mul_i32 s2, s2, s33
	s_delay_alu instid0(SALU_CYCLE_1) | instskip(NEXT) | instid1(SALU_CYCLE_1)
	s_add_i32 s4, s2, s13
	s_lshl_b64 s[4:5], s[4:5], 2
	s_delay_alu instid0(SALU_CYCLE_1)
	s_add_u32 s4, s26, s4
	s_addc_u32 s5, s27, s5
	s_load_b32 s34, s[4:5], 0x0
.LBB26_8:
	v_lshlrev_b32_e32 v202, 2, v193
	v_mbcnt_lo_u32_b32 v203, -1, 0
	s_lshl_b32 s4, s14, 6
	s_waitcnt lgkmcnt(0)
	s_cmp_lt_i32 s4, s34
	s_cbranch_scc1 .LBB26_10
; %bb.9:
	v_mbcnt_lo_u32_b32 v0, -1, 0
	v_mov_b32_e32 v204, 32
	s_mov_b32 s2, 0
	s_mov_b32 s5, 0xfeffffff
	s_delay_alu instid0(VALU_DEP_2)
	v_xor_b32_e32 v222, 16, v0
	v_xor_b32_e32 v218, 8, v0
	;; [unrolled: 1-line block ×5, first 2 shown]
	s_branch .LBB26_11
.LBB26_10:
	s_mov_b32 s2, -1
                                        ; implicit-def: $sgpr5
                                        ; implicit-def: $vgpr0
                                        ; implicit-def: $vgpr204
                                        ; implicit-def: $vgpr222
                                        ; implicit-def: $vgpr218
                                        ; implicit-def: $vgpr219
                                        ; implicit-def: $vgpr220
                                        ; implicit-def: $vgpr221
.LBB26_11:
	s_delay_alu instid0(SALU_CYCLE_1) | instskip(SKIP_2) | instid1(VALU_DEP_3)
	v_cndmask_b32_e64 v1, 0, 1, s2
	v_dual_mov_b32 v200, s5 :: v_dual_mov_b32 v169, s2
	v_dual_mov_b32 v155, s2 :: v_dual_mov_b32 v168, s2
	v_cmp_ne_u32_e32 vcc_lo, 1, v1
	v_dual_mov_b32 v199, s5 :: v_dual_mov_b32 v158, s2
	v_dual_mov_b32 v157, s2 :: v_dual_mov_b32 v154, s2
	;; [unrolled: 1-line block ×8, first 2 shown]
	s_cbranch_vccnz .LBB26_32
; %bb.12:
	s_clause 0x1
	s_load_b128 s[8:11], s[0:1], 0x98
	s_load_b64 s[16:17], s[0:1], 0x8c
	s_sub_i32 s2, 0, s15
	s_abs_i32 s13, s12
	s_mul_i32 s2, s2, s38
	s_ashr_i32 s23, s35, 31
	s_mul_hi_u32 s2, s38, s2
	s_ashr_i32 s35, s33, 31
	s_add_i32 s38, s38, s2
	s_ashr_i32 s22, s12, 31
	s_mul_hi_u32 s27, s13, s38
	s_ashr_i32 s26, s3, 1
	s_load_b64 s[2:3], s[0:1], 0xa8
	s_mul_i32 s38, s27, s15
	v_lshrrev_b32_e32 v0, 3, v193
	v_dual_mov_b32 v145, 0 :: v_dual_and_b32 v8, 28, v202
	v_mov_b32_e32 v147, 0
	v_dual_mov_b32 v160, 0xfeffffff :: v_dual_lshlrev_b32 v9, 2, v202
	s_waitcnt lgkmcnt(0)
	s_ashr_i32 s5, s10, 2
	s_ashr_i32 s10, s16, 2
	s_mul_i32 s9, s33, s9
	s_mul_hi_u32 s16, s33, s8
	s_mul_i32 s39, s35, s8
	s_add_i32 s9, s16, s9
	s_mul_i32 s8, s33, s8
	s_add_i32 s9, s9, s39
	s_add_u32 s16, s18, s8
	s_addc_u32 s18, s19, s9
	s_sub_i32 s13, s13, s38
	s_xor_b32 s9, s22, s23
	s_add_i32 s19, s27, 1
	s_sub_i32 s22, s13, s15
	s_cmp_ge_u32 s13, s15
	v_lshl_add_u32 v1, v2, 2, v0
	v_lshlrev_b32_e32 v4, 2, v8
	s_cselect_b32 s19, s19, s27
	s_cselect_b32 s13, s22, s13
	s_add_i32 s22, s19, 1
	s_cmp_ge_u32 s13, s15
	v_mad_u32_u24 v5, 0x90, v1, v4
	v_mul_lo_u32 v4, s5, v2
	s_cselect_b32 s13, s22, s19
	v_mul_lo_u32 v0, s10, v1
	s_xor_b32 s13, s13, s9
	v_dual_mov_b32 v144, 0 :: v_dual_add_nc_u32 v205, 0x4800, v5
	s_sub_i32 s15, s13, s9
	v_dual_mov_b32 v149, 0 :: v_dual_add_nc_u32 v206, 0x5a00, v5
	s_mul_i32 s9, s15, s17
	v_ashrrev_i32_e32 v5, 31, v4
	s_load_b32 s8, s[0:1], 0x54
	s_mul_i32 s3, s33, s3
	s_mul_hi_u32 s19, s33, s2
	s_ashr_i32 s13, s9, 31
	s_add_u32 s9, s16, s9
	s_mul_i32 s35, s35, s2
	s_addc_u32 s13, s18, s13
	s_add_i32 s3, s19, s3
	s_mul_i32 s2, s33, s2
	v_lshlrev_b64 v[4:5], 2, v[4:5]
	s_add_i32 s3, s3, s35
	s_mul_i32 s15, s15, s11
	s_add_u32 s2, s20, s2
	v_lshl_add_u32 v6, s10, 5, v0
	s_addc_u32 s3, s21, s3
	s_ashr_i32 s11, s15, 31
	s_add_u32 s2, s2, s15
	s_addc_u32 s3, s3, s11
	v_mul_u32_u24_e32 v208, 0x900, v2
	v_lshl_add_u32 v10, v2, 10, v9
	v_lshl_add_u32 v209, v2, 8, 0x6c00
	v_add_co_u32 v2, vcc_lo, s2, v4
	v_ashrrev_i32_e32 v1, 31, v0
	v_ashrrev_i32_e32 v7, 31, v6
	v_mad_u64_u32 v[194:195], null, v3, s26, v[193:194]
	v_add_co_ci_u32_e32 v3, vcc_lo, s3, v5, vcc_lo
	v_add_co_u32 v213, vcc_lo, v2, v9
	v_lshlrev_b64 v[195:196], 2, v[0:1]
	v_lshlrev_b64 v[197:198], 2, v[6:7]
	v_mul_u32_u24_e32 v207, 0x90, v193
	v_dual_mov_b32 v151, 0 :: v_dual_add_nc_u32 v210, 0x4800, v10
	v_dual_mov_b32 v204, 32 :: v_dual_add_nc_u32 v211, 0x4a00, v10
	v_lshl_add_u32 v212, v193, 3, 0x4800
	v_add_co_ci_u32_e32 v214, vcc_lo, 0, v3, vcc_lo
	v_dual_mov_b32 v146, 0 :: v_dual_lshlrev_b32 v215, 2, v8
	v_dual_mov_b32 v148, 0 :: v_dual_mov_b32 v153, 0
	v_dual_mov_b32 v150, 0 :: v_dual_mov_b32 v159, 0
	;; [unrolled: 1-line block ×6, first 2 shown]
	v_mov_b32_e32 v216, 0
	s_add_u32 s2, s0, 0xd0
	s_addc_u32 s3, s1, 0
	s_mov_b32 s11, 0xbbbac73d
.LBB26_13:                              ; =>This Inner Loop Header: Depth=1
	s_mul_hi_i32 s17, s4, s10
	s_mul_i32 s16, s4, s10
	s_delay_alu instid0(SALU_CYCLE_1) | instskip(NEXT) | instid1(SALU_CYCLE_1)
	s_lshl_b64 s[16:17], s[16:17], 2
	s_add_u32 s15, s9, s16
	s_addc_u32 s16, s13, s17
	v_add_co_u32 v0, vcc_lo, s15, v195
	v_add_co_ci_u32_e32 v1, vcc_lo, s16, v196, vcc_lo
	v_add_co_u32 v2, vcc_lo, s15, v197
	v_add_co_ci_u32_e32 v3, vcc_lo, s16, v198, vcc_lo
	s_delay_alu instid0(VALU_DEP_4) | instskip(NEXT) | instid1(VALU_DEP_4)
	v_add_co_u32 v0, vcc_lo, v0, v215
	v_add_co_ci_u32_e32 v1, vcc_lo, 0, v1, vcc_lo
	s_delay_alu instid0(VALU_DEP_4) | instskip(NEXT) | instid1(VALU_DEP_4)
	v_add_co_u32 v2, vcc_lo, v2, v215
	v_add_co_ci_u32_e32 v3, vcc_lo, 0, v3, vcc_lo
	s_clause 0x1
	global_load_b128 v[4:7], v[0:1], off
	global_load_b128 v[8:11], v[2:3], off
	s_waitcnt vmcnt(1)
	ds_store_b128 v205, v[4:7]
	s_waitcnt vmcnt(0)
	ds_store_b128 v206, v[8:11]
	s_waitcnt lgkmcnt(0)
	s_barrier
	buffer_gl0_inv
	ds_load_b128 v[8:11], v207 offset:18432
	ds_load_b128 v[12:15], v208
	ds_load_b128 v[16:19], v208 offset:1152
	ds_load_b128 v[20:23], v207 offset:23040
	v_dual_mov_b32 v6, 0 :: v_dual_mov_b32 v7, 0
	v_dual_mov_b32 v4, 0 :: v_dual_mov_b32 v5, 0
	s_waitcnt lgkmcnt(2)
	;;#ASMSTART
	v_dot2_f32_f16 v6, v8, v12, v6
	;;#ASMEND
	;;#ASMSTART
	v_dot2_f32_f16 v6, v9, v13, v6
	;;#ASMEND
	;;#ASMSTART
	v_dot2_f32_f16 v6, v10, v14, v6
	;;#ASMEND
	;;#ASMSTART
	v_dot2_f32_f16 v6, v11, v15, v6
	;;#ASMEND
	s_waitcnt lgkmcnt(1)
	;;#ASMSTART
	v_dot2_f32_f16 v4, v8, v16, v4
	;;#ASMEND
	;;#ASMSTART
	v_dot2_f32_f16 v4, v9, v17, v4
	;;#ASMEND
	;;#ASMSTART
	v_dot2_f32_f16 v4, v10, v18, v4
	;;#ASMEND
	;;#ASMSTART
	v_dot2_f32_f16 v4, v11, v19, v4
	;;#ASMEND
	s_waitcnt lgkmcnt(0)
	;;#ASMSTART
	v_dot2_f32_f16 v7, v20, v12, v7
	;;#ASMEND
	;;#ASMSTART
	v_dot2_f32_f16 v7, v21, v13, v7
	;;#ASMEND
	;;#ASMSTART
	v_dot2_f32_f16 v7, v22, v14, v7
	;;#ASMEND
	;;#ASMSTART
	v_dot2_f32_f16 v7, v23, v15, v7
	;;#ASMEND
	;;#ASMSTART
	v_dot2_f32_f16 v5, v20, v16, v5
	;;#ASMEND
	;;#ASMSTART
	v_dot2_f32_f16 v5, v21, v17, v5
	;;#ASMEND
	;;#ASMSTART
	v_dot2_f32_f16 v5, v22, v18, v5
	;;#ASMEND
	;;#ASMSTART
	v_dot2_f32_f16 v5, v23, v19, v5
	;;#ASMEND
	ds_load_b128 v[8:11], v207 offset:18448
	ds_load_b128 v[12:15], v208 offset:16
	ds_load_b128 v[16:19], v208 offset:1168
	ds_load_b128 v[20:23], v207 offset:23056
	s_waitcnt lgkmcnt(2)
	;;#ASMSTART
	v_dot2_f32_f16 v6, v8, v12, v6
	;;#ASMEND
	;;#ASMSTART
	v_dot2_f32_f16 v6, v9, v13, v6
	;;#ASMEND
	;;#ASMSTART
	v_dot2_f32_f16 v6, v10, v14, v6
	;;#ASMEND
	;;#ASMSTART
	v_dot2_f32_f16 v6, v11, v15, v6
	;;#ASMEND
	s_waitcnt lgkmcnt(1)
	;;#ASMSTART
	v_dot2_f32_f16 v4, v8, v16, v4
	;;#ASMEND
	;;#ASMSTART
	v_dot2_f32_f16 v4, v9, v17, v4
	;;#ASMEND
	;;#ASMSTART
	v_dot2_f32_f16 v4, v10, v18, v4
	;;#ASMEND
	;;#ASMSTART
	v_dot2_f32_f16 v4, v11, v19, v4
	;;#ASMEND
	s_waitcnt lgkmcnt(0)
	;;#ASMSTART
	v_dot2_f32_f16 v7, v20, v12, v7
	;;#ASMEND
	;;#ASMSTART
	v_dot2_f32_f16 v7, v21, v13, v7
	;;#ASMEND
	;;#ASMSTART
	v_dot2_f32_f16 v7, v22, v14, v7
	;;#ASMEND
	;;#ASMSTART
	v_dot2_f32_f16 v7, v23, v15, v7
	;;#ASMEND
	;;#ASMSTART
	v_dot2_f32_f16 v5, v20, v16, v5
	;;#ASMEND
	;;#ASMSTART
	v_dot2_f32_f16 v5, v21, v17, v5
	;;#ASMEND
	;;#ASMSTART
	v_dot2_f32_f16 v5, v22, v18, v5
	;;#ASMEND
	;;#ASMSTART
	v_dot2_f32_f16 v5, v23, v19, v5
	;;#ASMEND
	ds_load_b128 v[8:11], v207 offset:18464
	ds_load_b128 v[12:15], v208 offset:32
	ds_load_b128 v[16:19], v208 offset:1184
	ds_load_b128 v[20:23], v207 offset:23072
	;; [unrolled: 55-line block ×7, first 2 shown]
	s_waitcnt lgkmcnt(2)
	;;#ASMSTART
	v_dot2_f32_f16 v6, v8, v12, v6
	;;#ASMEND
	;;#ASMSTART
	v_dot2_f32_f16 v6, v9, v13, v6
	;;#ASMEND
	;;#ASMSTART
	v_dot2_f32_f16 v6, v10, v14, v6
	;;#ASMEND
	;;#ASMSTART
	v_dot2_f32_f16 v6, v11, v15, v6
	;;#ASMEND
	s_waitcnt lgkmcnt(1)
	;;#ASMSTART
	v_dot2_f32_f16 v4, v8, v16, v4
	;;#ASMEND
	;;#ASMSTART
	v_dot2_f32_f16 v4, v9, v17, v4
	;;#ASMEND
	;;#ASMSTART
	v_dot2_f32_f16 v4, v10, v18, v4
	;;#ASMEND
	;;#ASMSTART
	v_dot2_f32_f16 v4, v11, v19, v4
	;;#ASMEND
	;; [unrolled: 13-line block ×3, first 2 shown]
	;;#ASMSTART
	v_dot2_f32_f16 v5, v20, v16, v5
	;;#ASMEND
	;;#ASMSTART
	v_dot2_f32_f16 v5, v21, v17, v5
	;;#ASMEND
	;; [unrolled: 3-line block ×4, first 2 shown]
	s_barrier
	buffer_gl0_inv
	s_clause 0x1
	global_load_b128 v[8:11], v[0:1], off offset:128
	global_load_b128 v[12:15], v[2:3], off offset:128
	s_waitcnt vmcnt(1)
	ds_store_b128 v205, v[8:11]
	s_waitcnt vmcnt(0)
	ds_store_b128 v206, v[12:15]
	s_waitcnt lgkmcnt(0)
	s_barrier
	buffer_gl0_inv
	ds_load_b128 v[8:11], v207 offset:18432
	ds_load_b128 v[12:15], v208 offset:128
	ds_load_b128 v[16:19], v208 offset:1280
	ds_load_b128 v[20:23], v207 offset:23040
	s_waitcnt lgkmcnt(2)
	;;#ASMSTART
	v_dot2_f32_f16 v6, v8, v12, v6
	;;#ASMEND
	;;#ASMSTART
	v_dot2_f32_f16 v6, v9, v13, v6
	;;#ASMEND
	;;#ASMSTART
	v_dot2_f32_f16 v6, v10, v14, v6
	;;#ASMEND
	;;#ASMSTART
	v_dot2_f32_f16 v6, v11, v15, v6
	;;#ASMEND
	s_waitcnt lgkmcnt(1)
	;;#ASMSTART
	v_dot2_f32_f16 v4, v8, v16, v4
	;;#ASMEND
	;;#ASMSTART
	v_dot2_f32_f16 v4, v9, v17, v4
	;;#ASMEND
	;;#ASMSTART
	v_dot2_f32_f16 v4, v10, v18, v4
	;;#ASMEND
	;;#ASMSTART
	v_dot2_f32_f16 v4, v11, v19, v4
	;;#ASMEND
	s_waitcnt lgkmcnt(0)
	;;#ASMSTART
	v_dot2_f32_f16 v7, v20, v12, v7
	;;#ASMEND
	;;#ASMSTART
	v_dot2_f32_f16 v7, v21, v13, v7
	;;#ASMEND
	;;#ASMSTART
	v_dot2_f32_f16 v7, v22, v14, v7
	;;#ASMEND
	;;#ASMSTART
	v_dot2_f32_f16 v7, v23, v15, v7
	;;#ASMEND
	;;#ASMSTART
	v_dot2_f32_f16 v5, v20, v16, v5
	;;#ASMEND
	;;#ASMSTART
	v_dot2_f32_f16 v5, v21, v17, v5
	;;#ASMEND
	;;#ASMSTART
	v_dot2_f32_f16 v5, v22, v18, v5
	;;#ASMEND
	;;#ASMSTART
	v_dot2_f32_f16 v5, v23, v19, v5
	;;#ASMEND
	ds_load_b128 v[8:11], v207 offset:18448
	ds_load_b128 v[12:15], v208 offset:144
	ds_load_b128 v[16:19], v208 offset:1296
	ds_load_b128 v[20:23], v207 offset:23056
	s_waitcnt lgkmcnt(2)
	;;#ASMSTART
	v_dot2_f32_f16 v6, v8, v12, v6
	;;#ASMEND
	;;#ASMSTART
	v_dot2_f32_f16 v6, v9, v13, v6
	;;#ASMEND
	;;#ASMSTART
	v_dot2_f32_f16 v6, v10, v14, v6
	;;#ASMEND
	;;#ASMSTART
	v_dot2_f32_f16 v6, v11, v15, v6
	;;#ASMEND
	s_waitcnt lgkmcnt(1)
	;;#ASMSTART
	v_dot2_f32_f16 v4, v8, v16, v4
	;;#ASMEND
	;;#ASMSTART
	v_dot2_f32_f16 v4, v9, v17, v4
	;;#ASMEND
	;;#ASMSTART
	v_dot2_f32_f16 v4, v10, v18, v4
	;;#ASMEND
	;;#ASMSTART
	v_dot2_f32_f16 v4, v11, v19, v4
	;;#ASMEND
	s_waitcnt lgkmcnt(0)
	;;#ASMSTART
	v_dot2_f32_f16 v7, v20, v12, v7
	;;#ASMEND
	;;#ASMSTART
	v_dot2_f32_f16 v7, v21, v13, v7
	;;#ASMEND
	;;#ASMSTART
	v_dot2_f32_f16 v7, v22, v14, v7
	;;#ASMEND
	;;#ASMSTART
	v_dot2_f32_f16 v7, v23, v15, v7
	;;#ASMEND
	;;#ASMSTART
	v_dot2_f32_f16 v5, v20, v16, v5
	;;#ASMEND
	;;#ASMSTART
	v_dot2_f32_f16 v5, v21, v17, v5
	;;#ASMEND
	;;#ASMSTART
	v_dot2_f32_f16 v5, v22, v18, v5
	;;#ASMEND
	;;#ASMSTART
	v_dot2_f32_f16 v5, v23, v19, v5
	;;#ASMEND
	;; [unrolled: 55-line block ×8, first 2 shown]
	s_barrier
	buffer_gl0_inv
	s_clause 0x1
	global_load_b128 v[8:11], v[0:1], off offset:256
	global_load_b128 v[12:15], v[2:3], off offset:256
	s_waitcnt vmcnt(1)
	ds_store_b128 v205, v[8:11]
	s_waitcnt vmcnt(0)
	ds_store_b128 v206, v[12:15]
	s_waitcnt lgkmcnt(0)
	s_barrier
	buffer_gl0_inv
	ds_load_b128 v[8:11], v207 offset:18432
	ds_load_b128 v[12:15], v208 offset:256
	ds_load_b128 v[16:19], v208 offset:1408
	ds_load_b128 v[20:23], v207 offset:23040
	s_waitcnt lgkmcnt(2)
	;;#ASMSTART
	v_dot2_f32_f16 v6, v8, v12, v6
	;;#ASMEND
	;;#ASMSTART
	v_dot2_f32_f16 v6, v9, v13, v6
	;;#ASMEND
	;;#ASMSTART
	v_dot2_f32_f16 v6, v10, v14, v6
	;;#ASMEND
	;;#ASMSTART
	v_dot2_f32_f16 v6, v11, v15, v6
	;;#ASMEND
	s_waitcnt lgkmcnt(1)
	;;#ASMSTART
	v_dot2_f32_f16 v4, v8, v16, v4
	;;#ASMEND
	;;#ASMSTART
	v_dot2_f32_f16 v4, v9, v17, v4
	;;#ASMEND
	;;#ASMSTART
	v_dot2_f32_f16 v4, v10, v18, v4
	;;#ASMEND
	;;#ASMSTART
	v_dot2_f32_f16 v4, v11, v19, v4
	;;#ASMEND
	s_waitcnt lgkmcnt(0)
	;;#ASMSTART
	v_dot2_f32_f16 v7, v20, v12, v7
	;;#ASMEND
	;;#ASMSTART
	v_dot2_f32_f16 v7, v21, v13, v7
	;;#ASMEND
	;;#ASMSTART
	v_dot2_f32_f16 v7, v22, v14, v7
	;;#ASMEND
	;;#ASMSTART
	v_dot2_f32_f16 v7, v23, v15, v7
	;;#ASMEND
	;;#ASMSTART
	v_dot2_f32_f16 v5, v20, v16, v5
	;;#ASMEND
	;;#ASMSTART
	v_dot2_f32_f16 v5, v21, v17, v5
	;;#ASMEND
	;;#ASMSTART
	v_dot2_f32_f16 v5, v22, v18, v5
	;;#ASMEND
	;;#ASMSTART
	v_dot2_f32_f16 v5, v23, v19, v5
	;;#ASMEND
	ds_load_b128 v[8:11], v207 offset:18448
	ds_load_b128 v[12:15], v208 offset:272
	ds_load_b128 v[16:19], v208 offset:1424
	ds_load_b128 v[20:23], v207 offset:23056
	s_waitcnt lgkmcnt(2)
	;;#ASMSTART
	v_dot2_f32_f16 v6, v8, v12, v6
	;;#ASMEND
	;;#ASMSTART
	v_dot2_f32_f16 v6, v9, v13, v6
	;;#ASMEND
	;;#ASMSTART
	v_dot2_f32_f16 v6, v10, v14, v6
	;;#ASMEND
	;;#ASMSTART
	v_dot2_f32_f16 v6, v11, v15, v6
	;;#ASMEND
	s_waitcnt lgkmcnt(1)
	;;#ASMSTART
	v_dot2_f32_f16 v4, v8, v16, v4
	;;#ASMEND
	;;#ASMSTART
	v_dot2_f32_f16 v4, v9, v17, v4
	;;#ASMEND
	;;#ASMSTART
	v_dot2_f32_f16 v4, v10, v18, v4
	;;#ASMEND
	;;#ASMSTART
	v_dot2_f32_f16 v4, v11, v19, v4
	;;#ASMEND
	s_waitcnt lgkmcnt(0)
	;;#ASMSTART
	v_dot2_f32_f16 v7, v20, v12, v7
	;;#ASMEND
	;;#ASMSTART
	v_dot2_f32_f16 v7, v21, v13, v7
	;;#ASMEND
	;;#ASMSTART
	v_dot2_f32_f16 v7, v22, v14, v7
	;;#ASMEND
	;;#ASMSTART
	v_dot2_f32_f16 v7, v23, v15, v7
	;;#ASMEND
	;;#ASMSTART
	v_dot2_f32_f16 v5, v20, v16, v5
	;;#ASMEND
	;;#ASMSTART
	v_dot2_f32_f16 v5, v21, v17, v5
	;;#ASMEND
	;;#ASMSTART
	v_dot2_f32_f16 v5, v22, v18, v5
	;;#ASMEND
	;;#ASMSTART
	v_dot2_f32_f16 v5, v23, v19, v5
	;;#ASMEND
	;; [unrolled: 55-line block ×8, first 2 shown]
	s_barrier
	buffer_gl0_inv
	s_clause 0x1
	global_load_b128 v[8:11], v[0:1], off offset:384
	global_load_b128 v[12:15], v[2:3], off offset:384
	s_waitcnt vmcnt(1)
	ds_store_b128 v205, v[8:11]
	s_waitcnt vmcnt(0)
	ds_store_b128 v206, v[12:15]
	s_waitcnt lgkmcnt(0)
	s_barrier
	buffer_gl0_inv
	ds_load_b128 v[8:11], v207 offset:18432
	ds_load_b128 v[12:15], v208 offset:384
	ds_load_b128 v[16:19], v208 offset:1536
	ds_load_b128 v[20:23], v207 offset:23040
	s_waitcnt lgkmcnt(2)
	;;#ASMSTART
	v_dot2_f32_f16 v6, v8, v12, v6
	;;#ASMEND
	;;#ASMSTART
	v_dot2_f32_f16 v6, v9, v13, v6
	;;#ASMEND
	;;#ASMSTART
	v_dot2_f32_f16 v6, v10, v14, v6
	;;#ASMEND
	;;#ASMSTART
	v_dot2_f32_f16 v6, v11, v15, v6
	;;#ASMEND
	s_waitcnt lgkmcnt(1)
	;;#ASMSTART
	v_dot2_f32_f16 v4, v8, v16, v4
	;;#ASMEND
	;;#ASMSTART
	v_dot2_f32_f16 v4, v9, v17, v4
	;;#ASMEND
	;;#ASMSTART
	v_dot2_f32_f16 v4, v10, v18, v4
	;;#ASMEND
	;;#ASMSTART
	v_dot2_f32_f16 v4, v11, v19, v4
	;;#ASMEND
	s_waitcnt lgkmcnt(0)
	;;#ASMSTART
	v_dot2_f32_f16 v7, v20, v12, v7
	;;#ASMEND
	;;#ASMSTART
	v_dot2_f32_f16 v7, v21, v13, v7
	;;#ASMEND
	;;#ASMSTART
	v_dot2_f32_f16 v7, v22, v14, v7
	;;#ASMEND
	;;#ASMSTART
	v_dot2_f32_f16 v7, v23, v15, v7
	;;#ASMEND
	;;#ASMSTART
	v_dot2_f32_f16 v5, v20, v16, v5
	;;#ASMEND
	;;#ASMSTART
	v_dot2_f32_f16 v5, v21, v17, v5
	;;#ASMEND
	;;#ASMSTART
	v_dot2_f32_f16 v5, v22, v18, v5
	;;#ASMEND
	;;#ASMSTART
	v_dot2_f32_f16 v5, v23, v19, v5
	;;#ASMEND
	ds_load_b128 v[8:11], v207 offset:18448
	ds_load_b128 v[12:15], v208 offset:400
	ds_load_b128 v[16:19], v208 offset:1552
	ds_load_b128 v[20:23], v207 offset:23056
	s_waitcnt lgkmcnt(2)
	;;#ASMSTART
	v_dot2_f32_f16 v6, v8, v12, v6
	;;#ASMEND
	;;#ASMSTART
	v_dot2_f32_f16 v6, v9, v13, v6
	;;#ASMEND
	;;#ASMSTART
	v_dot2_f32_f16 v6, v10, v14, v6
	;;#ASMEND
	;;#ASMSTART
	v_dot2_f32_f16 v6, v11, v15, v6
	;;#ASMEND
	s_waitcnt lgkmcnt(1)
	;;#ASMSTART
	v_dot2_f32_f16 v4, v8, v16, v4
	;;#ASMEND
	;;#ASMSTART
	v_dot2_f32_f16 v4, v9, v17, v4
	;;#ASMEND
	;;#ASMSTART
	v_dot2_f32_f16 v4, v10, v18, v4
	;;#ASMEND
	;;#ASMSTART
	v_dot2_f32_f16 v4, v11, v19, v4
	;;#ASMEND
	s_waitcnt lgkmcnt(0)
	;;#ASMSTART
	v_dot2_f32_f16 v7, v20, v12, v7
	;;#ASMEND
	;;#ASMSTART
	v_dot2_f32_f16 v7, v21, v13, v7
	;;#ASMEND
	;;#ASMSTART
	v_dot2_f32_f16 v7, v22, v14, v7
	;;#ASMEND
	;;#ASMSTART
	v_dot2_f32_f16 v7, v23, v15, v7
	;;#ASMEND
	;;#ASMSTART
	v_dot2_f32_f16 v5, v20, v16, v5
	;;#ASMEND
	;;#ASMSTART
	v_dot2_f32_f16 v5, v21, v17, v5
	;;#ASMEND
	;;#ASMSTART
	v_dot2_f32_f16 v5, v22, v18, v5
	;;#ASMEND
	;;#ASMSTART
	v_dot2_f32_f16 v5, v23, v19, v5
	;;#ASMEND
	;; [unrolled: 55-line block ×8, first 2 shown]
	s_barrier
	buffer_gl0_inv
	s_clause 0x1
	global_load_b128 v[8:11], v[0:1], off offset:512
	global_load_b128 v[12:15], v[2:3], off offset:512
	s_waitcnt vmcnt(1)
	ds_store_b128 v205, v[8:11]
	s_waitcnt vmcnt(0)
	ds_store_b128 v206, v[12:15]
	s_waitcnt lgkmcnt(0)
	s_barrier
	buffer_gl0_inv
	ds_load_b128 v[8:11], v207 offset:18432
	ds_load_b128 v[12:15], v208 offset:512
	ds_load_b128 v[16:19], v208 offset:1664
	ds_load_b128 v[20:23], v207 offset:23040
	s_waitcnt lgkmcnt(2)
	;;#ASMSTART
	v_dot2_f32_f16 v6, v8, v12, v6
	;;#ASMEND
	;;#ASMSTART
	v_dot2_f32_f16 v6, v9, v13, v6
	;;#ASMEND
	;;#ASMSTART
	v_dot2_f32_f16 v6, v10, v14, v6
	;;#ASMEND
	;;#ASMSTART
	v_dot2_f32_f16 v6, v11, v15, v6
	;;#ASMEND
	s_waitcnt lgkmcnt(1)
	;;#ASMSTART
	v_dot2_f32_f16 v4, v8, v16, v4
	;;#ASMEND
	;;#ASMSTART
	v_dot2_f32_f16 v4, v9, v17, v4
	;;#ASMEND
	;;#ASMSTART
	v_dot2_f32_f16 v4, v10, v18, v4
	;;#ASMEND
	;;#ASMSTART
	v_dot2_f32_f16 v4, v11, v19, v4
	;;#ASMEND
	s_waitcnt lgkmcnt(0)
	;;#ASMSTART
	v_dot2_f32_f16 v7, v20, v12, v7
	;;#ASMEND
	;;#ASMSTART
	v_dot2_f32_f16 v7, v21, v13, v7
	;;#ASMEND
	;;#ASMSTART
	v_dot2_f32_f16 v7, v22, v14, v7
	;;#ASMEND
	;;#ASMSTART
	v_dot2_f32_f16 v7, v23, v15, v7
	;;#ASMEND
	;;#ASMSTART
	v_dot2_f32_f16 v5, v20, v16, v5
	;;#ASMEND
	;;#ASMSTART
	v_dot2_f32_f16 v5, v21, v17, v5
	;;#ASMEND
	;;#ASMSTART
	v_dot2_f32_f16 v5, v22, v18, v5
	;;#ASMEND
	;;#ASMSTART
	v_dot2_f32_f16 v5, v23, v19, v5
	;;#ASMEND
	ds_load_b128 v[8:11], v207 offset:18448
	ds_load_b128 v[12:15], v208 offset:528
	ds_load_b128 v[16:19], v208 offset:1680
	ds_load_b128 v[20:23], v207 offset:23056
	s_waitcnt lgkmcnt(2)
	;;#ASMSTART
	v_dot2_f32_f16 v6, v8, v12, v6
	;;#ASMEND
	;;#ASMSTART
	v_dot2_f32_f16 v6, v9, v13, v6
	;;#ASMEND
	;;#ASMSTART
	v_dot2_f32_f16 v6, v10, v14, v6
	;;#ASMEND
	;;#ASMSTART
	v_dot2_f32_f16 v6, v11, v15, v6
	;;#ASMEND
	s_waitcnt lgkmcnt(1)
	;;#ASMSTART
	v_dot2_f32_f16 v4, v8, v16, v4
	;;#ASMEND
	;;#ASMSTART
	v_dot2_f32_f16 v4, v9, v17, v4
	;;#ASMEND
	;;#ASMSTART
	v_dot2_f32_f16 v4, v10, v18, v4
	;;#ASMEND
	;;#ASMSTART
	v_dot2_f32_f16 v4, v11, v19, v4
	;;#ASMEND
	s_waitcnt lgkmcnt(0)
	;;#ASMSTART
	v_dot2_f32_f16 v7, v20, v12, v7
	;;#ASMEND
	;;#ASMSTART
	v_dot2_f32_f16 v7, v21, v13, v7
	;;#ASMEND
	;;#ASMSTART
	v_dot2_f32_f16 v7, v22, v14, v7
	;;#ASMEND
	;;#ASMSTART
	v_dot2_f32_f16 v7, v23, v15, v7
	;;#ASMEND
	;;#ASMSTART
	v_dot2_f32_f16 v5, v20, v16, v5
	;;#ASMEND
	;;#ASMSTART
	v_dot2_f32_f16 v5, v21, v17, v5
	;;#ASMEND
	;;#ASMSTART
	v_dot2_f32_f16 v5, v22, v18, v5
	;;#ASMEND
	;;#ASMSTART
	v_dot2_f32_f16 v5, v23, v19, v5
	;;#ASMEND
	;; [unrolled: 55-line block ×8, first 2 shown]
	s_barrier
	buffer_gl0_inv
	s_clause 0x1
	global_load_b128 v[8:11], v[0:1], off offset:640
	global_load_b128 v[12:15], v[2:3], off offset:640
	s_waitcnt vmcnt(1)
	ds_store_b128 v205, v[8:11]
	s_waitcnt vmcnt(0)
	ds_store_b128 v206, v[12:15]
	s_waitcnt lgkmcnt(0)
	s_barrier
	buffer_gl0_inv
	ds_load_b128 v[8:11], v207 offset:18432
	ds_load_b128 v[12:15], v208 offset:640
	ds_load_b128 v[16:19], v208 offset:1792
	ds_load_b128 v[20:23], v207 offset:23040
	s_waitcnt lgkmcnt(2)
	;;#ASMSTART
	v_dot2_f32_f16 v6, v8, v12, v6
	;;#ASMEND
	;;#ASMSTART
	v_dot2_f32_f16 v6, v9, v13, v6
	;;#ASMEND
	;;#ASMSTART
	v_dot2_f32_f16 v6, v10, v14, v6
	;;#ASMEND
	;;#ASMSTART
	v_dot2_f32_f16 v6, v11, v15, v6
	;;#ASMEND
	s_waitcnt lgkmcnt(1)
	;;#ASMSTART
	v_dot2_f32_f16 v4, v8, v16, v4
	;;#ASMEND
	;;#ASMSTART
	v_dot2_f32_f16 v4, v9, v17, v4
	;;#ASMEND
	;;#ASMSTART
	v_dot2_f32_f16 v4, v10, v18, v4
	;;#ASMEND
	;;#ASMSTART
	v_dot2_f32_f16 v4, v11, v19, v4
	;;#ASMEND
	s_waitcnt lgkmcnt(0)
	;;#ASMSTART
	v_dot2_f32_f16 v7, v20, v12, v7
	;;#ASMEND
	;;#ASMSTART
	v_dot2_f32_f16 v7, v21, v13, v7
	;;#ASMEND
	;;#ASMSTART
	v_dot2_f32_f16 v7, v22, v14, v7
	;;#ASMEND
	;;#ASMSTART
	v_dot2_f32_f16 v7, v23, v15, v7
	;;#ASMEND
	;;#ASMSTART
	v_dot2_f32_f16 v5, v20, v16, v5
	;;#ASMEND
	;;#ASMSTART
	v_dot2_f32_f16 v5, v21, v17, v5
	;;#ASMEND
	;;#ASMSTART
	v_dot2_f32_f16 v5, v22, v18, v5
	;;#ASMEND
	;;#ASMSTART
	v_dot2_f32_f16 v5, v23, v19, v5
	;;#ASMEND
	ds_load_b128 v[8:11], v207 offset:18448
	ds_load_b128 v[12:15], v208 offset:656
	ds_load_b128 v[16:19], v208 offset:1808
	ds_load_b128 v[20:23], v207 offset:23056
	s_waitcnt lgkmcnt(2)
	;;#ASMSTART
	v_dot2_f32_f16 v6, v8, v12, v6
	;;#ASMEND
	;;#ASMSTART
	v_dot2_f32_f16 v6, v9, v13, v6
	;;#ASMEND
	;;#ASMSTART
	v_dot2_f32_f16 v6, v10, v14, v6
	;;#ASMEND
	;;#ASMSTART
	v_dot2_f32_f16 v6, v11, v15, v6
	;;#ASMEND
	s_waitcnt lgkmcnt(1)
	;;#ASMSTART
	v_dot2_f32_f16 v4, v8, v16, v4
	;;#ASMEND
	;;#ASMSTART
	v_dot2_f32_f16 v4, v9, v17, v4
	;;#ASMEND
	;;#ASMSTART
	v_dot2_f32_f16 v4, v10, v18, v4
	;;#ASMEND
	;;#ASMSTART
	v_dot2_f32_f16 v4, v11, v19, v4
	;;#ASMEND
	s_waitcnt lgkmcnt(0)
	;;#ASMSTART
	v_dot2_f32_f16 v7, v20, v12, v7
	;;#ASMEND
	;;#ASMSTART
	v_dot2_f32_f16 v7, v21, v13, v7
	;;#ASMEND
	;;#ASMSTART
	v_dot2_f32_f16 v7, v22, v14, v7
	;;#ASMEND
	;;#ASMSTART
	v_dot2_f32_f16 v7, v23, v15, v7
	;;#ASMEND
	;;#ASMSTART
	v_dot2_f32_f16 v5, v20, v16, v5
	;;#ASMEND
	;;#ASMSTART
	v_dot2_f32_f16 v5, v21, v17, v5
	;;#ASMEND
	;;#ASMSTART
	v_dot2_f32_f16 v5, v22, v18, v5
	;;#ASMEND
	;;#ASMSTART
	v_dot2_f32_f16 v5, v23, v19, v5
	;;#ASMEND
	;; [unrolled: 55-line block ×8, first 2 shown]
	s_barrier
	buffer_gl0_inv
	s_clause 0x1
	global_load_b128 v[8:11], v[0:1], off offset:768
	global_load_b128 v[12:15], v[2:3], off offset:768
	s_waitcnt vmcnt(1)
	ds_store_b128 v205, v[8:11]
	s_waitcnt vmcnt(0)
	ds_store_b128 v206, v[12:15]
	s_waitcnt lgkmcnt(0)
	s_barrier
	buffer_gl0_inv
	ds_load_b128 v[8:11], v207 offset:18432
	ds_load_b128 v[12:15], v208 offset:768
	ds_load_b128 v[16:19], v208 offset:1920
	ds_load_b128 v[20:23], v207 offset:23040
	s_waitcnt lgkmcnt(2)
	;;#ASMSTART
	v_dot2_f32_f16 v6, v8, v12, v6
	;;#ASMEND
	;;#ASMSTART
	v_dot2_f32_f16 v6, v9, v13, v6
	;;#ASMEND
	;;#ASMSTART
	v_dot2_f32_f16 v6, v10, v14, v6
	;;#ASMEND
	;;#ASMSTART
	v_dot2_f32_f16 v6, v11, v15, v6
	;;#ASMEND
	s_waitcnt lgkmcnt(1)
	;;#ASMSTART
	v_dot2_f32_f16 v4, v8, v16, v4
	;;#ASMEND
	;;#ASMSTART
	v_dot2_f32_f16 v4, v9, v17, v4
	;;#ASMEND
	;;#ASMSTART
	v_dot2_f32_f16 v4, v10, v18, v4
	;;#ASMEND
	;;#ASMSTART
	v_dot2_f32_f16 v4, v11, v19, v4
	;;#ASMEND
	s_waitcnt lgkmcnt(0)
	;;#ASMSTART
	v_dot2_f32_f16 v7, v20, v12, v7
	;;#ASMEND
	;;#ASMSTART
	v_dot2_f32_f16 v7, v21, v13, v7
	;;#ASMEND
	;;#ASMSTART
	v_dot2_f32_f16 v7, v22, v14, v7
	;;#ASMEND
	;;#ASMSTART
	v_dot2_f32_f16 v7, v23, v15, v7
	;;#ASMEND
	;;#ASMSTART
	v_dot2_f32_f16 v5, v20, v16, v5
	;;#ASMEND
	;;#ASMSTART
	v_dot2_f32_f16 v5, v21, v17, v5
	;;#ASMEND
	;;#ASMSTART
	v_dot2_f32_f16 v5, v22, v18, v5
	;;#ASMEND
	;;#ASMSTART
	v_dot2_f32_f16 v5, v23, v19, v5
	;;#ASMEND
	ds_load_b128 v[8:11], v207 offset:18448
	ds_load_b128 v[12:15], v208 offset:784
	ds_load_b128 v[16:19], v208 offset:1936
	ds_load_b128 v[20:23], v207 offset:23056
	s_waitcnt lgkmcnt(2)
	;;#ASMSTART
	v_dot2_f32_f16 v6, v8, v12, v6
	;;#ASMEND
	;;#ASMSTART
	v_dot2_f32_f16 v6, v9, v13, v6
	;;#ASMEND
	;;#ASMSTART
	v_dot2_f32_f16 v6, v10, v14, v6
	;;#ASMEND
	;;#ASMSTART
	v_dot2_f32_f16 v6, v11, v15, v6
	;;#ASMEND
	s_waitcnt lgkmcnt(1)
	;;#ASMSTART
	v_dot2_f32_f16 v4, v8, v16, v4
	;;#ASMEND
	;;#ASMSTART
	v_dot2_f32_f16 v4, v9, v17, v4
	;;#ASMEND
	;;#ASMSTART
	v_dot2_f32_f16 v4, v10, v18, v4
	;;#ASMEND
	;;#ASMSTART
	v_dot2_f32_f16 v4, v11, v19, v4
	;;#ASMEND
	s_waitcnt lgkmcnt(0)
	;;#ASMSTART
	v_dot2_f32_f16 v7, v20, v12, v7
	;;#ASMEND
	;;#ASMSTART
	v_dot2_f32_f16 v7, v21, v13, v7
	;;#ASMEND
	;;#ASMSTART
	v_dot2_f32_f16 v7, v22, v14, v7
	;;#ASMEND
	;;#ASMSTART
	v_dot2_f32_f16 v7, v23, v15, v7
	;;#ASMEND
	;;#ASMSTART
	v_dot2_f32_f16 v5, v20, v16, v5
	;;#ASMEND
	;;#ASMSTART
	v_dot2_f32_f16 v5, v21, v17, v5
	;;#ASMEND
	;;#ASMSTART
	v_dot2_f32_f16 v5, v22, v18, v5
	;;#ASMEND
	;;#ASMSTART
	v_dot2_f32_f16 v5, v23, v19, v5
	;;#ASMEND
	;; [unrolled: 55-line block ×8, first 2 shown]
	s_barrier
	buffer_gl0_inv
	s_clause 0x1
	global_load_b128 v[8:11], v[0:1], off offset:896
	global_load_b128 v[12:15], v[2:3], off offset:896
	s_waitcnt vmcnt(1)
	ds_store_b128 v205, v[8:11]
	s_waitcnt vmcnt(0)
	ds_store_b128 v206, v[12:15]
	s_waitcnt lgkmcnt(0)
	s_barrier
	buffer_gl0_inv
	ds_load_b128 v[8:11], v207 offset:18432
	ds_load_b128 v[12:15], v208 offset:896
	ds_load_b128 v[16:19], v208 offset:2048
	ds_load_b128 v[20:23], v207 offset:23040
	s_waitcnt lgkmcnt(2)
	;;#ASMSTART
	v_dot2_f32_f16 v6, v8, v12, v6
	;;#ASMEND
	;;#ASMSTART
	v_dot2_f32_f16 v6, v9, v13, v6
	;;#ASMEND
	;;#ASMSTART
	v_dot2_f32_f16 v6, v10, v14, v6
	;;#ASMEND
	;;#ASMSTART
	v_dot2_f32_f16 v6, v11, v15, v6
	;;#ASMEND
	s_waitcnt lgkmcnt(1)
	;;#ASMSTART
	v_dot2_f32_f16 v4, v8, v16, v4
	;;#ASMEND
	;;#ASMSTART
	v_dot2_f32_f16 v4, v9, v17, v4
	;;#ASMEND
	;;#ASMSTART
	v_dot2_f32_f16 v4, v10, v18, v4
	;;#ASMEND
	;;#ASMSTART
	v_dot2_f32_f16 v4, v11, v19, v4
	;;#ASMEND
	s_waitcnt lgkmcnt(0)
	;;#ASMSTART
	v_dot2_f32_f16 v7, v20, v12, v7
	;;#ASMEND
	;;#ASMSTART
	v_dot2_f32_f16 v7, v21, v13, v7
	;;#ASMEND
	;;#ASMSTART
	v_dot2_f32_f16 v7, v22, v14, v7
	;;#ASMEND
	;;#ASMSTART
	v_dot2_f32_f16 v7, v23, v15, v7
	;;#ASMEND
	;;#ASMSTART
	v_dot2_f32_f16 v5, v20, v16, v5
	;;#ASMEND
	;;#ASMSTART
	v_dot2_f32_f16 v5, v21, v17, v5
	;;#ASMEND
	;;#ASMSTART
	v_dot2_f32_f16 v5, v22, v18, v5
	;;#ASMEND
	;;#ASMSTART
	v_dot2_f32_f16 v5, v23, v19, v5
	;;#ASMEND
	ds_load_b128 v[8:11], v207 offset:18448
	ds_load_b128 v[12:15], v208 offset:912
	ds_load_b128 v[16:19], v208 offset:2064
	ds_load_b128 v[20:23], v207 offset:23056
	s_waitcnt lgkmcnt(2)
	;;#ASMSTART
	v_dot2_f32_f16 v6, v8, v12, v6
	;;#ASMEND
	;;#ASMSTART
	v_dot2_f32_f16 v6, v9, v13, v6
	;;#ASMEND
	;;#ASMSTART
	v_dot2_f32_f16 v6, v10, v14, v6
	;;#ASMEND
	;;#ASMSTART
	v_dot2_f32_f16 v6, v11, v15, v6
	;;#ASMEND
	s_waitcnt lgkmcnt(1)
	;;#ASMSTART
	v_dot2_f32_f16 v4, v8, v16, v4
	;;#ASMEND
	;;#ASMSTART
	v_dot2_f32_f16 v4, v9, v17, v4
	;;#ASMEND
	;;#ASMSTART
	v_dot2_f32_f16 v4, v10, v18, v4
	;;#ASMEND
	;;#ASMSTART
	v_dot2_f32_f16 v4, v11, v19, v4
	;;#ASMEND
	s_waitcnt lgkmcnt(0)
	;;#ASMSTART
	v_dot2_f32_f16 v7, v20, v12, v7
	;;#ASMEND
	;;#ASMSTART
	v_dot2_f32_f16 v7, v21, v13, v7
	;;#ASMEND
	;;#ASMSTART
	v_dot2_f32_f16 v7, v22, v14, v7
	;;#ASMEND
	;;#ASMSTART
	v_dot2_f32_f16 v7, v23, v15, v7
	;;#ASMEND
	;;#ASMSTART
	v_dot2_f32_f16 v5, v20, v16, v5
	;;#ASMEND
	;;#ASMSTART
	v_dot2_f32_f16 v5, v21, v17, v5
	;;#ASMEND
	;;#ASMSTART
	v_dot2_f32_f16 v5, v22, v18, v5
	;;#ASMEND
	;;#ASMSTART
	v_dot2_f32_f16 v5, v23, v19, v5
	;;#ASMEND
	;; [unrolled: 55-line block ×8, first 2 shown]
	s_barrier
	buffer_gl0_inv
	s_clause 0x1
	global_load_b128 v[8:11], v[0:1], off offset:1024
	global_load_b128 v[0:3], v[2:3], off offset:1024
	s_waitcnt vmcnt(1)
	ds_store_b128 v205, v[8:11]
	s_waitcnt vmcnt(0)
	ds_store_b128 v206, v[0:3]
	s_waitcnt lgkmcnt(0)
	s_barrier
	buffer_gl0_inv
	ds_load_b128 v[0:3], v207 offset:18432
	ds_load_b128 v[8:11], v208 offset:1024
	ds_load_b128 v[12:15], v208 offset:2176
	ds_load_b128 v[16:19], v207 offset:23040
	s_waitcnt lgkmcnt(2)
	;;#ASMSTART
	v_dot2_f32_f16 v6, v0, v8, v6
	;;#ASMEND
	;;#ASMSTART
	v_dot2_f32_f16 v6, v1, v9, v6
	;;#ASMEND
	;;#ASMSTART
	v_dot2_f32_f16 v6, v2, v10, v6
	;;#ASMEND
	;;#ASMSTART
	v_dot2_f32_f16 v6, v3, v11, v6
	;;#ASMEND
	s_waitcnt lgkmcnt(1)
	;;#ASMSTART
	v_dot2_f32_f16 v4, v0, v12, v4
	;;#ASMEND
	;;#ASMSTART
	v_dot2_f32_f16 v4, v1, v13, v4
	;;#ASMEND
	;;#ASMSTART
	v_dot2_f32_f16 v4, v2, v14, v4
	;;#ASMEND
	;;#ASMSTART
	v_dot2_f32_f16 v4, v3, v15, v4
	;;#ASMEND
	s_waitcnt lgkmcnt(0)
	;;#ASMSTART
	v_dot2_f32_f16 v7, v16, v8, v7
	;;#ASMEND
	;;#ASMSTART
	v_dot2_f32_f16 v7, v17, v9, v7
	;;#ASMEND
	;;#ASMSTART
	v_dot2_f32_f16 v7, v18, v10, v7
	;;#ASMEND
	;;#ASMSTART
	v_dot2_f32_f16 v7, v19, v11, v7
	;;#ASMEND
	;;#ASMSTART
	v_dot2_f32_f16 v5, v16, v12, v5
	;;#ASMEND
	;;#ASMSTART
	v_dot2_f32_f16 v5, v17, v13, v5
	;;#ASMEND
	;;#ASMSTART
	v_dot2_f32_f16 v5, v18, v14, v5
	;;#ASMEND
	;;#ASMSTART
	v_dot2_f32_f16 v5, v19, v15, v5
	;;#ASMEND
	ds_load_b128 v[0:3], v207 offset:18448
	ds_load_b128 v[8:11], v208 offset:1040
	ds_load_b128 v[12:15], v208 offset:2192
	ds_load_b128 v[16:19], v207 offset:23056
	s_waitcnt lgkmcnt(2)
	;;#ASMSTART
	v_dot2_f32_f16 v6, v0, v8, v6
	;;#ASMEND
	;;#ASMSTART
	v_dot2_f32_f16 v6, v1, v9, v6
	;;#ASMEND
	;;#ASMSTART
	v_dot2_f32_f16 v6, v2, v10, v6
	;;#ASMEND
	;;#ASMSTART
	v_dot2_f32_f16 v6, v3, v11, v6
	;;#ASMEND
	s_waitcnt lgkmcnt(1)
	;;#ASMSTART
	v_dot2_f32_f16 v4, v0, v12, v4
	;;#ASMEND
	;;#ASMSTART
	v_dot2_f32_f16 v4, v1, v13, v4
	;;#ASMEND
	;;#ASMSTART
	v_dot2_f32_f16 v4, v2, v14, v4
	;;#ASMEND
	;;#ASMSTART
	v_dot2_f32_f16 v4, v3, v15, v4
	;;#ASMEND
	s_waitcnt lgkmcnt(0)
	;;#ASMSTART
	v_dot2_f32_f16 v7, v16, v8, v7
	;;#ASMEND
	;;#ASMSTART
	v_dot2_f32_f16 v7, v17, v9, v7
	;;#ASMEND
	;;#ASMSTART
	v_dot2_f32_f16 v7, v18, v10, v7
	;;#ASMEND
	;;#ASMSTART
	v_dot2_f32_f16 v7, v19, v11, v7
	;;#ASMEND
	;;#ASMSTART
	v_dot2_f32_f16 v5, v16, v12, v5
	;;#ASMEND
	;;#ASMSTART
	v_dot2_f32_f16 v5, v17, v13, v5
	;;#ASMEND
	;;#ASMSTART
	v_dot2_f32_f16 v5, v18, v14, v5
	;;#ASMEND
	;;#ASMSTART
	v_dot2_f32_f16 v5, v19, v15, v5
	;;#ASMEND
	;; [unrolled: 55-line block ×7, first 2 shown]
	ds_load_b128 v[0:3], v207 offset:18544
	ds_load_b128 v[8:11], v208 offset:1136
	;; [unrolled: 1-line block ×4, first 2 shown]
	s_waitcnt lgkmcnt(2)
	;;#ASMSTART
	v_dot2_f32_f16 v6, v0, v8, v6
	;;#ASMEND
	;;#ASMSTART
	v_dot2_f32_f16 v6, v1, v9, v6
	;;#ASMEND
	;; [unrolled: 3-line block ×4, first 2 shown]
	s_waitcnt lgkmcnt(1)
	;;#ASMSTART
	v_dot2_f32_f16 v4, v0, v12, v4
	;;#ASMEND
	;;#ASMSTART
	v_dot2_f32_f16 v4, v1, v13, v4
	;;#ASMEND
	;; [unrolled: 3-line block ×4, first 2 shown]
	s_waitcnt lgkmcnt(0)
	;;#ASMSTART
	v_dot2_f32_f16 v7, v16, v8, v7
	;;#ASMEND
	v_cmp_ngt_f32_e64 s15, 0x3f200000, |v6|
	;;#ASMSTART
	v_dot2_f32_f16 v7, v17, v9, v7
	;;#ASMEND
	;;#ASMSTART
	v_dot2_f32_f16 v7, v18, v10, v7
	;;#ASMEND
	;;#ASMSTART
	v_dot2_f32_f16 v7, v19, v11, v7
	;;#ASMEND
	;;#ASMSTART
	v_dot2_f32_f16 v5, v16, v12, v5
	;;#ASMEND
	;;#ASMSTART
	v_dot2_f32_f16 v5, v17, v13, v5
	;;#ASMEND
	;;#ASMSTART
	v_dot2_f32_f16 v5, v18, v14, v5
	;;#ASMEND
	;;#ASMSTART
	v_dot2_f32_f16 v5, v19, v15, v5
	;;#ASMEND
                                        ; implicit-def: $vgpr8
	s_and_saveexec_b32 s16, s15
	s_delay_alu instid0(SALU_CYCLE_1)
	s_xor_b32 s15, exec_lo, s16
	s_cbranch_execz .LBB26_15
; %bb.14:                               ;   in Loop: Header=BB26_13 Depth=1
	v_add_f32_e64 v0, |v6|, |v6|
	s_delay_alu instid0(VALU_DEP_1) | instskip(SKIP_1) | instid1(VALU_DEP_2)
	v_mul_f32_e32 v1, 0x3fb8aa3b, v0
	v_cmp_ngt_f32_e32 vcc_lo, 0xc2ce8ed0, v0
	v_rndne_f32_e32 v2, v1
	v_fma_f32 v3, 0x3fb8aa3b, v0, -v1
	s_delay_alu instid0(VALU_DEP_2) | instskip(NEXT) | instid1(VALU_DEP_2)
	v_sub_f32_e32 v1, v1, v2
	v_fmac_f32_e32 v3, 0x32a5705f, v0
	v_cvt_i32_f32_e32 v2, v2
	s_delay_alu instid0(VALU_DEP_2) | instskip(NEXT) | instid1(VALU_DEP_1)
	v_add_f32_e32 v1, v1, v3
	v_exp_f32_e32 v1, v1
	s_waitcnt_depctr 0xfff
	v_ldexp_f32 v1, v1, v2
	s_delay_alu instid0(VALU_DEP_1) | instskip(SKIP_1) | instid1(VALU_DEP_2)
	v_cndmask_b32_e32 v1, 0, v1, vcc_lo
	v_cmp_nlt_f32_e32 vcc_lo, 0x42b17218, v0
	v_cndmask_b32_e32 v0, 0x7f800000, v1, vcc_lo
	s_delay_alu instid0(VALU_DEP_1) | instskip(NEXT) | instid1(VALU_DEP_1)
	v_add_f32_e32 v0, 1.0, v0
	v_rcp_f32_e32 v0, v0
	s_waitcnt_depctr 0xfff
	v_fma_f32 v8, v0, -2.0, 1.0
.LBB26_15:                              ;   in Loop: Header=BB26_13 Depth=1
	s_and_not1_saveexec_b32 s15, s15
; %bb.16:                               ;   in Loop: Header=BB26_13 Depth=1
	v_mul_f32_e32 v0, v6, v6
	s_delay_alu instid0(VALU_DEP_1) | instskip(NEXT) | instid1(VALU_DEP_1)
	v_fmaak_f32 v1, s11, v0, 0x3ca908c9
	v_fmaak_f32 v1, v0, v1, 0xbd5c1c4e
	s_delay_alu instid0(VALU_DEP_1) | instskip(NEXT) | instid1(VALU_DEP_1)
	v_fmaak_f32 v1, v0, v1, 0x3e088382
	v_fmaak_f32 v1, v0, v1, 0xbeaaaa99
	s_delay_alu instid0(VALU_DEP_1) | instskip(NEXT) | instid1(VALU_DEP_1)
	v_mul_f32_e64 v1, |v6|, v1
	v_fma_f32 v8, v0, v1, |v6|
; %bb.17:                               ;   in Loop: Header=BB26_13 Depth=1
	s_or_b32 exec_lo, exec_lo, s15
	v_add_nc_u32_e32 v0, s4, v194
	v_cmp_ngt_f32_e64 s15, 0x3f200000, |v7|
                                        ; implicit-def: $vgpr9
	s_delay_alu instid0(VALU_DEP_2) | instskip(NEXT) | instid1(VALU_DEP_1)
	v_ashrrev_i32_e32 v1, 31, v0
	v_lshlrev_b64 v[0:1], 1, v[0:1]
	s_delay_alu instid0(VALU_DEP_1) | instskip(NEXT) | instid1(VALU_DEP_2)
	v_add_co_u32 v0, vcc_lo, s36, v0
	v_add_co_ci_u32_e32 v1, vcc_lo, s37, v1, vcc_lo
	flat_load_u16 v2, v[0:1]
	s_and_saveexec_b32 s16, s15
	s_delay_alu instid0(SALU_CYCLE_1)
	s_xor_b32 s15, exec_lo, s16
	s_cbranch_execz .LBB26_19
; %bb.18:                               ;   in Loop: Header=BB26_13 Depth=1
	v_add_f32_e64 v3, |v7|, |v7|
	s_delay_alu instid0(VALU_DEP_1) | instskip(SKIP_1) | instid1(VALU_DEP_2)
	v_mul_f32_e32 v9, 0x3fb8aa3b, v3
	v_cmp_ngt_f32_e32 vcc_lo, 0xc2ce8ed0, v3
	v_rndne_f32_e32 v10, v9
	v_fma_f32 v11, 0x3fb8aa3b, v3, -v9
	s_delay_alu instid0(VALU_DEP_2) | instskip(NEXT) | instid1(VALU_DEP_2)
	v_sub_f32_e32 v9, v9, v10
	v_fmac_f32_e32 v11, 0x32a5705f, v3
	v_cvt_i32_f32_e32 v10, v10
	s_delay_alu instid0(VALU_DEP_2) | instskip(NEXT) | instid1(VALU_DEP_1)
	v_add_f32_e32 v9, v9, v11
	v_exp_f32_e32 v9, v9
	s_waitcnt_depctr 0xfff
	v_ldexp_f32 v9, v9, v10
	s_delay_alu instid0(VALU_DEP_1) | instskip(SKIP_1) | instid1(VALU_DEP_2)
	v_cndmask_b32_e32 v9, 0, v9, vcc_lo
	v_cmp_nlt_f32_e32 vcc_lo, 0x42b17218, v3
	v_cndmask_b32_e32 v3, 0x7f800000, v9, vcc_lo
	s_delay_alu instid0(VALU_DEP_1) | instskip(NEXT) | instid1(VALU_DEP_1)
	v_add_f32_e32 v3, 1.0, v3
	v_rcp_f32_e32 v3, v3
	s_waitcnt_depctr 0xfff
	v_fma_f32 v9, v3, -2.0, 1.0
.LBB26_19:                              ;   in Loop: Header=BB26_13 Depth=1
	s_and_not1_saveexec_b32 s15, s15
; %bb.20:                               ;   in Loop: Header=BB26_13 Depth=1
	v_mul_f32_e32 v3, v7, v7
	s_delay_alu instid0(VALU_DEP_1) | instskip(NEXT) | instid1(VALU_DEP_1)
	v_fmaak_f32 v9, s11, v3, 0x3ca908c9
	v_fmaak_f32 v9, v3, v9, 0xbd5c1c4e
	s_delay_alu instid0(VALU_DEP_1) | instskip(NEXT) | instid1(VALU_DEP_1)
	v_fmaak_f32 v9, v3, v9, 0x3e088382
	v_fmaak_f32 v9, v3, v9, 0xbeaaaa99
	s_delay_alu instid0(VALU_DEP_1) | instskip(NEXT) | instid1(VALU_DEP_1)
	v_mul_f32_e64 v9, |v7|, v9
	v_fma_f32 v9, v3, v9, |v7|
; %bb.21:                               ;   in Loop: Header=BB26_13 Depth=1
	s_or_b32 exec_lo, exec_lo, s15
	flat_load_u16 v3, v[0:1] offset:64
	v_bfi_b32 v0, 0x7fffffff, v8, v6
	v_bfi_b32 v1, 0x7fffffff, v9, v7
	v_xor_b32_e32 v222, 16, v203
	v_xor_b32_e32 v218, 8, v203
	;; [unrolled: 1-line block ×3, first 2 shown]
	s_waitcnt vmcnt(1) lgkmcnt(1)
	v_fma_mix_f32 v0, v0, s8, v2 op_sel_hi:[0,0,1]
	v_xor_b32_e32 v220, 2, v203
	v_cmp_gt_i32_e32 vcc_lo, 32, v222
	v_xor_b32_e32 v221, 1, v203
	v_cmp_ngt_f32_e64 s15, 0x3f200000, |v4|
	v_dual_add_f32 v7, 0x40051340, v0 :: v_dual_cndmask_b32 v6, v203, v222
	v_cmp_gt_i32_e32 vcc_lo, 32, v218
	s_delay_alu instid0(VALU_DEP_2) | instskip(SKIP_4) | instid1(VALU_DEP_1)
	v_lshlrev_b32_e32 v6, 2, v6
	v_cndmask_b32_e32 v9, v203, v218, vcc_lo
	v_cmp_gt_i32_e32 vcc_lo, 32, v219
	s_waitcnt vmcnt(0) lgkmcnt(0)
	v_fma_mix_f32 v1, v1, s8, v3 op_sel_hi:[0,0,1]
	v_add_f32_e32 v8, 0x40051340, v1
	s_delay_alu instid0(VALU_DEP_1) | instskip(SKIP_3) | instid1(VALU_DEP_1)
	v_max3_f32 v8, v160, v7, v8
	ds_bpermute_b32 v7, v6, v8
	s_waitcnt lgkmcnt(0)
	v_dual_max_f32 v10, v7, v7 :: v_dual_lshlrev_b32 v7, 2, v9
	v_dual_max_f32 v9, v8, v10 :: v_dual_cndmask_b32 v10, v203, v219
	v_cmp_gt_i32_e32 vcc_lo, 32, v220
	ds_bpermute_b32 v8, v7, v9
	s_waitcnt lgkmcnt(0)
	v_dual_max_f32 v11, v8, v8 :: v_dual_lshlrev_b32 v8, 2, v10
	s_delay_alu instid0(VALU_DEP_1) | instskip(SKIP_4) | instid1(VALU_DEP_1)
	v_dual_max_f32 v10, v9, v11 :: v_dual_cndmask_b32 v11, v203, v220
	v_cmp_gt_i32_e32 vcc_lo, 32, v221
	ds_bpermute_b32 v9, v8, v10
	s_waitcnt lgkmcnt(0)
	v_dual_max_f32 v12, v9, v9 :: v_dual_lshlrev_b32 v9, 2, v11
	v_max_f32_e32 v10, v10, v12
	v_cndmask_b32_e32 v12, v203, v221, vcc_lo
	ds_bpermute_b32 v11, v9, v10
	s_waitcnt lgkmcnt(0)
	v_max_f32_e32 v13, v11, v11
	s_delay_alu instid0(VALU_DEP_1) | instskip(SKIP_2) | instid1(SALU_CYCLE_1)
	v_dual_max_f32 v10, v10, v13 :: v_dual_lshlrev_b32 v11, 2, v12
                                        ; implicit-def: $vgpr13
	ds_bpermute_b32 v12, v11, v10
	s_and_saveexec_b32 s16, s15
	s_xor_b32 s15, exec_lo, s16
	s_cbranch_execz .LBB26_23
; %bb.22:                               ;   in Loop: Header=BB26_13 Depth=1
	v_add_f32_e64 v13, |v4|, |v4|
	s_delay_alu instid0(VALU_DEP_1) | instskip(SKIP_1) | instid1(VALU_DEP_2)
	v_mul_f32_e32 v14, 0x3fb8aa3b, v13
	v_cmp_ngt_f32_e32 vcc_lo, 0xc2ce8ed0, v13
	v_rndne_f32_e32 v15, v14
	v_fma_f32 v16, 0x3fb8aa3b, v13, -v14
	s_delay_alu instid0(VALU_DEP_2) | instskip(NEXT) | instid1(VALU_DEP_2)
	v_sub_f32_e32 v14, v14, v15
	v_fmac_f32_e32 v16, 0x32a5705f, v13
	v_cvt_i32_f32_e32 v15, v15
	s_delay_alu instid0(VALU_DEP_2) | instskip(NEXT) | instid1(VALU_DEP_1)
	v_add_f32_e32 v14, v14, v16
	v_exp_f32_e32 v14, v14
	s_waitcnt_depctr 0xfff
	v_ldexp_f32 v14, v14, v15
	s_delay_alu instid0(VALU_DEP_1) | instskip(SKIP_1) | instid1(VALU_DEP_2)
	v_cndmask_b32_e32 v14, 0, v14, vcc_lo
	v_cmp_nlt_f32_e32 vcc_lo, 0x42b17218, v13
	v_cndmask_b32_e32 v13, 0x7f800000, v14, vcc_lo
	s_delay_alu instid0(VALU_DEP_1) | instskip(NEXT) | instid1(VALU_DEP_1)
	v_add_f32_e32 v13, 1.0, v13
	v_rcp_f32_e32 v13, v13
	s_waitcnt_depctr 0xfff
	v_fma_f32 v13, v13, -2.0, 1.0
.LBB26_23:                              ;   in Loop: Header=BB26_13 Depth=1
	s_and_not1_saveexec_b32 s15, s15
; %bb.24:                               ;   in Loop: Header=BB26_13 Depth=1
	v_mul_f32_e32 v13, v4, v4
	s_delay_alu instid0(VALU_DEP_1) | instskip(NEXT) | instid1(VALU_DEP_1)
	v_fmaak_f32 v14, s11, v13, 0x3ca908c9
	v_fmaak_f32 v14, v13, v14, 0xbd5c1c4e
	s_delay_alu instid0(VALU_DEP_1) | instskip(NEXT) | instid1(VALU_DEP_1)
	v_fmaak_f32 v14, v13, v14, 0x3e088382
	v_fmaak_f32 v14, v13, v14, 0xbeaaaa99
	s_delay_alu instid0(VALU_DEP_1) | instskip(NEXT) | instid1(VALU_DEP_1)
	v_mul_f32_e64 v14, |v4|, v14
	v_fma_f32 v13, v13, v14, |v4|
; %bb.25:                               ;   in Loop: Header=BB26_13 Depth=1
	s_or_b32 exec_lo, exec_lo, s15
	v_cmp_ngt_f32_e64 s15, 0x3f200000, |v5|
                                        ; implicit-def: $vgpr14
	s_delay_alu instid0(VALU_DEP_1) | instskip(NEXT) | instid1(SALU_CYCLE_1)
	s_and_saveexec_b32 s16, s15
	s_xor_b32 s15, exec_lo, s16
	s_cbranch_execz .LBB26_27
; %bb.26:                               ;   in Loop: Header=BB26_13 Depth=1
	v_add_f32_e64 v14, |v5|, |v5|
	s_delay_alu instid0(VALU_DEP_1) | instskip(SKIP_1) | instid1(VALU_DEP_2)
	v_mul_f32_e32 v15, 0x3fb8aa3b, v14
	v_cmp_ngt_f32_e32 vcc_lo, 0xc2ce8ed0, v14
	v_rndne_f32_e32 v16, v15
	v_fma_f32 v17, 0x3fb8aa3b, v14, -v15
	s_delay_alu instid0(VALU_DEP_2) | instskip(NEXT) | instid1(VALU_DEP_2)
	v_sub_f32_e32 v15, v15, v16
	v_fmac_f32_e32 v17, 0x32a5705f, v14
	v_cvt_i32_f32_e32 v16, v16
	s_delay_alu instid0(VALU_DEP_2) | instskip(NEXT) | instid1(VALU_DEP_1)
	v_add_f32_e32 v15, v15, v17
	v_exp_f32_e32 v15, v15
	s_waitcnt_depctr 0xfff
	v_ldexp_f32 v15, v15, v16
	s_delay_alu instid0(VALU_DEP_1) | instskip(SKIP_1) | instid1(VALU_DEP_2)
	v_cndmask_b32_e32 v15, 0, v15, vcc_lo
	v_cmp_nlt_f32_e32 vcc_lo, 0x42b17218, v14
	v_cndmask_b32_e32 v14, 0x7f800000, v15, vcc_lo
	s_delay_alu instid0(VALU_DEP_1) | instskip(NEXT) | instid1(VALU_DEP_1)
	v_add_f32_e32 v14, 1.0, v14
	v_rcp_f32_e32 v14, v14
	s_waitcnt_depctr 0xfff
	v_fma_f32 v14, v14, -2.0, 1.0
.LBB26_27:                              ;   in Loop: Header=BB26_13 Depth=1
	s_and_not1_saveexec_b32 s15, s15
; %bb.28:                               ;   in Loop: Header=BB26_13 Depth=1
	v_mul_f32_e32 v14, v5, v5
	s_delay_alu instid0(VALU_DEP_1) | instskip(NEXT) | instid1(VALU_DEP_1)
	v_fmaak_f32 v15, s11, v14, 0x3ca908c9
	v_fmaak_f32 v15, v14, v15, 0xbd5c1c4e
	s_delay_alu instid0(VALU_DEP_1) | instskip(NEXT) | instid1(VALU_DEP_1)
	v_fmaak_f32 v15, v14, v15, 0x3e088382
	v_fmaak_f32 v15, v14, v15, 0xbeaaaa99
	s_delay_alu instid0(VALU_DEP_1) | instskip(NEXT) | instid1(VALU_DEP_1)
	v_mul_f32_e64 v15, |v5|, v15
	v_fma_f32 v14, v14, v15, |v5|
; %bb.29:                               ;   in Loop: Header=BB26_13 Depth=1
	s_or_b32 exec_lo, exec_lo, s15
	s_mul_hi_i32 s17, s4, s5
	s_mul_i32 s16, s4, s5
	s_waitcnt lgkmcnt(0)
	s_lshl_b64 s[16:17], s[16:17], 2
	s_barrier
	v_add_co_u32 v19, vcc_lo, v213, s16
	v_add_co_ci_u32_e32 v20, vcc_lo, s17, v214, vcc_lo
	buffer_gl0_inv
	v_cvt_f32_f16_e32 v2, v2
	s_clause 0x1
	global_load_b128 v[15:18], v[19:20], off
	global_load_b128 v[19:22], v[19:20], off offset:512
	v_cvt_f32_f16_e32 v3, v3
	v_bfi_b32 v4, 0x7fffffff, v13, v4
	v_bfi_b32 v5, 0x7fffffff, v14, v5
	s_or_b32 s15, s4, 8
	v_add_nc_u32_e32 v223, 0x800, v212
	s_mul_hi_i32 s17, s15, s5
	s_delay_alu instid0(VALU_DEP_2) | instskip(SKIP_3) | instid1(VALU_DEP_1)
	v_dual_fmac_f32 v2, s8, v4 :: v_dual_fmac_f32 v3, s8, v5
	s_mul_i32 s16, s15, s5
	s_or_b32 s15, s4, 16
	s_lshl_b64 s[16:17], s[16:17], 2
	v_dual_add_f32 v4, 0x40051340, v2 :: v_dual_add_f32 v5, 0x40051340, v3
	s_delay_alu instid0(VALU_DEP_1) | instskip(SKIP_3) | instid1(VALU_DEP_1)
	v_max3_f32 v4, v161, v4, v5
	ds_bpermute_b32 v5, v6, v4
	s_waitcnt lgkmcnt(0)
	v_dual_max_f32 v6, v12, v12 :: v_dual_max_f32 v5, v5, v5
	v_max_f32_e32 v4, v4, v5
	ds_bpermute_b32 v5, v7, v4
	v_max_f32_e32 v7, v10, v10
	s_delay_alu instid0(VALU_DEP_1) | instskip(NEXT) | instid1(VALU_DEP_1)
	v_max_f32_e32 v199, v7, v6
	v_dual_sub_f32 v0, v0, v199 :: v_dual_add_nc_u32 v7, v209, v202
	v_sub_f32_e32 v1, v1, v199
	s_delay_alu instid0(VALU_DEP_1) | instskip(SKIP_4) | instid1(VALU_DEP_3)
	v_mul_f32_e32 v6, 0x3fb8aa3b, v1
	v_dual_sub_f32 v160, v160, v199 :: v_dual_add_nc_u32 v225, 0x1800, v212
	s_waitcnt lgkmcnt(0)
	v_max_f32_e32 v5, v5, v5
	v_cmp_ngt_f32_e32 vcc_lo, 0xc2ce8ed0, v1
	v_mul_f32_e32 v170, 0x3fb8aa3b, v160
	s_delay_alu instid0(VALU_DEP_3) | instskip(NEXT) | instid1(VALU_DEP_2)
	v_max_f32_e32 v4, v4, v5
	v_fma_f32 v171, 0x3fb8aa3b, v160, -v170
	ds_bpermute_b32 v5, v8, v4
	v_mul_f32_e32 v8, 0x3fb8aa3b, v0
	v_rndne_f32_e32 v172, v170
	v_fmac_f32_e32 v171, 0x32a5705f, v160
	s_delay_alu instid0(VALU_DEP_3) | instskip(NEXT) | instid1(VALU_DEP_3)
	v_rndne_f32_e32 v10, v8
	v_sub_f32_e32 v170, v170, v172
	v_cvt_i32_f32_e32 v172, v172
	s_delay_alu instid0(VALU_DEP_2) | instskip(NEXT) | instid1(VALU_DEP_1)
	v_add_f32_e32 v170, v170, v171
	v_exp_f32_e32 v170, v170
	s_waitcnt lgkmcnt(0)
	v_max_f32_e32 v5, v5, v5
	s_delay_alu instid0(VALU_DEP_1) | instskip(SKIP_4) | instid1(VALU_DEP_1)
	v_max_f32_e32 v4, v4, v5
	s_waitcnt_depctr 0xfff
	v_ldexp_f32 v170, v170, v172
	ds_bpermute_b32 v5, v9, v4
	v_fma_f32 v9, 0x3fb8aa3b, v0, -v8
	v_fmac_f32_e32 v9, 0x32a5705f, v0
	s_waitcnt lgkmcnt(0)
	v_max_f32_e32 v5, v5, v5
	s_delay_alu instid0(VALU_DEP_1) | instskip(SKIP_3) | instid1(VALU_DEP_1)
	v_max_f32_e32 v4, v4, v5
	ds_bpermute_b32 v5, v11, v4
	s_waitcnt lgkmcnt(0)
	v_max_f32_e32 v5, v5, v5
	v_max_f32_e32 v200, v4, v5
	v_fma_f32 v4, 0x3fb8aa3b, v1, -v6
	v_rndne_f32_e32 v5, v6
	s_delay_alu instid0(VALU_DEP_3) | instskip(NEXT) | instid1(VALU_DEP_3)
	v_sub_f32_e32 v2, v2, v200
	v_fmac_f32_e32 v4, 0x32a5705f, v1
	s_delay_alu instid0(VALU_DEP_3) | instskip(SKIP_1) | instid1(VALU_DEP_4)
	v_sub_f32_e32 v6, v6, v5
	v_cvt_i32_f32_e32 v5, v5
	v_mul_f32_e32 v11, 0x3fb8aa3b, v2
	v_sub_f32_e32 v3, v3, v200
	v_sub_f32_e32 v161, v161, v200
	s_delay_alu instid0(VALU_DEP_3) | instskip(NEXT) | instid1(VALU_DEP_3)
	v_rndne_f32_e32 v13, v11
	v_mul_f32_e32 v12, 0x3fb8aa3b, v3
	v_sub_f32_e32 v8, v8, v10
	v_cvt_i32_f32_e32 v10, v10
	v_mul_f32_e32 v173, 0x3fb8aa3b, v161
	s_delay_alu instid0(VALU_DEP_4)
	v_fma_f32 v14, 0x3fb8aa3b, v3, -v12
	v_rndne_f32_e32 v23, v12
	v_add_f32_e32 v4, v6, v4
	v_fma_f32 v6, 0x3fb8aa3b, v2, -v11
	v_fma_f32 v174, 0x3fb8aa3b, v161, -v173
	v_fmac_f32_e32 v14, 0x32a5705f, v3
	v_add_f32_e32 v8, v8, v9
	v_sub_f32_e32 v9, v11, v13
	v_sub_f32_e32 v11, v12, v23
	v_exp_f32_e32 v4, v4
	v_rndne_f32_e32 v175, v173
	v_add_nc_u32_e32 v224, 0x1000, v212
	s_delay_alu instid0(VALU_DEP_2) | instskip(SKIP_3) | instid1(VALU_DEP_1)
	v_dual_fmac_f32 v174, 0x32a5705f, v161 :: v_dual_sub_f32 v171, v173, v175
	v_cvt_i32_f32_e32 v172, v175
	s_waitcnt_depctr 0xfff
	v_ldexp_f32 v4, v4, v5
	v_dual_add_f32 v171, v171, v174 :: v_dual_cndmask_b32 v4, 0, v4
	v_cmp_ngt_f32_e32 vcc_lo, 0xc2ce8ed0, v0
	v_fmac_f32_e32 v6, 0x32a5705f, v2
	s_delay_alu instid0(VALU_DEP_3) | instskip(NEXT) | instid1(VALU_DEP_1)
	v_exp_f32_e32 v171, v171
	v_add_f32_e32 v6, v9, v6
	v_add_f32_e32 v9, v11, v14
	v_exp_f32_e32 v8, v8
	s_delay_alu instid0(VALU_DEP_2) | instskip(NEXT) | instid1(VALU_DEP_1)
	v_exp_f32_e32 v6, v6
	v_exp_f32_e32 v9, v9
	v_ldexp_f32 v171, v171, v172
	s_delay_alu instid0(TRANS32_DEP_3) | instskip(SKIP_2) | instid1(VALU_DEP_3)
	v_ldexp_f32 v5, v8, v10
	v_cvt_i32_f32_e32 v8, v13
	v_cvt_i32_f32_e32 v10, v23
	v_cndmask_b32_e32 v5, 0, v5, vcc_lo
	v_cmp_nlt_f32_e32 vcc_lo, 0x42b17218, v1
	s_delay_alu instid0(TRANS32_DEP_2) | instid1(VALU_DEP_4)
	v_ldexp_f32 v6, v6, v8
	s_delay_alu instid0(TRANS32_DEP_1) | instid1(VALU_DEP_4)
	v_ldexp_f32 v8, v9, v10
	v_cndmask_b32_e32 v228, 0x7f800000, v4, vcc_lo
	v_cmp_ngt_f32_e32 vcc_lo, 0xc2ce8ed0, v2
	s_delay_alu instid0(VALU_DEP_4)
	v_cndmask_b32_e32 v1, 0, v6, vcc_lo
	v_cmp_ngt_f32_e32 vcc_lo, 0xc2ce8ed0, v3
	v_cndmask_b32_e32 v4, 0, v8, vcc_lo
	v_cmp_nlt_f32_e32 vcc_lo, 0x42b17218, v0
	v_cvt_f16_f32_e64 v0, v228
	v_cndmask_b32_e32 v229, 0x7f800000, v5, vcc_lo
	v_cmp_nlt_f32_e32 vcc_lo, 0x42b17218, v2
	v_cndmask_b32_e32 v226, 0x7f800000, v1, vcc_lo
	v_cmp_nlt_f32_e32 vcc_lo, 0x42b17218, v3
	s_delay_alu instid0(VALU_DEP_4) | instskip(NEXT) | instid1(VALU_DEP_3)
	v_cvt_f16_f32_e64 v1, v229
	v_cvt_f16_f32_e64 v2, v226
	v_cndmask_b32_e32 v227, 0x7f800000, v4, vcc_lo
	v_add_co_u32 v32, vcc_lo, v213, s16
	v_add_co_ci_u32_e32 v33, vcc_lo, s17, v214, vcc_lo
	s_delay_alu instid0(VALU_DEP_3)
	v_cvt_f16_f32_e64 v3, v227
	v_pack_b32_f16 v1, v1, v2
	s_mul_hi_i32 s17, s15, s5
	s_mul_i32 s16, s15, s5
	s_or_b32 s15, s4, 24
	v_pack_b32_f16 v0, v0, v3
	s_lshl_b64 s[16:17], s[16:17], 2
	ds_store_2addr_b32 v7, v1, v0 offset1:32
	s_waitcnt vmcnt(1)
	ds_store_b128 v210, v[15:18]
	s_waitcnt vmcnt(0)
	ds_store_b128 v211, v[19:22]
	s_waitcnt lgkmcnt(0)
	s_barrier
	buffer_gl0_inv
	ds_load_2addr_b64 v[88:91], v212 offset1:32
	ds_load_2addr_b64 v[92:95], v212 offset0:64 offset1:96
	ds_load_b128 v[52:55], v209
	ds_load_b128 v[0:3], v209 offset:16
	ds_load_2addr_b64 v[80:83], v212 offset0:128 offset1:160
	ds_load_2addr_b64 v[84:87], v212 offset0:192 offset1:224
	ds_load_2addr_b64 v[72:75], v223 offset1:32
	ds_load_2addr_b64 v[76:79], v223 offset0:64 offset1:96
	ds_load_2addr_b64 v[60:63], v223 offset0:128 offset1:160
	ds_load_2addr_b64 v[68:71], v223 offset0:192 offset1:224
	ds_load_2addr_b64 v[36:39], v224 offset1:32
	ds_load_2addr_b64 v[44:47], v224 offset0:64 offset1:96
	;; [unrolled: 4-line block ×3, first 2 shown]
	ds_load_2addr_b64 v[8:11], v225 offset0:128 offset1:160
	ds_load_2addr_b64 v[4:7], v225 offset0:192 offset1:224
	s_waitcnt lgkmcnt(0)
	s_barrier
	buffer_gl0_inv
	s_clause 0x1
	global_load_b128 v[24:27], v[32:33], off
	global_load_b128 v[32:35], v[32:33], off offset:512
	v_add_co_u32 v166, vcc_lo, v213, s16
	v_add_co_ci_u32_e32 v167, vcc_lo, s17, v214, vcc_lo
	v_cmp_ngt_f32_e32 vcc_lo, 0xc2ce8ed0, v160
	s_mul_hi_i32 s17, s15, s5
	s_mul_i32 s16, s15, s5
	s_or_b32 s15, s4, 32
	s_lshl_b64 s[16:17], s[16:17], 2
	v_cndmask_b32_e32 v170, 0, v170, vcc_lo
	v_cmp_nlt_f32_e32 vcc_lo, 0x42b17218, v160
	s_waitcnt vmcnt(1)
	ds_store_b128 v210, v[24:27]
	s_waitcnt vmcnt(0)
	ds_store_b128 v211, v[32:35]
	s_waitcnt lgkmcnt(0)
	s_barrier
	buffer_gl0_inv
	ds_load_2addr_b64 v[140:143], v212 offset1:32
	ds_load_2addr_b64 v[136:139], v212 offset0:64 offset1:96
	ds_load_b128 v[104:107], v209 offset:32
	ds_load_b128 v[24:27], v209 offset:48
	ds_load_2addr_b64 v[132:135], v212 offset0:128 offset1:160
	ds_load_2addr_b64 v[128:131], v212 offset0:192 offset1:224
	ds_load_2addr_b64 v[124:127], v223 offset1:32
	ds_load_2addr_b64 v[120:123], v223 offset0:64 offset1:96
	ds_load_2addr_b64 v[116:119], v223 offset0:128 offset1:160
	ds_load_2addr_b64 v[112:115], v223 offset0:192 offset1:224
	ds_load_2addr_b64 v[108:111], v224 offset1:32
	ds_load_2addr_b64 v[100:103], v224 offset0:64 offset1:96
	;; [unrolled: 4-line block ×3, first 2 shown]
	ds_load_2addr_b64 v[40:43], v225 offset0:128 offset1:160
	ds_load_2addr_b64 v[32:35], v225 offset0:192 offset1:224
	s_waitcnt lgkmcnt(0)
	s_barrier
	buffer_gl0_inv
	s_clause 0x1
	global_load_b128 v[162:165], v[166:167], off
	global_load_b128 v[166:169], v[166:167], off offset:512
	v_cndmask_b32_e32 v231, 0x7f800000, v170, vcc_lo
	v_cmp_ngt_f32_e32 vcc_lo, 0xc2ce8ed0, v161
	s_waitcnt vmcnt(1)
	ds_store_b128 v210, v[162:165]
	s_waitcnt vmcnt(0)
	ds_store_b128 v211, v[166:169]
	v_cndmask_b32_e32 v160, 0, v171, vcc_lo
	v_cmp_nlt_f32_e32 vcc_lo, 0x42b17218, v161
	v_cvt_f16_f32_e64 v170, v231
	s_waitcnt lgkmcnt(0)
	s_barrier
	buffer_gl0_inv
	v_cndmask_b32_e32 v230, 0x7f800000, v160, vcc_lo
	v_pk_mul_f16 v154, v170, v154 op_sel_hi:[0,1]
	v_pk_mul_f16 v156, v170, v156 op_sel_hi:[0,1]
	;; [unrolled: 1-line block ×4, first 2 shown]
	v_cvt_f16_f32_e64 v160, v230
	v_pk_mul_f16 v158, v170, v158 op_sel_hi:[0,1]
	v_pk_mul_f16 v159, v170, v159 op_sel_hi:[0,1]
	v_pk_fma_f16 v154, v92, v52, v154 op_sel_hi:[1,0,1]
	v_add_co_u32 v172, vcc_lo, v213, s16
	v_pk_mul_f16 v146, v160, v146 op_sel_hi:[0,1]
	v_pk_mul_f16 v147, v160, v147 op_sel_hi:[0,1]
	;; [unrolled: 1-line block ×7, first 2 shown]
	v_pk_fma_f16 v92, v92, v52, v146 op_sel:[0,1,0]
	v_pk_fma_f16 v146, v93, v52, v156 op_sel_hi:[1,0,1]
	v_pk_fma_f16 v93, v93, v52, v147 op_sel:[0,1,0]
	v_pk_fma_f16 v147, v94, v52, v152 op_sel_hi:[1,0,1]
	;; [unrolled: 2-line block ×3, first 2 shown]
	v_pk_fma_f16 v95, v95, v52, v144 op_sel:[0,1,0]
	v_pk_mul_f16 v144, v88, v52 op_sel_hi:[1,0]
	v_pk_mul_f16 v88, v88, v52 op_sel:[0,1]
	v_pk_fma_f16 v151, v89, v52, v151 op_sel:[0,1,0]
	v_pk_fma_f16 v152, v90, v52, v158 op_sel_hi:[1,0,1]
	v_pk_fma_f16 v90, v90, v52, v148 op_sel:[0,1,0]
	v_pk_fma_f16 v148, v91, v52, v159 op_sel_hi:[1,0,1]
	v_pk_fma_f16 v91, v91, v52, v149 op_sel:[0,1,0]
	v_pk_mul_f16 v52, v89, v52 op_sel_hi:[1,0]
	v_pk_fma_f16 v89, v84, v53, v154 op_sel_hi:[1,0,1]
	v_pk_fma_f16 v84, v84, v53, v92 op_sel:[0,1,0]
	v_pk_fma_f16 v92, v85, v53, v146 op_sel_hi:[1,0,1]
	v_pk_fma_f16 v85, v85, v53, v93 op_sel:[0,1,0]
	;; [unrolled: 2-line block ×4, first 2 shown]
	v_pk_fma_f16 v88, v160, v150, v88 op_sel_hi:[0,1,1]
	v_pk_fma_f16 v95, v170, v155, v144 op_sel_hi:[0,1,1]
	;; [unrolled: 1-line block ×3, first 2 shown]
	v_pk_fma_f16 v144, v81, v53, v151 op_sel:[0,1,0]
	v_pk_fma_f16 v145, v82, v53, v152 op_sel_hi:[1,0,1]
	v_pk_fma_f16 v82, v82, v53, v90 op_sel:[0,1,0]
	v_pk_fma_f16 v90, v83, v53, v148 op_sel_hi:[1,0,1]
	;; [unrolled: 2-line block ×18, first 2 shown]
	v_pk_fma_f16 v71, v71, v55, v79 op_sel:[0,1,0]
	v_add_co_ci_u32_e32 v173, vcc_lo, s17, v214, vcc_lo
	v_pk_fma_f16 v78, v60, v55, v87 op_sel_hi:[1,0,1]
	v_pk_fma_f16 v60, v60, v55, v72 op_sel:[0,1,0]
	v_pk_fma_f16 v52, v61, v55, v52 op_sel_hi:[1,0,1]
	v_pk_fma_f16 v174, v37, v0, v53 op_sel:[0,1,0]
	;; [unrolled: 2-line block ×9, first 2 shown]
	v_pk_fma_f16 v0, v37, v0, v52 op_sel_hi:[1,0,1]
	v_pk_fma_f16 v189, v28, v1, v38 op_sel_hi:[1,0,1]
	v_pk_fma_f16 v190, v28, v1, v39 op_sel:[0,1,0]
	v_pk_fma_f16 v191, v29, v1, v44 op_sel_hi:[1,0,1]
	v_pk_fma_f16 v234, v29, v1, v45 op_sel:[0,1,0]
	;; [unrolled: 2-line block ×4, first 2 shown]
	ds_load_2addr_b64 v[184:187], v212 offset1:32
	ds_load_2addr_b64 v[176:179], v212 offset0:64 offset1:96
	ds_load_b128 v[80:83], v209 offset:64
	ds_load_b128 v[28:31], v209 offset:80
	ds_load_2addr_b64 v[168:171], v212 offset0:128 offset1:160
	ds_load_2addr_b64 v[160:163], v212 offset0:192 offset1:224
	ds_load_2addr_b64 v[152:155], v223 offset1:32
	ds_load_2addr_b64 v[144:147], v223 offset0:64 offset1:96
	ds_load_2addr_b64 v[92:95], v223 offset0:128 offset1:160
	ds_load_2addr_b64 v[88:91], v223 offset0:192 offset1:224
	ds_load_2addr_b64 v[84:87], v224 offset1:32
	ds_load_2addr_b64 v[76:79], v224 offset0:64 offset1:96
	;; [unrolled: 4-line block ×3, first 2 shown]
	ds_load_2addr_b64 v[44:47], v225 offset0:128 offset1:160
	ds_load_2addr_b64 v[36:39], v225 offset0:192 offset1:224
	s_waitcnt lgkmcnt(0)
	s_barrier
	buffer_gl0_inv
	s_clause 0x1
	global_load_b128 v[148:151], v[172:173], off
	global_load_b128 v[156:159], v[172:173], off offset:512
	v_pk_fma_f16 v164, v21, v1, v174 op_sel:[0,1,0]
	v_pk_fma_f16 v165, v22, v1, v175 op_sel_hi:[1,0,1]
	v_pk_fma_f16 v22, v22, v1, v180 op_sel:[0,1,0]
	v_pk_fma_f16 v166, v23, v1, v181 op_sel_hi:[1,0,1]
	;; [unrolled: 2-line block ×9, first 2 shown]
	v_pk_fma_f16 v23, v16, v2, v189 op_sel_hi:[1,0,1]
	v_pk_fma_f16 v16, v16, v2, v190 op_sel:[0,1,0]
	v_pk_fma_f16 v165, v18, v2, v235 op_sel_hi:[1,0,1]
	v_pk_fma_f16 v18, v18, v2, v236 op_sel:[0,1,0]
	;; [unrolled: 2-line block ×3, first 2 shown]
	v_pk_fma_f16 v1, v9, v3, v1 op_sel:[0,1,0]
	v_pk_fma_f16 v2, v10, v3, v21 op_sel_hi:[1,0,1]
	v_pk_fma_f16 v10, v10, v3, v14 op_sel:[0,1,0]
	v_pk_fma_f16 v13, v11, v3, v22 op_sel_hi:[1,0,1]
	;; [unrolled: 2-line block ×5, first 2 shown]
	v_pk_fma_f16 v14, v4, v3, v23 op_sel_hi:[1,0,1]
	v_pk_fma_f16 v4, v4, v3, v16 op_sel:[0,1,0]
	v_pk_fma_f16 v16, v6, v3, v165 op_sel_hi:[1,0,1]
	v_pk_fma_f16 v6, v6, v3, v18 op_sel:[0,1,0]
	;; [unrolled: 2-line block ×23, first 2 shown]
	s_mul_hi_i32 s17, s15, s5
	s_mul_i32 s16, s15, s5
	v_pk_fma_f16 v13, v120, v106, v13 op_sel_hi:[1,0,1]
	v_pk_fma_f16 v4, v120, v106, v4 op_sel:[0,1,0]
	v_pk_fma_f16 v14, v121, v106, v14 op_sel_hi:[1,0,1]
	v_pk_fma_f16 v5, v121, v106, v5 op_sel:[0,1,0]
	v_pk_fma_f16 v15, v122, v106, v15 op_sel_hi:[1,0,1]
	v_pk_fma_f16 v6, v122, v106, v6 op_sel:[0,1,0]
	v_pk_fma_f16 v9, v123, v106, v9 op_sel_hi:[1,0,1]
	v_pk_fma_f16 v3, v123, v106, v3 op_sel:[0,1,0]
	v_pk_fma_f16 v7, v116, v107, v7 op_sel_hi:[1,0,1]
	v_pk_fma_f16 v8, v116, v107, v8 op_sel:[0,1,0]
	v_pk_fma_f16 v0, v117, v107, v0 op_sel_hi:[1,0,1]
	v_pk_fma_f16 v1, v117, v107, v1 op_sel:[0,1,0]
	v_pk_fma_f16 v2, v118, v107, v2 op_sel_hi:[1,0,1]
	v_pk_fma_f16 v10, v118, v107, v10 op_sel:[0,1,0]
	v_pk_fma_f16 v12, v119, v107, v12 op_sel_hi:[1,0,1]
	v_pk_fma_f16 v11, v119, v107, v11 op_sel:[0,1,0]
	s_lshl_b64 s[16:17], s[16:17], 2
	v_pk_fma_f16 v13, v112, v107, v13 op_sel_hi:[1,0,1]
	v_add_co_u32 v232, vcc_lo, v213, s16
	v_add_co_ci_u32_e32 v233, vcc_lo, s17, v214, vcc_lo
	v_pk_fma_f16 v4, v112, v107, v4 op_sel:[0,1,0]
	v_pk_fma_f16 v14, v113, v107, v14 op_sel_hi:[1,0,1]
	v_pk_fma_f16 v5, v113, v107, v5 op_sel:[0,1,0]
	v_pk_fma_f16 v15, v114, v107, v15 op_sel_hi:[1,0,1]
	;; [unrolled: 2-line block ×38, first 2 shown]
	v_pk_fma_f16 v41, v186, v80, v42 op_sel:[0,1,0]
	s_waitcnt vmcnt(1)
	ds_store_b128 v210, v[148:151]
	s_waitcnt vmcnt(0)
	ds_store_b128 v211, v[156:159]
	s_waitcnt lgkmcnt(0)
	s_barrier
	buffer_gl0_inv
	ds_load_2addr_b64 v[188:191], v212 offset1:32
	ds_load_2addr_b64 v[180:183], v212 offset0:64 offset1:96
	ds_load_b128 v[128:131], v209 offset:96
	ds_load_b128 v[0:3], v209 offset:112
	ds_load_2addr_b64 v[172:175], v212 offset0:128 offset1:160
	ds_load_2addr_b64 v[164:167], v212 offset0:192 offset1:224
	ds_load_2addr_b64 v[156:159], v223 offset1:32
	ds_load_2addr_b64 v[148:151], v223 offset0:64 offset1:96
	ds_load_2addr_b64 v[140:143], v223 offset0:128 offset1:160
	ds_load_2addr_b64 v[136:139], v223 offset0:192 offset1:224
	ds_load_2addr_b64 v[132:135], v224 offset1:32
	ds_load_2addr_b64 v[124:127], v224 offset0:64 offset1:96
	ds_load_2addr_b64 v[120:123], v224 offset0:128 offset1:160
	ds_load_2addr_b64 v[20:23], v224 offset0:192 offset1:224
	ds_load_2addr_b64 v[16:19], v225 offset1:32
	ds_load_2addr_b64 v[12:15], v225 offset0:64 offset1:96
	ds_load_2addr_b64 v[8:11], v225 offset0:128 offset1:160
	ds_load_2addr_b64 v[4:7], v225 offset0:192 offset1:224
	s_waitcnt lgkmcnt(0)
	s_barrier
	buffer_gl0_inv
	s_clause 0x1
	global_load_b128 v[96:99], v[232:233], off
	global_load_b128 v[100:103], v[232:233], off offset:512
	v_pk_fma_f16 v42, v187, v80, v56 op_sel_hi:[1,0,1]
	v_pk_fma_f16 v43, v187, v80, v43 op_sel:[0,1,0]
	v_pk_fma_f16 v51, v176, v80, v57 op_sel_hi:[1,0,1]
	v_pk_fma_f16 v32, v176, v80, v32 op_sel:[0,1,0]
	;; [unrolled: 2-line block ×17, first 2 shown]
	s_or_b32 s15, s4, 40
	v_pk_fma_f16 v51, v144, v82, v51 op_sel_hi:[1,0,1]
	s_mul_hi_i32 s17, s15, s5
	s_mul_i32 s16, s15, s5
	v_pk_fma_f16 v32, v144, v82, v32 op_sel:[0,1,0]
	v_pk_fma_f16 v48, v145, v82, v48 op_sel_hi:[1,0,1]
	v_pk_fma_f16 v33, v145, v82, v33 op_sel:[0,1,0]
	v_pk_fma_f16 v49, v146, v82, v49 op_sel_hi:[1,0,1]
	;; [unrolled: 2-line block ×7, first 2 shown]
	v_pk_fma_f16 v43, v95, v83, v43 op_sel:[0,1,0]
	s_lshl_b64 s[16:17], s[16:17], 2
	v_pk_fma_f16 v51, v88, v83, v51 op_sel_hi:[1,0,1]
	v_add_co_u32 v232, vcc_lo, v213, s16
	v_add_co_ci_u32_e32 v233, vcc_lo, s17, v214, vcc_lo
	v_pk_fma_f16 v32, v88, v83, v32 op_sel:[0,1,0]
	v_pk_fma_f16 v48, v89, v83, v48 op_sel_hi:[1,0,1]
	v_pk_fma_f16 v33, v89, v83, v33 op_sel:[0,1,0]
	v_pk_fma_f16 v49, v90, v83, v49 op_sel_hi:[1,0,1]
	;; [unrolled: 2-line block ×55, first 2 shown]
	v_pk_fma_f16 v47, v159, v130, v47 op_sel:[0,1,0]
	s_or_b32 s15, s4, 48
	v_pk_fma_f16 v55, v148, v130, v55 op_sel_hi:[1,0,1]
	s_mul_hi_i32 s17, s15, s5
	s_waitcnt vmcnt(1)
	ds_store_b128 v210, v[96:99]
	s_waitcnt vmcnt(0)
	ds_store_b128 v211, v[100:103]
	s_waitcnt lgkmcnt(0)
	s_barrier
	buffer_gl0_inv
	ds_load_2addr_b64 v[116:119], v212 offset1:32
	ds_load_2addr_b64 v[112:115], v212 offset0:64 offset1:96
	ds_load_b128 v[80:83], v209 offset:128
	ds_load_b128 v[24:27], v209 offset:144
	ds_load_2addr_b64 v[108:111], v212 offset0:128 offset1:160
	ds_load_2addr_b64 v[104:107], v212 offset0:192 offset1:224
	ds_load_2addr_b64 v[100:103], v223 offset1:32
	ds_load_2addr_b64 v[96:99], v223 offset0:64 offset1:96
	ds_load_2addr_b64 v[92:95], v223 offset0:128 offset1:160
	ds_load_2addr_b64 v[88:91], v223 offset0:192 offset1:224
	ds_load_2addr_b64 v[84:87], v224 offset1:32
	ds_load_2addr_b64 v[76:79], v224 offset0:64 offset1:96
	;; [unrolled: 4-line block ×3, first 2 shown]
	ds_load_2addr_b64 v[40:43], v225 offset0:128 offset1:160
	ds_load_2addr_b64 v[32:35], v225 offset0:192 offset1:224
	s_waitcnt lgkmcnt(0)
	s_barrier
	buffer_gl0_inv
	s_clause 0x1
	global_load_b128 v[144:147], v[232:233], off
	global_load_b128 v[152:155], v[232:233], off offset:512
	s_mul_i32 s16, s15, s5
	v_pk_fma_f16 v36, v148, v130, v36 op_sel:[0,1,0]
	v_pk_fma_f16 v52, v149, v130, v52 op_sel_hi:[1,0,1]
	v_pk_fma_f16 v37, v149, v130, v37 op_sel:[0,1,0]
	v_pk_fma_f16 v53, v150, v130, v53 op_sel_hi:[1,0,1]
	;; [unrolled: 2-line block ×7, first 2 shown]
	v_pk_fma_f16 v47, v143, v131, v47 op_sel:[0,1,0]
	s_lshl_b64 s[16:17], s[16:17], 2
	v_pk_fma_f16 v55, v136, v131, v55 op_sel_hi:[1,0,1]
	v_add_co_u32 v168, vcc_lo, v213, s16
	v_add_co_ci_u32_e32 v169, vcc_lo, s17, v214, vcc_lo
	v_pk_fma_f16 v36, v136, v131, v36 op_sel:[0,1,0]
	v_pk_fma_f16 v52, v137, v131, v52 op_sel_hi:[1,0,1]
	v_pk_fma_f16 v37, v137, v131, v37 op_sel:[0,1,0]
	v_pk_fma_f16 v53, v138, v131, v53 op_sel_hi:[1,0,1]
	;; [unrolled: 2-line block ×51, first 2 shown]
	v_pk_fma_f16 v0, v107, v81, v0 op_sel:[0,1,0]
	s_or_b32 s15, s4, 56
	v_pk_fma_f16 v1, v100, v82, v1 op_sel_hi:[1,0,1]
	s_mul_hi_i32 s17, s15, s5
	s_mul_i32 s16, s15, s5
	v_pk_fma_f16 v2, v100, v82, v2 op_sel:[0,1,0]
	v_pk_fma_f16 v3, v101, v82, v3 op_sel_hi:[1,0,1]
	v_pk_fma_f16 v7, v101, v82, v7 op_sel:[0,1,0]
	v_pk_fma_f16 v8, v102, v82, v8 op_sel_hi:[1,0,1]
	;; [unrolled: 2-line block ×7, first 2 shown]
	v_pk_fma_f16 v0, v99, v82, v0 op_sel:[0,1,0]
	s_lshl_b64 s[16:17], s[16:17], 2
	v_pk_fma_f16 v1, v92, v83, v1 op_sel_hi:[1,0,1]
	v_add_co_u32 v189, vcc_lo, v213, s16
	v_add_co_ci_u32_e32 v190, vcc_lo, s17, v214, vcc_lo
	v_pk_fma_f16 v2, v92, v83, v2 op_sel:[0,1,0]
	v_pk_fma_f16 v3, v93, v83, v3 op_sel_hi:[1,0,1]
	v_pk_fma_f16 v7, v93, v83, v7 op_sel:[0,1,0]
	v_pk_fma_f16 v8, v94, v83, v8 op_sel_hi:[1,0,1]
	v_pk_fma_f16 v9, v94, v83, v9 op_sel:[0,1,0]
	v_pk_fma_f16 v10, v95, v83, v10 op_sel_hi:[1,0,1]
	v_pk_fma_f16 v11, v95, v83, v11 op_sel:[0,1,0]
	v_pk_fma_f16 v15, v88, v83, v15 op_sel_hi:[1,0,1]
	v_pk_fma_f16 v4, v88, v83, v4 op_sel:[0,1,0]
	v_pk_fma_f16 v12, v89, v83, v12 op_sel_hi:[1,0,1]
	v_pk_fma_f16 v5, v89, v83, v5 op_sel:[0,1,0]
	v_pk_fma_f16 v13, v90, v83, v13 op_sel_hi:[1,0,1]
	v_pk_fma_f16 v6, v90, v83, v6 op_sel:[0,1,0]
	v_pk_fma_f16 v14, v91, v83, v14 op_sel_hi:[1,0,1]
	v_pk_fma_f16 v0, v91, v83, v0 op_sel:[0,1,0]
	s_waitcnt vmcnt(1)
	ds_store_b128 v210, v[144:147]
	s_waitcnt vmcnt(0)
	ds_store_b128 v211, v[152:155]
	s_waitcnt lgkmcnt(0)
	s_barrier
	buffer_gl0_inv
	ds_load_2addr_b64 v[164:167], v212 offset1:32
	ds_load_2addr_b64 v[160:163], v212 offset0:64 offset1:96
	ds_load_b128 v[128:131], v209 offset:160
	ds_load_b128 v[28:31], v209 offset:176
	ds_load_2addr_b64 v[156:159], v212 offset0:128 offset1:160
	ds_load_2addr_b64 v[152:155], v212 offset0:192 offset1:224
	ds_load_2addr_b64 v[148:151], v223 offset1:32
	ds_load_2addr_b64 v[144:147], v223 offset0:64 offset1:96
	ds_load_2addr_b64 v[140:143], v223 offset0:128 offset1:160
	ds_load_2addr_b64 v[136:139], v223 offset0:192 offset1:224
	ds_load_2addr_b64 v[132:135], v224 offset1:32
	ds_load_2addr_b64 v[124:127], v224 offset0:64 offset1:96
	;; [unrolled: 4-line block ×3, first 2 shown]
	ds_load_2addr_b64 v[44:47], v225 offset0:128 offset1:160
	ds_load_2addr_b64 v[36:39], v225 offset0:192 offset1:224
	s_waitcnt lgkmcnt(0)
	s_barrier
	buffer_gl0_inv
	s_clause 0x1
	global_load_b128 v[185:188], v[168:169], off
	global_load_b128 v[232:235], v[168:169], off offset:512
	v_add_f32_e32 v168, v229, v228
	v_pk_fma_f16 v182, v84, v24, v1 op_sel_hi:[1,0,1]
	v_pk_fma_f16 v183, v84, v24, v2 op_sel:[0,1,0]
	v_pk_fma_f16 v184, v85, v24, v3 op_sel_hi:[1,0,1]
	v_pk_fma_f16 v191, v85, v24, v7 op_sel:[0,1,0]
	v_fmac_f32_e32 v168, v217, v231
	v_add_f32_e32 v169, v226, v227
	v_pk_fma_f16 v217, v86, v24, v8 op_sel_hi:[1,0,1]
	v_pk_fma_f16 v226, v86, v24, v9 op_sel:[0,1,0]
	v_pk_fma_f16 v227, v87, v24, v10 op_sel_hi:[1,0,1]
	v_pk_fma_f16 v228, v87, v24, v11 op_sel:[0,1,0]
	;; [unrolled: 2-line block ×9, first 2 shown]
	v_pk_fma_f16 v24, v67, v25, v24 op_sel:[0,1,0]
	v_fmac_f32_e32 v169, v216, v230
	s_waitcnt vmcnt(1)
	ds_store_b128 v210, v[185:188]
	s_waitcnt vmcnt(0)
	ds_store_b128 v211, v[232:235]
	s_waitcnt lgkmcnt(0)
	s_barrier
	buffer_gl0_inv
	ds_load_2addr_b64 v[4:7], v212 offset1:32
	ds_load_2addr_b64 v[8:11], v212 offset0:64 offset1:96
	ds_load_b128 v[12:15], v209 offset:192
	ds_load_b128 v[0:3], v209 offset:208
	ds_load_2addr_b64 v[16:19], v212 offset0:128 offset1:160
	ds_load_2addr_b64 v[20:23], v212 offset0:192 offset1:224
	ds_load_2addr_b64 v[76:79], v223 offset1:32
	ds_load_2addr_b64 v[80:83], v223 offset0:64 offset1:96
	ds_load_2addr_b64 v[84:87], v223 offset0:128 offset1:160
	ds_load_2addr_b64 v[88:91], v223 offset0:192 offset1:224
	ds_load_2addr_b64 v[92:95], v224 offset1:32
	ds_load_2addr_b64 v[96:99], v224 offset0:64 offset1:96
	;; [unrolled: 4-line block ×3, first 2 shown]
	ds_load_2addr_b64 v[116:119], v225 offset0:128 offset1:160
	ds_load_2addr_b64 v[170:173], v225 offset0:192 offset1:224
	s_waitcnt lgkmcnt(0)
	s_barrier
	buffer_gl0_inv
	s_clause 0x1
	global_load_b128 v[174:177], v[189:190], off
	global_load_b128 v[178:181], v[189:190], off offset:512
	v_pk_fma_f16 v185, v71, v25, v227 op_sel_hi:[1,0,1]
	v_pk_fma_f16 v71, v71, v25, v228 op_sel:[0,1,0]
	v_pk_fma_f16 v186, v64, v25, v229 op_sel_hi:[1,0,1]
	v_pk_fma_f16 v64, v64, v25, v231 op_sel:[0,1,0]
	;; [unrolled: 2-line block ×4, first 2 shown]
	v_pk_fma_f16 v189, v67, v25, v240 op_sel_hi:[1,0,1]
	v_pk_fma_f16 v25, v56, v26, v182 op_sel_hi:[1,0,1]
	v_pk_fma_f16 v56, v56, v26, v68 op_sel:[0,1,0]
	v_pk_fma_f16 v67, v57, v26, v183 op_sel_hi:[1,0,1]
	v_pk_fma_f16 v57, v57, v26, v69 op_sel:[0,1,0]
	;; [unrolled: 2-line block ×142, first 2 shown]
	v_pk_fma_f16 v88, v172, v3, v16 op_sel_hi:[1,0,1]
	s_waitcnt vmcnt(1)
	ds_store_b128 v210, v[174:177]
	s_waitcnt vmcnt(0)
	ds_store_b128 v211, v[178:181]
	s_waitcnt lgkmcnt(0)
	s_barrier
	buffer_gl0_inv
	ds_load_2addr_b64 v[4:7], v212 offset1:32
	ds_load_2addr_b64 v[8:11], v212 offset0:64 offset1:96
	ds_load_b128 v[12:15], v209 offset:224
	ds_load_b128 v[16:19], v209 offset:240
	ds_load_2addr_b64 v[20:23], v212 offset0:128 offset1:160
	ds_load_2addr_b64 v[24:27], v212 offset0:192 offset1:224
	ds_load_2addr_b64 v[28:31], v223 offset1:32
	ds_load_2addr_b64 v[32:35], v223 offset0:64 offset1:96
	ds_load_2addr_b64 v[36:39], v223 offset0:128 offset1:160
	ds_load_2addr_b64 v[40:43], v223 offset0:192 offset1:224
	ds_load_2addr_b64 v[44:47], v224 offset1:32
	ds_load_2addr_b64 v[48:51], v224 offset0:64 offset1:96
	;; [unrolled: 4-line block ×3, first 2 shown]
	ds_load_2addr_b64 v[68:71], v225 offset0:128 offset1:160
	ds_load_2addr_b64 v[72:75], v225 offset0:192 offset1:224
	v_pk_fma_f16 v76, v172, v3, v76 op_sel:[0,1,0]
	v_pk_fma_f16 v77, v173, v3, v77 op_sel_hi:[1,0,1]
	v_pk_fma_f16 v0, v173, v3, v0 op_sel:[0,1,0]
	s_waitcnt lgkmcnt(0)
	v_pk_fma_f16 v1, v4, v12, v1 op_sel_hi:[1,0,1]
	v_pk_fma_f16 v2, v4, v12, v2 op_sel:[0,1,0]
	v_pk_fma_f16 v3, v5, v12, v78 op_sel_hi:[1,0,1]
	v_pk_fma_f16 v4, v5, v12, v79 op_sel:[0,1,0]
	;; [unrolled: 2-line block ×24, first 2 shown]
	s_barrier
	buffer_gl0_inv
	s_load_b32 s15, s[2:3], 0x4
	v_pk_fma_f16 v1, v36, v15, v1 op_sel_hi:[1,0,1]
	v_pk_fma_f16 v2, v36, v15, v2 op_sel:[0,1,0]
	v_pk_fma_f16 v3, v37, v15, v3 op_sel_hi:[1,0,1]
	v_pk_fma_f16 v4, v37, v15, v4 op_sel:[0,1,0]
	;; [unrolled: 2-line block ×32, first 2 shown]
	s_waitcnt lgkmcnt(0)
	s_lshl_b32 s15, s15, 6
	v_pk_fma_f16 v155, v68, v19, v1 op_sel_hi:[1,0,1]
	v_pk_fma_f16 v150, v68, v19, v2 op_sel:[0,1,0]
	v_pk_fma_f16 v157, v69, v19, v3 op_sel_hi:[1,0,1]
	v_pk_fma_f16 v151, v69, v19, v4 op_sel:[0,1,0]
	;; [unrolled: 2-line block ×8, first 2 shown]
	s_add_i32 s4, s15, s4
	s_delay_alu instid0(SALU_CYCLE_1)
	s_cmp_ge_i32 s4, s34
	s_cbranch_scc1 .LBB26_31
; %bb.30:                               ;   in Loop: Header=BB26_13 Depth=1
	v_dual_mov_b32 v160, v199 :: v_dual_mov_b32 v161, v200
	v_dual_mov_b32 v217, v168 :: v_dual_mov_b32 v216, v169
	s_branch .LBB26_13
.LBB26_31:
	v_mov_b32_e32 v0, v203
.LBB26_32:
	v_cmp_lt_i32_e32 vcc_lo, v222, v204
	s_cmp_lg_u64 s[24:25], 0
	s_cselect_b32 s2, -1, 0
	s_cmp_eq_u32 s14, 0
	v_cndmask_b32_e32 v1, v0, v222, vcc_lo
	v_cmp_lt_i32_e32 vcc_lo, v218, v204
	s_cselect_b32 s3, -1, 0
	s_delay_alu instid0(SALU_CYCLE_1) | instskip(NEXT) | instid1(VALU_DEP_2)
	s_and_b32 s2, s3, s2
	v_lshlrev_b32_e32 v1, 2, v1
	v_cndmask_b32_e32 v3, v0, v218, vcc_lo
	v_cmp_lt_i32_e32 vcc_lo, v219, v204
	ds_bpermute_b32 v2, v1, v168
	v_lshlrev_b32_e32 v3, 2, v3
	v_cndmask_b32_e32 v5, v0, v219, vcc_lo
	v_cmp_lt_i32_e32 vcc_lo, v220, v204
	s_waitcnt lgkmcnt(0)
	s_delay_alu instid0(VALU_DEP_2)
	v_dual_add_f32 v2, v168, v2 :: v_dual_lshlrev_b32 v5, 2, v5
	ds_bpermute_b32 v1, v1, v169
	ds_bpermute_b32 v4, v3, v2
	s_waitcnt lgkmcnt(0)
	v_dual_add_f32 v2, v2, v4 :: v_dual_add_f32 v1, v169, v1
	ds_bpermute_b32 v3, v3, v1
	s_waitcnt lgkmcnt(0)
	v_add_f32_e32 v1, v1, v3
	ds_bpermute_b32 v3, v5, v2
	ds_bpermute_b32 v4, v5, v1
	v_cndmask_b32_e32 v5, v0, v220, vcc_lo
	v_cmp_lt_i32_e32 vcc_lo, v221, v204
	s_delay_alu instid0(VALU_DEP_2) | instskip(SKIP_2) | instid1(VALU_DEP_1)
	v_lshlrev_b32_e32 v5, 2, v5
	v_cndmask_b32_e32 v0, v0, v221, vcc_lo
	s_and_b32 vcc_lo, exec_lo, s2
	v_lshlrev_b32_e32 v0, 2, v0
	s_waitcnt lgkmcnt(0)
	v_dual_add_f32 v2, v2, v3 :: v_dual_add_f32 v1, v1, v4
	ds_bpermute_b32 v3, v5, v2
	ds_bpermute_b32 v4, v5, v1
	s_waitcnt lgkmcnt(0)
	v_dual_add_f32 v2, v2, v3 :: v_dual_add_f32 v1, v1, v4
	ds_bpermute_b32 v3, v0, v2
	ds_bpermute_b32 v0, v0, v1
	s_waitcnt lgkmcnt(0)
	v_dual_add_f32 v2, v2, v3 :: v_dual_add_f32 v3, v1, v0
	s_cbranch_vccz .LBB26_35
; %bb.33:
	v_max_f32_e32 v6, v200, v200
	v_add_nc_u32_e32 v0, s12, v201
	s_delay_alu instid0(VALU_DEP_1) | instskip(NEXT) | instid1(VALU_DEP_1)
	v_ashrrev_i32_e32 v1, 31, v0
	v_lshlrev_b64 v[0:1], 2, v[0:1]
	s_delay_alu instid0(VALU_DEP_1) | instskip(NEXT) | instid1(VALU_DEP_2)
	v_add_co_u32 v0, vcc_lo, s24, v0
	v_add_co_ci_u32_e32 v1, vcc_lo, s25, v1, vcc_lo
	global_load_b64 v[0:1], v[0:1], off
	s_waitcnt vmcnt(0)
	v_dual_max_f32 v4, v199, v199 :: v_dual_max_f32 v5, v0, v0
	v_max_f32_e32 v7, v1, v1
	s_delay_alu instid0(VALU_DEP_1) | instskip(NEXT) | instid1(VALU_DEP_1)
	v_dual_max_f32 v4, v4, v5 :: v_dual_max_f32 v5, v6, v7
	v_dual_sub_f32 v0, v0, v4 :: v_dual_sub_f32 v1, v1, v5
	v_sub_f32_e32 v7, v200, v5
	s_delay_alu instid0(VALU_DEP_2) | instskip(SKIP_1) | instid1(VALU_DEP_4)
	v_mul_f32_e32 v9, 0x3fb8aa3b, v0
	v_sub_f32_e32 v6, v199, v4
	v_dual_mov_b32 v200, v5 :: v_dual_mul_f32 v11, 0x3fb8aa3b, v1
	v_mov_b32_e32 v199, v4
	s_delay_alu instid0(VALU_DEP_4) | instskip(NEXT) | instid1(VALU_DEP_4)
	v_fma_f32 v14, 0x3fb8aa3b, v0, -v9
	v_mul_f32_e32 v8, 0x3fb8aa3b, v6
	v_rndne_f32_e32 v15, v9
	v_fma_f32 v18, 0x3fb8aa3b, v1, -v11
	v_rndne_f32_e32 v19, v11
	v_cmp_ngt_f32_e32 vcc_lo, 0xc2ce8ed0, v6
	v_fma_f32 v12, 0x3fb8aa3b, v6, -v8
	v_rndne_f32_e32 v13, v8
	v_dual_sub_f32 v9, v9, v15 :: v_dual_fmac_f32 v18, 0x32a5705f, v1
	s_delay_alu instid0(VALU_DEP_3) | instskip(NEXT) | instid1(VALU_DEP_3)
	v_dual_sub_f32 v11, v11, v19 :: v_dual_fmac_f32 v12, 0x32a5705f, v6
	v_sub_f32_e32 v8, v8, v13
	s_delay_alu instid0(VALU_DEP_2) | instskip(SKIP_1) | instid1(VALU_DEP_2)
	v_dual_fmac_f32 v14, 0x32a5705f, v0 :: v_dual_add_f32 v11, v11, v18
	v_mul_f32_e32 v10, 0x3fb8aa3b, v7
	v_dual_add_f32 v8, v8, v12 :: v_dual_add_f32 v9, v9, v14
	v_cvt_i32_f32_e32 v12, v13
	s_delay_alu instid0(VALU_DEP_4) | instskip(NEXT) | instid1(VALU_DEP_3)
	v_exp_f32_e32 v11, v11
	v_fma_f32 v16, 0x3fb8aa3b, v7, -v10
	s_delay_alu instid0(VALU_DEP_3) | instskip(SKIP_4) | instid1(VALU_DEP_3)
	v_exp_f32_e32 v8, v8
	v_exp_f32_e32 v9, v9
	v_rndne_f32_e32 v17, v10
	v_cvt_i32_f32_e32 v13, v15
	v_cvt_i32_f32_e32 v15, v19
	;; [unrolled: 1-line block ×3, first 2 shown]
	s_delay_alu instid0(TRANS32_DEP_3) | instid1(VALU_DEP_2)
	v_ldexp_f32 v11, v11, v15
	s_delay_alu instid0(TRANS32_DEP_2) | instskip(SKIP_1) | instid1(TRANS32_DEP_1)
	v_ldexp_f32 v8, v8, v12
	v_sub_f32_e32 v10, v10, v17
	v_ldexp_f32 v9, v9, v13
	s_delay_alu instid0(VALU_DEP_3) | instskip(SKIP_1) | instid1(VALU_DEP_3)
	v_cndmask_b32_e32 v8, 0, v8, vcc_lo
	v_cmp_ngt_f32_e32 vcc_lo, 0xc2ce8ed0, v0
	v_dual_fmac_f32 v16, 0x32a5705f, v7 :: v_dual_cndmask_b32 v9, 0, v9
	s_delay_alu instid0(VALU_DEP_1) | instskip(SKIP_1) | instid1(VALU_DEP_2)
	v_add_f32_e32 v10, v10, v16
	v_cmp_ngt_f32_e32 vcc_lo, 0xc2ce8ed0, v7
	v_exp_f32_e32 v10, v10
	s_waitcnt_depctr 0xfff
	v_ldexp_f32 v10, v10, v14
	s_delay_alu instid0(VALU_DEP_1)
	v_cndmask_b32_e32 v10, 0, v10, vcc_lo
	v_cmp_ngt_f32_e32 vcc_lo, 0xc2ce8ed0, v1
	v_cndmask_b32_e32 v11, 0, v11, vcc_lo
	v_cmp_nlt_f32_e32 vcc_lo, 0x42b17218, v6
	v_cndmask_b32_e32 v6, 0x7f800000, v8, vcc_lo
	v_cmp_nlt_f32_e32 vcc_lo, 0x42b17218, v0
	s_delay_alu instid0(VALU_DEP_2) | instskip(SKIP_2) | instid1(VALU_DEP_3)
	v_cvt_f16_f32_e32 v8, v6
	v_cndmask_b32_e32 v0, 0x7f800000, v9, vcc_lo
	v_cmp_nlt_f32_e32 vcc_lo, 0x42b17218, v7
	v_pk_mul_f16 v155, v8, v155 op_sel_hi:[0,1]
	s_delay_alu instid0(VALU_DEP_3)
	v_fmac_f32_e32 v0, v2, v6
	v_cndmask_b32_e32 v7, 0x7f800000, v10, vcc_lo
	v_cmp_nlt_f32_e32 vcc_lo, 0x42b17218, v1
	v_pk_mul_f16 v157, v8, v157 op_sel_hi:[0,1]
	v_pk_mul_f16 v158, v8, v158 op_sel_hi:[0,1]
	;; [unrolled: 1-line block ×3, first 2 shown]
	v_cvt_f16_f32_e32 v2, v7
	v_cndmask_b32_e32 v1, 0x7f800000, v11, vcc_lo
	v_pk_mul_f16 v154, v8, v154 op_sel_hi:[0,1]
	v_pk_mul_f16 v156, v8, v156 op_sel_hi:[0,1]
	;; [unrolled: 1-line block ×4, first 2 shown]
	v_fmac_f32_e32 v1, v3, v7
	v_pk_mul_f16 v150, v2, v150 op_sel_hi:[0,1]
	v_pk_mul_f16 v151, v2, v151 op_sel_hi:[0,1]
	v_pk_mul_f16 v148, v2, v148 op_sel_hi:[0,1]
	v_pk_mul_f16 v149, v2, v149 op_sel_hi:[0,1]
	v_mov_b32_e32 v3, v1
	v_pk_mul_f16 v146, v2, v146 op_sel_hi:[0,1]
	v_pk_mul_f16 v147, v2, v147 op_sel_hi:[0,1]
	;; [unrolled: 1-line block ×4, first 2 shown]
	v_mov_b32_e32 v2, v0
	s_mov_b32 s2, exec_lo
	v_cmpx_gt_i32_e64 s6, v192
	s_cbranch_execnz .LBB26_36
.LBB26_34:
	s_nop 0
	s_sendmsg sendmsg(MSG_DEALLOC_VGPRS)
	s_endpgm
.LBB26_35:
	s_delay_alu instid0(VALU_DEP_1)
	v_dual_mov_b32 v0, v2 :: v_dual_mov_b32 v1, v3
	s_mov_b32 s2, exec_lo
	v_cmpx_gt_i32_e64 s6, v192
	s_cbranch_execz .LBB26_34
.LBB26_36:
	s_load_b32 s1, s[0:1], 0xd4
	v_mov_b32_e32 v6, 1.0
	s_waitcnt lgkmcnt(0)
	s_cmp_lg_u32 s1, 1
	s_cselect_b32 s3, -1, 0
	s_cmp_eq_u32 s1, 1
	s_cselect_b32 s2, -1, 0
	s_and_b32 vcc_lo, exec_lo, s3
	s_cbranch_vccnz .LBB26_38
; %bb.37:
	v_div_scale_f32 v4, null, v2, v2, 1.0
	s_delay_alu instid0(VALU_DEP_1) | instskip(SKIP_2) | instid1(VALU_DEP_1)
	v_rcp_f32_e32 v5, v4
	s_waitcnt_depctr 0xfff
	v_fma_f32 v6, -v4, v5, 1.0
	v_fmac_f32_e32 v5, v6, v5
	v_div_scale_f32 v6, vcc_lo, 1.0, v2, 1.0
	s_delay_alu instid0(VALU_DEP_1) | instskip(NEXT) | instid1(VALU_DEP_1)
	v_mul_f32_e32 v7, v6, v5
	v_fma_f32 v8, -v4, v7, v6
	s_delay_alu instid0(VALU_DEP_1) | instskip(NEXT) | instid1(VALU_DEP_1)
	v_fmac_f32_e32 v7, v8, v5
	v_fma_f32 v4, -v4, v7, v6
	s_delay_alu instid0(VALU_DEP_1) | instskip(NEXT) | instid1(VALU_DEP_1)
	v_div_fmas_f32 v4, v4, v5, v7
	v_div_fixup_f32 v6, v4, v2, 1.0
.LBB26_38:
	v_mad_u64_u32 v[4:5], null, s33, s6, v[192:193]
	v_lshrrev_b32_e32 v2, 16, v157
	v_cvt_f32_f16_e64 v7, v157
	v_cvt_f32_f16_e64 v10, v155
	v_mov_b32_e32 v20, 0
	v_lshrrev_b32_e32 v11, 16, v159
	v_cvt_f32_f16_e64 v15, v158
	v_mul_lo_u32 v4, v4, s7
	v_cvt_f32_f16_e32 v2, v2
	v_lshrrev_b32_e32 v8, 16, v155
	v_lshrrev_b32_e32 v17, 16, v156
	v_cvt_f32_f16_e32 v21, v11
	v_mul_f32_e32 v11, v6, v15
	v_cvt_f32_f16_e64 v12, v159
	v_lshrrev_b32_e32 v14, 16, v158
	v_add3_u32 v9, s12, v201, v4
	v_cvt_f32_f16_e32 v29, v17
	v_lshrrev_b32_e32 v28, 16, v154
	v_cvt_f32_f16_e64 v27, v156
	v_cvt_f32_f16_e64 v31, v152
	v_mad_u64_u32 v[4:5], null, s1, v9, s[14:15]
	v_mul_f32_e32 v9, v6, v7
	v_dual_mul_f32 v7, v6, v10 :: v_dual_mov_b32 v16, v20
	v_cvt_f32_f16_e32 v5, v8
	v_dual_mul_f32 v13, v6, v12 :: v_dual_mov_b32 v22, v20
	v_lshl_add_u32 v19, v4, 9, v202
	v_mul_f32_e32 v10, v6, v2
	s_delay_alu instid0(VALU_DEP_4)
	v_mul_f32_e32 v8, v6, v5
	v_cvt_f32_f16_e64 v5, v154
	v_cvt_f32_f16_e32 v12, v14
	v_add_nc_u32_e32 v15, 0x80, v19
	v_lshlrev_b64 v[17:18], 2, v[19:20]
	v_dual_mul_f32 v14, v6, v21 :: v_dual_add_nc_u32 v21, 0x100, v19
	v_add_nc_u32_e32 v19, 0x180, v19
	s_delay_alu instid0(VALU_DEP_4) | instskip(SKIP_2) | instid1(VALU_DEP_1)
	v_lshlrev_b64 v[15:16], 2, v[15:16]
	v_cvt_f32_f16_e32 v2, v28
	v_add_co_u32 v23, s0, s28, v17
	v_add_co_ci_u32_e64 v24, s0, s29, v18, s0
	s_delay_alu instid0(VALU_DEP_4)
	v_add_co_u32 v25, s0, s28, v15
	v_mul_f32_e32 v15, v6, v5
	v_lshrrev_b32_e32 v5, 16, v152
	v_lshlrev_b64 v[21:22], 2, v[21:22]
	v_add_co_ci_u32_e64 v26, s0, s29, v16, s0
	v_mul_f32_e32 v16, v6, v2
	v_lshrrev_b32_e32 v2, 16, v153
	v_mul_f32_e32 v18, v6, v29
	v_lshlrev_b64 v[29:30], 2, v[19:20]
	v_cvt_f32_f16_e32 v5, v5
	v_mul_f32_e32 v17, v6, v27
	v_add_co_u32 v27, s0, s28, v21
	v_cvt_f32_f16_e32 v2, v2
	v_cvt_f32_f16_e64 v21, v153
	v_cmp_eq_u32_e32 vcc_lo, 0, v193
	v_add_co_ci_u32_e64 v28, s0, s29, v22, s0
	v_mul_f32_e32 v20, v6, v5
	v_add_co_u32 v5, s0, s28, v29
	v_mul_f32_e32 v12, v6, v12
	v_mul_f32_e32 v22, v6, v2
	;; [unrolled: 1-line block ×4, first 2 shown]
	v_add_co_ci_u32_e64 v6, s0, s29, v30, s0
	s_and_b32 s0, vcc_lo, s3
	s_clause 0x3
	global_store_b128 v[23:24], v[7:10], off
	global_store_b128 v[25:26], v[11:14], off
	;; [unrolled: 1-line block ×4, first 2 shown]
	s_and_saveexec_b32 s3, s0
	s_cbranch_execz .LBB26_40
; %bb.39:
	v_ashrrev_i32_e32 v5, 31, v4
	v_dual_mov_b32 v7, v199 :: v_dual_mov_b32 v8, v0
	s_delay_alu instid0(VALU_DEP_2) | instskip(NEXT) | instid1(VALU_DEP_1)
	v_lshlrev_b64 v[5:6], 3, v[4:5]
	v_add_co_u32 v5, vcc_lo, s30, v5
	s_delay_alu instid0(VALU_DEP_2)
	v_add_co_ci_u32_e32 v6, vcc_lo, s31, v6, vcc_lo
	global_store_b64 v[5:6], v[7:8], off
.LBB26_40:
	s_or_b32 exec_lo, exec_lo, s3
	v_mov_b32_e32 v0, 1.0
	s_and_not1_b32 vcc_lo, exec_lo, s2
	s_cbranch_vccnz .LBB26_42
; %bb.41:
	v_div_scale_f32 v0, null, v3, v3, 1.0
	s_delay_alu instid0(VALU_DEP_1) | instskip(SKIP_2) | instid1(VALU_DEP_1)
	v_rcp_f32_e32 v2, v0
	s_waitcnt_depctr 0xfff
	v_fma_f32 v5, -v0, v2, 1.0
	v_fmac_f32_e32 v2, v5, v2
	v_div_scale_f32 v5, vcc_lo, 1.0, v3, 1.0
	s_delay_alu instid0(VALU_DEP_1) | instskip(NEXT) | instid1(VALU_DEP_1)
	v_mul_f32_e32 v6, v5, v2
	v_fma_f32 v7, -v0, v6, v5
	s_delay_alu instid0(VALU_DEP_1) | instskip(NEXT) | instid1(VALU_DEP_1)
	v_fmac_f32_e32 v6, v7, v2
	v_fma_f32 v0, -v0, v6, v5
	s_delay_alu instid0(VALU_DEP_1) | instskip(NEXT) | instid1(VALU_DEP_1)
	v_div_fmas_f32 v0, v0, v2, v6
	v_div_fixup_f32 v0, v0, v3, 1.0
.LBB26_42:
	v_lshrrev_b32_e32 v3, 16, v151
	v_cvt_f32_f16_e64 v6, v150
	v_add_nc_u32_e32 v2, s1, v4
	v_cvt_f32_f16_e64 v4, v151
	v_lshrrev_b32_e32 v5, 16, v150
	v_mov_b32_e32 v16, 0
	v_cvt_f32_f16_e32 v10, v3
	v_mul_f32_e32 v3, v0, v6
	v_lshl_add_u32 v15, v2, 9, v202
	v_cvt_f32_f16_e32 v11, v5
	v_mul_f32_e32 v5, v0, v4
	v_lshrrev_b32_e32 v9, 16, v149
	v_mul_f32_e32 v6, v0, v10
	v_lshlrev_b64 v[7:8], 2, v[15:16]
	v_lshrrev_b32_e32 v10, 16, v148
	v_cvt_f32_f16_e64 v13, v149
	v_cvt_f32_f16_e32 v9, v9
	v_mul_f32_e32 v4, v0, v11
	v_cvt_f32_f16_e64 v17, v148
	v_add_co_u32 v19, vcc_lo, s28, v7
	v_add_nc_u32_e32 v7, 0x80, v15
	v_add_co_ci_u32_e32 v20, vcc_lo, s29, v8, vcc_lo
	v_mov_b32_e32 v8, v16
	v_cvt_f32_f16_e32 v14, v10
	v_mul_f32_e32 v10, v0, v9
	v_mul_f32_e32 v9, v0, v13
	v_lshrrev_b32_e32 v13, 16, v147
	v_lshlrev_b64 v[11:12], 2, v[7:8]
	v_mul_f32_e32 v8, v0, v14
	v_mul_f32_e32 v7, v0, v17
	v_lshrrev_b32_e32 v14, 16, v146
	v_cvt_f32_f16_e32 v13, v13
	v_cvt_f32_f16_e64 v17, v147
	v_add_co_u32 v21, vcc_lo, s28, v11
	v_add_co_ci_u32_e32 v22, vcc_lo, s29, v12, vcc_lo
	v_add_nc_u32_e32 v11, 0x100, v15
	v_dual_mov_b32 v12, v16 :: v_dual_add_nc_u32 v15, 0x180, v15
	v_cvt_f32_f16_e32 v23, v14
	v_mul_f32_e32 v14, v0, v13
	v_mul_f32_e32 v13, v0, v17
	v_lshrrev_b32_e32 v25, 16, v144
	v_lshlrev_b64 v[17:18], 2, v[11:12]
	v_lshrrev_b32_e32 v26, 16, v145
	v_cvt_f32_f16_e64 v24, v146
	v_mul_f32_e32 v12, v0, v23
	v_cvt_f32_f16_e64 v27, v144
	v_cvt_f32_f16_e64 v29, v145
	v_add_co_u32 v23, vcc_lo, s28, v17
	v_cvt_f32_f16_e32 v17, v25
	v_cvt_f32_f16_e32 v28, v26
	v_lshlrev_b64 v[25:26], 2, v[15:16]
	v_mul_f32_e32 v11, v0, v24
	v_add_co_ci_u32_e32 v24, vcc_lo, s29, v18, vcc_lo
	v_mul_f32_e32 v18, v0, v17
	v_mul_f32_e32 v17, v0, v27
	v_add_co_u32 v25, vcc_lo, s28, v25
	v_mul_f32_e32 v16, v0, v28
	v_mul_f32_e32 v15, v0, v29
	v_add_co_ci_u32_e32 v26, vcc_lo, s29, v26, vcc_lo
	s_clause 0x3
	global_store_b128 v[19:20], v[3:6], off
	global_store_b128 v[21:22], v[7:10], off
	;; [unrolled: 1-line block ×4, first 2 shown]
	s_and_b32 exec_lo, exec_lo, s0
	s_cbranch_execz .LBB26_34
; %bb.43:
	v_ashrrev_i32_e32 v3, 31, v2
	v_mov_b32_e32 v0, v200
	s_delay_alu instid0(VALU_DEP_2) | instskip(NEXT) | instid1(VALU_DEP_1)
	v_lshlrev_b64 v[2:3], 3, v[2:3]
	v_add_co_u32 v2, vcc_lo, s30, v2
	s_delay_alu instid0(VALU_DEP_2)
	v_add_co_ci_u32_e32 v3, vcc_lo, s31, v3, vcc_lo
	global_store_b64 v[2:3], v[0:1], off
	s_nop 0
	s_sendmsg sendmsg(MSG_DEALLOC_VGPRS)
	s_endpgm
	.section	.rodata,"a",@progbits
	.p2align	6, 0x0
	.amdhsa_kernel _ZL15flash_attn_tileILi576ELi512ELi4ELi4ELb1EEvPKcS1_S1_S1_S1_PKiPfP15HIP_vector_typeIfLj2EEffffjfiS5_IjLj3EEiiiiiiiiiiiliiliiiiil
		.amdhsa_group_segment_fixed_size 29696
		.amdhsa_private_segment_fixed_size 0
		.amdhsa_kernarg_size 464
		.amdhsa_user_sgpr_count 13
		.amdhsa_user_sgpr_dispatch_ptr 0
		.amdhsa_user_sgpr_queue_ptr 0
		.amdhsa_user_sgpr_kernarg_segment_ptr 1
		.amdhsa_user_sgpr_dispatch_id 0
		.amdhsa_user_sgpr_private_segment_size 0
		.amdhsa_wavefront_size32 1
		.amdhsa_uses_dynamic_stack 0
		.amdhsa_enable_private_segment 0
		.amdhsa_system_sgpr_workgroup_id_x 1
		.amdhsa_system_sgpr_workgroup_id_y 1
		.amdhsa_system_sgpr_workgroup_id_z 1
		.amdhsa_system_sgpr_workgroup_info 0
		.amdhsa_system_vgpr_workitem_id 1
		.amdhsa_next_free_vgpr 241
		.amdhsa_next_free_sgpr 40
		.amdhsa_reserve_vcc 1
		.amdhsa_float_round_mode_32 0
		.amdhsa_float_round_mode_16_64 0
		.amdhsa_float_denorm_mode_32 3
		.amdhsa_float_denorm_mode_16_64 3
		.amdhsa_dx10_clamp 1
		.amdhsa_ieee_mode 1
		.amdhsa_fp16_overflow 0
		.amdhsa_workgroup_processor_mode 1
		.amdhsa_memory_ordered 1
		.amdhsa_forward_progress 0
		.amdhsa_shared_vgpr_count 0
		.amdhsa_exception_fp_ieee_invalid_op 0
		.amdhsa_exception_fp_denorm_src 0
		.amdhsa_exception_fp_ieee_div_zero 0
		.amdhsa_exception_fp_ieee_overflow 0
		.amdhsa_exception_fp_ieee_underflow 0
		.amdhsa_exception_fp_ieee_inexact 0
		.amdhsa_exception_int_div_zero 0
	.end_amdhsa_kernel
	.section	.text._ZL15flash_attn_tileILi576ELi512ELi4ELi4ELb1EEvPKcS1_S1_S1_S1_PKiPfP15HIP_vector_typeIfLj2EEffffjfiS5_IjLj3EEiiiiiiiiiiiliiliiiiil,"axG",@progbits,_ZL15flash_attn_tileILi576ELi512ELi4ELi4ELb1EEvPKcS1_S1_S1_S1_PKiPfP15HIP_vector_typeIfLj2EEffffjfiS5_IjLj3EEiiiiiiiiiiiliiliiiiil,comdat
.Lfunc_end26:
	.size	_ZL15flash_attn_tileILi576ELi512ELi4ELi4ELb1EEvPKcS1_S1_S1_S1_PKiPfP15HIP_vector_typeIfLj2EEffffjfiS5_IjLj3EEiiiiiiiiiiiliiliiiiil, .Lfunc_end26-_ZL15flash_attn_tileILi576ELi512ELi4ELi4ELb1EEvPKcS1_S1_S1_S1_PKiPfP15HIP_vector_typeIfLj2EEffffjfiS5_IjLj3EEiiiiiiiiiiiliiliiiiil
                                        ; -- End function
	.section	.AMDGPU.csdata,"",@progbits
; Kernel info:
; codeLenInByte = 43856
; NumSgprs: 42
; NumVgprs: 241
; ScratchSize: 0
; MemoryBound: 0
; FloatMode: 240
; IeeeMode: 1
; LDSByteSize: 29696 bytes/workgroup (compile time only)
; SGPRBlocks: 5
; VGPRBlocks: 30
; NumSGPRsForWavesPerEU: 42
; NumVGPRsForWavesPerEU: 241
; Occupancy: 5
; WaveLimiterHint : 1
; COMPUTE_PGM_RSRC2:SCRATCH_EN: 0
; COMPUTE_PGM_RSRC2:USER_SGPR: 13
; COMPUTE_PGM_RSRC2:TRAP_HANDLER: 0
; COMPUTE_PGM_RSRC2:TGID_X_EN: 1
; COMPUTE_PGM_RSRC2:TGID_Y_EN: 1
; COMPUTE_PGM_RSRC2:TGID_Z_EN: 1
; COMPUTE_PGM_RSRC2:TIDIG_COMP_CNT: 1
	.section	.text._ZL15flash_attn_tileILi576ELi512ELi2ELi4ELb1EEvPKcS1_S1_S1_S1_PKiPfP15HIP_vector_typeIfLj2EEffffjfiS5_IjLj3EEiiiiiiiiiiiliiliiiiil,"axG",@progbits,_ZL15flash_attn_tileILi576ELi512ELi2ELi4ELb1EEvPKcS1_S1_S1_S1_PKiPfP15HIP_vector_typeIfLj2EEffffjfiS5_IjLj3EEiiiiiiiiiiiliiliiiiil,comdat
	.globl	_ZL15flash_attn_tileILi576ELi512ELi2ELi4ELb1EEvPKcS1_S1_S1_S1_PKiPfP15HIP_vector_typeIfLj2EEffffjfiS5_IjLj3EEiiiiiiiiiiiliiliiiiil ; -- Begin function _ZL15flash_attn_tileILi576ELi512ELi2ELi4ELb1EEvPKcS1_S1_S1_S1_PKiPfP15HIP_vector_typeIfLj2EEffffjfiS5_IjLj3EEiiiiiiiiiiiliiliiiiil
	.p2align	8
	.type	_ZL15flash_attn_tileILi576ELi512ELi2ELi4ELb1EEvPKcS1_S1_S1_S1_PKiPfP15HIP_vector_typeIfLj2EEffffjfiS5_IjLj3EEiiiiiiiiiiiliiliiiiil,@function
_ZL15flash_attn_tileILi576ELi512ELi2ELi4ELb1EEvPKcS1_S1_S1_S1_PKiPfP15HIP_vector_typeIfLj2EEffffjfiS5_IjLj3EEiiiiiiiiiiiliiliiiiil: ; @_ZL15flash_attn_tileILi576ELi512ELi2ELi4ELb1EEvPKcS1_S1_S1_S1_PKiPfP15HIP_vector_typeIfLj2EEffffjfiS5_IjLj3EEiiiiiiiiiiiliiliiiiil
; %bb.0:
	s_clause 0x3
	s_load_b128 s[4:7], s[0:1], 0x5c
	s_load_b64 s[2:3], s[0:1], 0x80
	s_load_b512 s[16:31], s[0:1], 0x0
	s_load_b64 s[36:37], s[0:1], 0xb8
	s_mov_b64 s[34:35], 0
	s_waitcnt lgkmcnt(0)
	s_ashr_i32 s8, s7, 31
	s_delay_alu instid0(SALU_CYCLE_1) | instskip(NEXT) | instid1(SALU_CYCLE_1)
	s_lshr_b32 s8, s8, 30
	s_add_i32 s8, s7, s8
	s_delay_alu instid0(SALU_CYCLE_1) | instskip(NEXT) | instid1(SALU_CYCLE_1)
	s_ashr_i32 s8, s8, 2
	v_cvt_f32_u32_e32 v1, s8
	s_sub_i32 s10, 0, s8
	s_delay_alu instid0(VALU_DEP_1) | instskip(SKIP_2) | instid1(VALU_DEP_1)
	v_rcp_iflag_f32_e32 v1, v1
	s_waitcnt_depctr 0xfff
	v_mul_f32_e32 v1, 0x4f7ffffe, v1
	v_cvt_u32_f32_e32 v1, v1
	s_delay_alu instid0(VALU_DEP_1) | instskip(NEXT) | instid1(VALU_DEP_1)
	v_readfirstlane_b32 s9, v1
	s_mul_i32 s10, s10, s9
	s_delay_alu instid0(SALU_CYCLE_1) | instskip(NEXT) | instid1(SALU_CYCLE_1)
	s_mul_hi_u32 s10, s9, s10
	s_add_i32 s9, s9, s10
	s_delay_alu instid0(SALU_CYCLE_1) | instskip(NEXT) | instid1(SALU_CYCLE_1)
	s_mul_hi_u32 s9, s15, s9
	s_mul_i32 s10, s9, s8
	s_add_i32 s11, s9, 1
	s_sub_i32 s10, s15, s10
	s_delay_alu instid0(SALU_CYCLE_1)
	s_sub_i32 s12, s10, s8
	s_cmp_ge_u32 s10, s8
	s_cselect_b32 s9, s11, s9
	s_cselect_b32 s10, s12, s10
	s_add_i32 s11, s9, 1
	s_cmp_ge_u32 s10, s8
	s_cselect_b32 s33, s11, s9
	s_abs_i32 s8, s3
	s_lshl_b32 s11, s15, 2
	v_cvt_f32_u32_e32 v1, s8
	s_sub_i32 s10, 0, s8
	s_abs_i32 s15, s7
	s_mul_i32 s12, s33, s7
	s_xor_b32 s3, s7, s3
	v_rcp_iflag_f32_e32 v1, v1
	s_sub_i32 s12, s11, s12
	s_ashr_i32 s3, s3, 31
	s_waitcnt_depctr 0xfff
	v_mul_f32_e32 v1, 0x4f7ffffe, v1
	s_delay_alu instid0(VALU_DEP_1) | instskip(NEXT) | instid1(VALU_DEP_1)
	v_cvt_u32_f32_e32 v1, v1
	v_readfirstlane_b32 s9, v1
	s_delay_alu instid0(VALU_DEP_1) | instskip(NEXT) | instid1(SALU_CYCLE_1)
	s_mul_i32 s10, s10, s9
	s_mul_hi_u32 s10, s9, s10
	s_delay_alu instid0(SALU_CYCLE_1) | instskip(NEXT) | instid1(SALU_CYCLE_1)
	s_add_i32 s9, s9, s10
	s_mul_hi_u32 s9, s15, s9
	s_delay_alu instid0(SALU_CYCLE_1) | instskip(SKIP_2) | instid1(SALU_CYCLE_1)
	s_mul_i32 s10, s9, s8
	s_add_i32 s11, s9, 1
	s_sub_i32 s10, s15, s10
	s_sub_i32 s15, s10, s8
	s_cmp_ge_u32 s10, s8
	s_cselect_b32 s9, s11, s9
	s_cselect_b32 s10, s15, s10
	s_add_i32 s11, s9, 1
	s_cmp_ge_u32 s10, s8
	s_cselect_b32 s8, s11, s9
	s_delay_alu instid0(SALU_CYCLE_1) | instskip(NEXT) | instid1(SALU_CYCLE_1)
	s_xor_b32 s8, s8, s3
	s_sub_i32 s15, s8, s3
	s_delay_alu instid0(SALU_CYCLE_1) | instskip(SKIP_2) | instid1(VALU_DEP_1)
	s_abs_i32 s38, s15
	s_cmp_eq_u64 s[22:23], 0
	v_cvt_f32_u32_e32 v1, s38
	v_rcp_iflag_f32_e32 v1, v1
	s_waitcnt_depctr 0xfff
	v_mul_f32_e32 v1, 0x4f7ffffe, v1
	s_delay_alu instid0(VALU_DEP_1) | instskip(NEXT) | instid1(VALU_DEP_1)
	v_cvt_u32_f32_e32 v1, v1
	v_readfirstlane_b32 s39, v1
	s_cbranch_scc1 .LBB27_2
; %bb.1:
	s_abs_i32 s3, s36
	s_abs_i32 s10, s33
	v_cvt_f32_u32_e32 v1, s3
	s_sub_i32 s9, 0, s3
	s_delay_alu instid0(VALU_DEP_1) | instskip(SKIP_2) | instid1(VALU_DEP_1)
	v_rcp_iflag_f32_e32 v1, v1
	s_waitcnt_depctr 0xfff
	v_mul_f32_e32 v1, 0x4f7ffffe, v1
	v_cvt_u32_f32_e32 v1, v1
	s_delay_alu instid0(VALU_DEP_1) | instskip(NEXT) | instid1(VALU_DEP_1)
	v_readfirstlane_b32 s8, v1
	s_mul_i32 s9, s9, s8
	s_delay_alu instid0(SALU_CYCLE_1) | instskip(NEXT) | instid1(SALU_CYCLE_1)
	s_mul_hi_u32 s9, s8, s9
	s_add_i32 s11, s8, s9
	s_load_b64 s[8:9], s[0:1], 0xc8
	s_mul_hi_u32 s11, s10, s11
	s_delay_alu instid0(SALU_CYCLE_1) | instskip(NEXT) | instid1(SALU_CYCLE_1)
	s_mul_i32 s11, s11, s3
	s_sub_i32 s10, s10, s11
	s_ashr_i32 s11, s33, 31
	s_sub_i32 s34, s10, s3
	s_cmp_ge_u32 s10, s3
	s_cselect_b32 s10, s34, s10
	s_delay_alu instid0(SALU_CYCLE_1) | instskip(SKIP_2) | instid1(SALU_CYCLE_1)
	s_sub_i32 s34, s10, s3
	s_cmp_ge_u32 s10, s3
	s_cselect_b32 s3, s34, s10
	s_xor_b32 s3, s3, s11
	s_delay_alu instid0(SALU_CYCLE_1)
	s_sub_i32 s3, s3, s11
	s_waitcnt lgkmcnt(0)
	s_mul_i32 s9, s3, s9
	s_mul_hi_u32 s10, s3, s8
	s_ashr_i32 s11, s3, 31
	s_add_i32 s9, s10, s9
	s_mul_i32 s11, s11, s8
	s_mul_i32 s3, s3, s8
	s_add_i32 s9, s9, s11
	s_add_u32 s34, s22, s3
	s_addc_u32 s35, s23, s9
.LBB27_2:
	v_bfe_u32 v4, v0, 10, 10
	s_load_b128 s[8:11], s[0:1], 0x70
	v_and_b32_e32 v0, 0x3ff, v0
	s_delay_alu instid0(VALU_DEP_2) | instskip(SKIP_1) | instid1(VALU_DEP_3)
	v_lshrrev_b32_e32 v1, 2, v4
	v_and_b32_e32 v11, 3, v4
	v_lshlrev_b32_e32 v24, 1, v0
	s_delay_alu instid0(VALU_DEP_3) | instskip(NEXT) | instid1(VALU_DEP_1)
	v_lshl_add_u32 v1, s13, 1, v1
	v_mul_hi_u32 v2, s4, v1
	s_waitcnt lgkmcnt(0)
	s_mul_i32 s3, s33, s10
	s_mul_i32 s4, s12, s9
	s_delay_alu instid0(VALU_DEP_1) | instskip(NEXT) | instid1(VALU_DEP_1)
	v_add_nc_u32_e32 v2, v1, v2
	v_lshrrev_b32_e32 v2, s5, v2
	s_ashr_i32 s5, s3, 31
	s_add_u32 s3, s16, s3
	s_addc_u32 s5, s17, s5
	s_ashr_i32 s10, s4, 31
	v_mul_lo_u32 v2, v2, s6
	s_add_u32 s3, s3, s4
	s_addc_u32 s4, s5, s10
	s_ashr_i32 s5, s9, 31
	s_ashr_i32 s10, s8, 31
	v_alignbit_b32 v6, s5, s9, 2
	v_alignbit_b32 v8, s10, s8, 2
	s_lshr_b32 s5, s5, 2
	v_sub_nc_u32_e32 v5, v1, v2
	s_delay_alu instid0(VALU_DEP_3) | instskip(NEXT) | instid1(VALU_DEP_2)
	v_mad_u64_u32 v[2:3], null, v6, v11, 0
	v_mad_u64_u32 v[6:7], null, v8, v5, 0
	s_delay_alu instid0(VALU_DEP_2) | instskip(SKIP_1) | instid1(VALU_DEP_1)
	v_mad_u64_u32 v[8:9], null, s5, v11, v[3:4]
	s_lshr_b32 s5, s10, 2
	v_mov_b32_e32 v3, v8
	s_delay_alu instid0(VALU_DEP_3) | instskip(SKIP_1) | instid1(VALU_DEP_3)
	v_mad_u64_u32 v[9:10], null, s5, v5, v[7:8]
	v_lshlrev_b32_e32 v8, 4, v0
	v_lshlrev_b64 v[2:3], 2, v[2:3]
	s_delay_alu instid0(VALU_DEP_3) | instskip(NEXT) | instid1(VALU_DEP_2)
	v_mov_b32_e32 v7, v9
	v_add_co_u32 v2, vcc_lo, s3, v2
	s_delay_alu instid0(VALU_DEP_3) | instskip(NEXT) | instid1(VALU_DEP_3)
	v_add_co_ci_u32_e32 v3, vcc_lo, s4, v3, vcc_lo
	v_lshlrev_b64 v[6:7], 2, v[6:7]
	s_load_b32 s3, s[0:1], 0x40
	s_mov_b32 s4, exec_lo
	s_delay_alu instid0(VALU_DEP_1) | instskip(NEXT) | instid1(VALU_DEP_2)
	v_add_co_u32 v2, vcc_lo, v2, v6
	v_add_co_ci_u32_e32 v3, vcc_lo, v3, v7, vcc_lo
	v_mul_u32_u24_e32 v6, 0x120, v4
	s_delay_alu instid0(VALU_DEP_3) | instskip(NEXT) | instid1(VALU_DEP_3)
	v_add_co_u32 v2, vcc_lo, v2, v8
	v_add_co_ci_u32_e32 v3, vcc_lo, 0, v3, vcc_lo
	s_clause 0x3
	global_load_b128 v[7:10], v[2:3], off
	global_load_b128 v[12:15], v[2:3], off offset:512
	global_load_b128 v[16:19], v[2:3], off offset:1024
	;; [unrolled: 1-line block ×3, first 2 shown]
	v_add_lshl_u32 v6, v24, v6, 2
	s_waitcnt vmcnt(3) lgkmcnt(0)
	v_fma_mixlo_f16 v24, v7, s3, 0
	v_fma_mixlo_f16 v25, v9, s3, 0
	s_waitcnt vmcnt(2)
	v_fma_mixlo_f16 v26, v12, s3, 0
	v_fma_mixlo_f16 v27, v14, s3, 0
	s_waitcnt vmcnt(1)
	;; [unrolled: 3-line block ×3, first 2 shown]
	v_fma_mixlo_f16 v30, v20, s3, 0
	v_fma_mixlo_f16 v31, v22, s3, 0
	v_fma_mixhi_f16 v25, v10, s3, 0
	v_fma_mixhi_f16 v24, v8, s3, 0
	v_fma_mixhi_f16 v27, v15, s3, 0
	v_fma_mixhi_f16 v26, v13, s3, 0
	v_fma_mixhi_f16 v29, v19, s3, 0
	v_fma_mixhi_f16 v28, v17, s3, 0
	v_fma_mixhi_f16 v31, v23, s3, 0
	v_fma_mixhi_f16 v30, v21, s3, 0
	ds_store_2addr_b64 v6, v[24:25], v[26:27] offset1:32
	ds_store_2addr_b64 v6, v[28:29], v[30:31] offset0:64 offset1:96
	v_cmpx_gt_u32_e32 16, v0
	s_cbranch_execz .LBB27_4
; %bb.3:
	global_load_b128 v[7:10], v[2:3], off offset:2048
	s_waitcnt vmcnt(0)
	v_fma_mixlo_f16 v3, v9, s3, 0
	v_fma_mixlo_f16 v2, v7, s3, 0
	s_delay_alu instid0(VALU_DEP_2) | instskip(NEXT) | instid1(VALU_DEP_2)
	v_fma_mixhi_f16 v3, v10, s3, 0
	v_fma_mixhi_f16 v2, v8, s3, 0
	ds_store_b64 v6, v[2:3] offset:1024
.LBB27_4:
	s_or_b32 exec_lo, exec_lo, s4
	s_cmp_eq_u64 s[26:27], 0
	s_waitcnt lgkmcnt(0)
	s_barrier
	buffer_gl0_inv
	s_cbranch_scc1 .LBB27_6
; %bb.5:
	s_load_b32 s2, s[0:1], 0xd0
	s_mov_b32 s3, 0
	s_waitcnt lgkmcnt(0)
	s_mul_i32 s2, s2, s33
	s_delay_alu instid0(SALU_CYCLE_1) | instskip(NEXT) | instid1(SALU_CYCLE_1)
	s_add_i32 s2, s2, s13
	s_lshl_b64 s[2:3], s[2:3], 2
	s_delay_alu instid0(SALU_CYCLE_1)
	s_add_u32 s2, s26, s2
	s_addc_u32 s3, s27, s3
	s_load_b32 s2, s[2:3], 0x0
.LBB27_6:
	v_lshlrev_b32_e32 v12, 2, v0
	v_mbcnt_lo_u32_b32 v13, -1, 0
	s_lshl_b32 s3, s14, 6
	s_waitcnt lgkmcnt(0)
	s_cmp_lt_i32 s3, s2
	s_cbranch_scc1 .LBB27_8
; %bb.7:
	v_mbcnt_lo_u32_b32 v3, -1, 0
	v_mov_b32_e32 v2, 32
	s_mov_b32 s4, 0
	s_mov_b32 s5, 0xfeffffff
	s_delay_alu instid0(VALU_DEP_2)
	v_xor_b32_e32 v8, 16, v3
	v_xor_b32_e32 v9, 8, v3
	;; [unrolled: 1-line block ×5, first 2 shown]
	s_branch .LBB27_9
.LBB27_8:
	s_mov_b32 s4, -1
                                        ; implicit-def: $sgpr5
                                        ; implicit-def: $vgpr3
                                        ; implicit-def: $vgpr2
                                        ; implicit-def: $vgpr8
                                        ; implicit-def: $vgpr9
                                        ; implicit-def: $vgpr10
                                        ; implicit-def: $vgpr36
                                        ; implicit-def: $vgpr37
.LBB27_9:
	s_delay_alu instid0(SALU_CYCLE_1) | instskip(SKIP_2) | instid1(VALU_DEP_3)
	v_cndmask_b32_e64 v6, 0, 1, s4
	v_dual_mov_b32 v32, s4 :: v_dual_mov_b32 v7, s5
	v_dual_mov_b32 v41, s4 :: v_dual_mov_b32 v34, s4
	v_cmp_ne_u32_e32 vcc_lo, 1, v6
	v_dual_mov_b32 v31, s4 :: v_dual_mov_b32 v30, s4
	v_dual_mov_b32 v33, s4 :: v_dual_mov_b32 v28, s4
	v_mov_b32_e32 v29, s4
	v_mov_b32_e32 v27, s4
	s_cbranch_vccnz .LBB27_22
; %bb.10:
	s_clause 0x1
	s_load_b64 s[4:5], s[0:1], 0x8c
	s_load_b128 s[8:11], s[0:1], 0x98
	s_sub_i32 s13, 0, s38
	s_abs_i32 s16, s12
	s_mul_i32 s13, s13, s39
	s_ashr_i32 s36, s33, 31
	s_mul_hi_u32 s13, s39, s13
	s_ashr_i32 s17, s12, 31
	s_add_i32 s39, s39, s13
	s_ashr_i32 s15, s15, 31
	s_mul_hi_u32 s27, s16, s39
	s_ashr_i32 s26, s37, 1
	s_load_b64 s[22:23], s[0:1], 0xa8
	s_mul_i32 s37, s27, s38
	v_lshrrev_b32_e32 v2, 3, v0
	v_dual_mov_b32 v27, 0 :: v_dual_and_b32 v10, 28, v12
	v_dual_mov_b32 v28, 0 :: v_dual_lshlrev_b32 v23, 2, v12
	v_mov_b32_e32 v34, 0
	s_waitcnt lgkmcnt(0)
	s_ashr_i32 s13, s4, 2
	s_mul_i32 s4, s33, s9
	s_mul_hi_u32 s9, s33, s8
	s_mul_i32 s39, s36, s8
	s_add_i32 s4, s9, s4
	s_mul_i32 s8, s33, s8
	s_ashr_i32 s10, s10, 2
	s_add_i32 s4, s4, s39
	s_add_u32 s8, s18, s8
	s_addc_u32 s4, s19, s4
	s_sub_i32 s16, s16, s37
	s_xor_b32 s9, s17, s15
	s_add_i32 s17, s27, 1
	s_sub_i32 s18, s16, s38
	s_cmp_ge_u32 s16, s38
	v_lshl_add_u32 v2, v4, 2, v2
	v_lshlrev_b32_e32 v3, 2, v10
	s_cselect_b32 s17, s17, s27
	s_cselect_b32 s16, s18, s16
	s_add_i32 s18, s17, 1
	s_cmp_ge_u32 s16, s38
	v_mul_lo_u32 v6, s13, v2
	v_mad_u32_u24 v3, 0x90, v2, v3
	v_mul_lo_u32 v2, s10, v4
	s_cselect_b32 s16, s18, s17
	s_load_b32 s15, s[0:1], 0x54
	s_xor_b32 s16, s16, s9
	v_dual_mov_b32 v29, 0 :: v_dual_add_nc_u32 v14, 0x2400, v3
	s_sub_i32 s9, s16, s9
	v_dual_mov_b32 v30, 0 :: v_dual_add_nc_u32 v15, 0x3600, v3
	s_mul_i32 s5, s9, s5
	v_ashrrev_i32_e32 v3, 31, v2
	s_mul_i32 s18, s33, s23
	s_mul_hi_u32 s19, s33, s22
	s_ashr_i32 s17, s5, 31
	s_add_u32 s16, s8, s5
	s_mul_i32 s36, s36, s22
	s_addc_u32 s17, s4, s17
	s_add_i32 s4, s19, s18
	s_mul_i32 s5, s33, s22
	v_lshlrev_b64 v[21:22], 2, v[2:3]
	s_add_i32 s4, s4, s36
	s_mul_i32 s9, s9, s11
	s_add_u32 s5, s20, s5
	s_addc_u32 s4, s21, s4
	s_ashr_i32 s8, s9, 31
	v_lshl_add_u32 v8, s13, 5, v6
	s_add_u32 s5, s5, s9
	v_mad_u64_u32 v[2:3], null, v5, s26, v[0:1]
	s_addc_u32 s4, s4, s8
	v_add_co_u32 v3, vcc_lo, s5, v21
	v_ashrrev_i32_e32 v7, 31, v6
	v_ashrrev_i32_e32 v9, 31, v8
	v_mul_u32_u24_e32 v16, 0x480, v4
	v_lshl_add_u32 v18, v4, 7, 0x4800
	v_lshl_add_u32 v4, v4, 10, v23
	v_add_co_ci_u32_e32 v5, vcc_lo, s4, v22, vcc_lo
	v_add_co_u32 v23, vcc_lo, v3, v23
	s_delay_alu instid0(VALU_DEP_3) | instskip(SKIP_1) | instid1(VALU_DEP_4)
	v_dual_mov_b32 v33, 0 :: v_dual_add_nc_u32 v20, 0x2400, v4
	v_dual_mov_b32 v32, 0 :: v_dual_add_nc_u32 v21, 0x2600, v4
	v_add_co_ci_u32_e32 v24, vcc_lo, 0, v5, vcc_lo
	v_lshlrev_b64 v[3:4], 2, v[6:7]
	v_lshlrev_b64 v[5:6], 2, v[8:9]
	v_mul_u32_u24_e32 v17, 0x90, v0
	v_lshl_add_u32 v19, v0, 1, v18
	v_lshl_add_u32 v22, v0, 3, 0x2400
	v_dual_mov_b32 v35, 0xfeffffff :: v_dual_mov_b32 v26, 0
	v_lshlrev_b32_e32 v25, 2, v10
	v_mov_b32_e32 v31, 0
	s_add_u32 s4, s0, 0xd0
	s_addc_u32 s5, s1, 0
	s_mov_b32 s11, 0xbbbac73d
.LBB27_11:                              ; =>This Inner Loop Header: Depth=1
	s_mul_hi_i32 s9, s3, s13
	s_mul_i32 s8, s3, s13
	s_delay_alu instid0(SALU_CYCLE_1) | instskip(NEXT) | instid1(SALU_CYCLE_1)
	s_lshl_b64 s[8:9], s[8:9], 2
	s_add_u32 s8, s16, s8
	s_addc_u32 s9, s17, s9
	v_add_co_u32 v7, vcc_lo, s8, v3
	v_add_co_ci_u32_e32 v8, vcc_lo, s9, v4, vcc_lo
	v_add_co_u32 v9, vcc_lo, s8, v5
	v_add_co_ci_u32_e32 v10, vcc_lo, s9, v6, vcc_lo
	s_delay_alu instid0(VALU_DEP_4) | instskip(NEXT) | instid1(VALU_DEP_4)
	v_add_co_u32 v7, vcc_lo, v7, v25
	v_add_co_ci_u32_e32 v8, vcc_lo, 0, v8, vcc_lo
	s_delay_alu instid0(VALU_DEP_4) | instskip(NEXT) | instid1(VALU_DEP_4)
	v_add_co_u32 v9, vcc_lo, v9, v25
	v_add_co_ci_u32_e32 v10, vcc_lo, 0, v10, vcc_lo
	s_clause 0x1
	global_load_b128 v[36:39], v[7:8], off
	global_load_b128 v[40:43], v[9:10], off
	s_waitcnt vmcnt(1)
	ds_store_b128 v14, v[36:39]
	s_waitcnt vmcnt(0)
	ds_store_b128 v15, v[40:43]
	s_waitcnt lgkmcnt(0)
	s_barrier
	buffer_gl0_inv
	ds_load_b128 v[38:41], v17 offset:9216
	ds_load_b128 v[42:45], v16
	ds_load_b128 v[46:49], v17 offset:13824
	v_dual_mov_b32 v36, 0 :: v_dual_mov_b32 v37, 0
	s_waitcnt lgkmcnt(1)
	;;#ASMSTART
	v_dot2_f32_f16 v36, v38, v42, v36
	;;#ASMEND
	;;#ASMSTART
	v_dot2_f32_f16 v36, v39, v43, v36
	;;#ASMEND
	;;#ASMSTART
	v_dot2_f32_f16 v36, v40, v44, v36
	;;#ASMEND
	;;#ASMSTART
	v_dot2_f32_f16 v36, v41, v45, v36
	;;#ASMEND
	s_waitcnt lgkmcnt(0)
	;;#ASMSTART
	v_dot2_f32_f16 v37, v46, v42, v37
	;;#ASMEND
	;;#ASMSTART
	v_dot2_f32_f16 v37, v47, v43, v37
	;;#ASMEND
	;;#ASMSTART
	v_dot2_f32_f16 v37, v48, v44, v37
	;;#ASMEND
	;;#ASMSTART
	v_dot2_f32_f16 v37, v49, v45, v37
	;;#ASMEND
	ds_load_b128 v[38:41], v17 offset:9232
	ds_load_b128 v[42:45], v16 offset:16
	ds_load_b128 v[46:49], v17 offset:13840
	s_waitcnt lgkmcnt(1)
	;;#ASMSTART
	v_dot2_f32_f16 v36, v38, v42, v36
	;;#ASMEND
	;;#ASMSTART
	v_dot2_f32_f16 v36, v39, v43, v36
	;;#ASMEND
	;;#ASMSTART
	v_dot2_f32_f16 v36, v40, v44, v36
	;;#ASMEND
	;;#ASMSTART
	v_dot2_f32_f16 v36, v41, v45, v36
	;;#ASMEND
	s_waitcnt lgkmcnt(0)
	;;#ASMSTART
	v_dot2_f32_f16 v37, v46, v42, v37
	;;#ASMEND
	;;#ASMSTART
	v_dot2_f32_f16 v37, v47, v43, v37
	;;#ASMEND
	;;#ASMSTART
	v_dot2_f32_f16 v37, v48, v44, v37
	;;#ASMEND
	;;#ASMSTART
	v_dot2_f32_f16 v37, v49, v45, v37
	;;#ASMEND
	ds_load_b128 v[38:41], v17 offset:9248
	ds_load_b128 v[42:45], v16 offset:32
	ds_load_b128 v[46:49], v17 offset:13856
	;; [unrolled: 29-line block ×7, first 2 shown]
	s_waitcnt lgkmcnt(1)
	;;#ASMSTART
	v_dot2_f32_f16 v36, v38, v42, v36
	;;#ASMEND
	;;#ASMSTART
	v_dot2_f32_f16 v36, v39, v43, v36
	;;#ASMEND
	;; [unrolled: 3-line block ×4, first 2 shown]
	s_waitcnt lgkmcnt(0)
	;;#ASMSTART
	v_dot2_f32_f16 v37, v46, v42, v37
	;;#ASMEND
	;;#ASMSTART
	v_dot2_f32_f16 v37, v47, v43, v37
	;;#ASMEND
	;; [unrolled: 3-line block ×4, first 2 shown]
	s_barrier
	buffer_gl0_inv
	s_clause 0x1
	global_load_b128 v[38:41], v[7:8], off offset:128
	global_load_b128 v[42:45], v[9:10], off offset:128
	s_waitcnt vmcnt(1)
	ds_store_b128 v14, v[38:41]
	s_waitcnt vmcnt(0)
	ds_store_b128 v15, v[42:45]
	s_waitcnt lgkmcnt(0)
	s_barrier
	buffer_gl0_inv
	ds_load_b128 v[38:41], v17 offset:9216
	ds_load_b128 v[42:45], v16 offset:128
	ds_load_b128 v[46:49], v17 offset:13824
	s_waitcnt lgkmcnt(1)
	;;#ASMSTART
	v_dot2_f32_f16 v36, v38, v42, v36
	;;#ASMEND
	;;#ASMSTART
	v_dot2_f32_f16 v36, v39, v43, v36
	;;#ASMEND
	;;#ASMSTART
	v_dot2_f32_f16 v36, v40, v44, v36
	;;#ASMEND
	;;#ASMSTART
	v_dot2_f32_f16 v36, v41, v45, v36
	;;#ASMEND
	s_waitcnt lgkmcnt(0)
	;;#ASMSTART
	v_dot2_f32_f16 v37, v46, v42, v37
	;;#ASMEND
	;;#ASMSTART
	v_dot2_f32_f16 v37, v47, v43, v37
	;;#ASMEND
	;;#ASMSTART
	v_dot2_f32_f16 v37, v48, v44, v37
	;;#ASMEND
	;;#ASMSTART
	v_dot2_f32_f16 v37, v49, v45, v37
	;;#ASMEND
	ds_load_b128 v[38:41], v17 offset:9232
	ds_load_b128 v[42:45], v16 offset:144
	ds_load_b128 v[46:49], v17 offset:13840
	s_waitcnt lgkmcnt(1)
	;;#ASMSTART
	v_dot2_f32_f16 v36, v38, v42, v36
	;;#ASMEND
	;;#ASMSTART
	v_dot2_f32_f16 v36, v39, v43, v36
	;;#ASMEND
	;;#ASMSTART
	v_dot2_f32_f16 v36, v40, v44, v36
	;;#ASMEND
	;;#ASMSTART
	v_dot2_f32_f16 v36, v41, v45, v36
	;;#ASMEND
	s_waitcnt lgkmcnt(0)
	;;#ASMSTART
	v_dot2_f32_f16 v37, v46, v42, v37
	;;#ASMEND
	;;#ASMSTART
	v_dot2_f32_f16 v37, v47, v43, v37
	;;#ASMEND
	;;#ASMSTART
	v_dot2_f32_f16 v37, v48, v44, v37
	;;#ASMEND
	;;#ASMSTART
	v_dot2_f32_f16 v37, v49, v45, v37
	;;#ASMEND
	;; [unrolled: 29-line block ×8, first 2 shown]
	s_barrier
	buffer_gl0_inv
	s_clause 0x1
	global_load_b128 v[38:41], v[7:8], off offset:256
	global_load_b128 v[42:45], v[9:10], off offset:256
	s_waitcnt vmcnt(1)
	ds_store_b128 v14, v[38:41]
	s_waitcnt vmcnt(0)
	ds_store_b128 v15, v[42:45]
	s_waitcnt lgkmcnt(0)
	s_barrier
	buffer_gl0_inv
	ds_load_b128 v[38:41], v17 offset:9216
	ds_load_b128 v[42:45], v16 offset:256
	ds_load_b128 v[46:49], v17 offset:13824
	s_waitcnt lgkmcnt(1)
	;;#ASMSTART
	v_dot2_f32_f16 v36, v38, v42, v36
	;;#ASMEND
	;;#ASMSTART
	v_dot2_f32_f16 v36, v39, v43, v36
	;;#ASMEND
	;;#ASMSTART
	v_dot2_f32_f16 v36, v40, v44, v36
	;;#ASMEND
	;;#ASMSTART
	v_dot2_f32_f16 v36, v41, v45, v36
	;;#ASMEND
	s_waitcnt lgkmcnt(0)
	;;#ASMSTART
	v_dot2_f32_f16 v37, v46, v42, v37
	;;#ASMEND
	;;#ASMSTART
	v_dot2_f32_f16 v37, v47, v43, v37
	;;#ASMEND
	;;#ASMSTART
	v_dot2_f32_f16 v37, v48, v44, v37
	;;#ASMEND
	;;#ASMSTART
	v_dot2_f32_f16 v37, v49, v45, v37
	;;#ASMEND
	ds_load_b128 v[38:41], v17 offset:9232
	ds_load_b128 v[42:45], v16 offset:272
	ds_load_b128 v[46:49], v17 offset:13840
	s_waitcnt lgkmcnt(1)
	;;#ASMSTART
	v_dot2_f32_f16 v36, v38, v42, v36
	;;#ASMEND
	;;#ASMSTART
	v_dot2_f32_f16 v36, v39, v43, v36
	;;#ASMEND
	;;#ASMSTART
	v_dot2_f32_f16 v36, v40, v44, v36
	;;#ASMEND
	;;#ASMSTART
	v_dot2_f32_f16 v36, v41, v45, v36
	;;#ASMEND
	s_waitcnt lgkmcnt(0)
	;;#ASMSTART
	v_dot2_f32_f16 v37, v46, v42, v37
	;;#ASMEND
	;;#ASMSTART
	v_dot2_f32_f16 v37, v47, v43, v37
	;;#ASMEND
	;;#ASMSTART
	v_dot2_f32_f16 v37, v48, v44, v37
	;;#ASMEND
	;;#ASMSTART
	v_dot2_f32_f16 v37, v49, v45, v37
	;;#ASMEND
	;; [unrolled: 29-line block ×8, first 2 shown]
	s_barrier
	buffer_gl0_inv
	s_clause 0x1
	global_load_b128 v[38:41], v[7:8], off offset:384
	global_load_b128 v[42:45], v[9:10], off offset:384
	s_waitcnt vmcnt(1)
	ds_store_b128 v14, v[38:41]
	s_waitcnt vmcnt(0)
	ds_store_b128 v15, v[42:45]
	s_waitcnt lgkmcnt(0)
	s_barrier
	buffer_gl0_inv
	ds_load_b128 v[38:41], v17 offset:9216
	ds_load_b128 v[42:45], v16 offset:384
	ds_load_b128 v[46:49], v17 offset:13824
	s_waitcnt lgkmcnt(1)
	;;#ASMSTART
	v_dot2_f32_f16 v36, v38, v42, v36
	;;#ASMEND
	;;#ASMSTART
	v_dot2_f32_f16 v36, v39, v43, v36
	;;#ASMEND
	;;#ASMSTART
	v_dot2_f32_f16 v36, v40, v44, v36
	;;#ASMEND
	;;#ASMSTART
	v_dot2_f32_f16 v36, v41, v45, v36
	;;#ASMEND
	s_waitcnt lgkmcnt(0)
	;;#ASMSTART
	v_dot2_f32_f16 v37, v46, v42, v37
	;;#ASMEND
	;;#ASMSTART
	v_dot2_f32_f16 v37, v47, v43, v37
	;;#ASMEND
	;;#ASMSTART
	v_dot2_f32_f16 v37, v48, v44, v37
	;;#ASMEND
	;;#ASMSTART
	v_dot2_f32_f16 v37, v49, v45, v37
	;;#ASMEND
	ds_load_b128 v[38:41], v17 offset:9232
	ds_load_b128 v[42:45], v16 offset:400
	ds_load_b128 v[46:49], v17 offset:13840
	s_waitcnt lgkmcnt(1)
	;;#ASMSTART
	v_dot2_f32_f16 v36, v38, v42, v36
	;;#ASMEND
	;;#ASMSTART
	v_dot2_f32_f16 v36, v39, v43, v36
	;;#ASMEND
	;;#ASMSTART
	v_dot2_f32_f16 v36, v40, v44, v36
	;;#ASMEND
	;;#ASMSTART
	v_dot2_f32_f16 v36, v41, v45, v36
	;;#ASMEND
	s_waitcnt lgkmcnt(0)
	;;#ASMSTART
	v_dot2_f32_f16 v37, v46, v42, v37
	;;#ASMEND
	;;#ASMSTART
	v_dot2_f32_f16 v37, v47, v43, v37
	;;#ASMEND
	;;#ASMSTART
	v_dot2_f32_f16 v37, v48, v44, v37
	;;#ASMEND
	;;#ASMSTART
	v_dot2_f32_f16 v37, v49, v45, v37
	;;#ASMEND
	;; [unrolled: 29-line block ×8, first 2 shown]
	s_barrier
	buffer_gl0_inv
	s_clause 0x1
	global_load_b128 v[38:41], v[7:8], off offset:512
	global_load_b128 v[42:45], v[9:10], off offset:512
	s_waitcnt vmcnt(1)
	ds_store_b128 v14, v[38:41]
	s_waitcnt vmcnt(0)
	ds_store_b128 v15, v[42:45]
	s_waitcnt lgkmcnt(0)
	s_barrier
	buffer_gl0_inv
	ds_load_b128 v[38:41], v17 offset:9216
	ds_load_b128 v[42:45], v16 offset:512
	ds_load_b128 v[46:49], v17 offset:13824
	s_waitcnt lgkmcnt(1)
	;;#ASMSTART
	v_dot2_f32_f16 v36, v38, v42, v36
	;;#ASMEND
	;;#ASMSTART
	v_dot2_f32_f16 v36, v39, v43, v36
	;;#ASMEND
	;;#ASMSTART
	v_dot2_f32_f16 v36, v40, v44, v36
	;;#ASMEND
	;;#ASMSTART
	v_dot2_f32_f16 v36, v41, v45, v36
	;;#ASMEND
	s_waitcnt lgkmcnt(0)
	;;#ASMSTART
	v_dot2_f32_f16 v37, v46, v42, v37
	;;#ASMEND
	;;#ASMSTART
	v_dot2_f32_f16 v37, v47, v43, v37
	;;#ASMEND
	;;#ASMSTART
	v_dot2_f32_f16 v37, v48, v44, v37
	;;#ASMEND
	;;#ASMSTART
	v_dot2_f32_f16 v37, v49, v45, v37
	;;#ASMEND
	ds_load_b128 v[38:41], v17 offset:9232
	ds_load_b128 v[42:45], v16 offset:528
	ds_load_b128 v[46:49], v17 offset:13840
	s_waitcnt lgkmcnt(1)
	;;#ASMSTART
	v_dot2_f32_f16 v36, v38, v42, v36
	;;#ASMEND
	;;#ASMSTART
	v_dot2_f32_f16 v36, v39, v43, v36
	;;#ASMEND
	;;#ASMSTART
	v_dot2_f32_f16 v36, v40, v44, v36
	;;#ASMEND
	;;#ASMSTART
	v_dot2_f32_f16 v36, v41, v45, v36
	;;#ASMEND
	s_waitcnt lgkmcnt(0)
	;;#ASMSTART
	v_dot2_f32_f16 v37, v46, v42, v37
	;;#ASMEND
	;;#ASMSTART
	v_dot2_f32_f16 v37, v47, v43, v37
	;;#ASMEND
	;;#ASMSTART
	v_dot2_f32_f16 v37, v48, v44, v37
	;;#ASMEND
	;;#ASMSTART
	v_dot2_f32_f16 v37, v49, v45, v37
	;;#ASMEND
	;; [unrolled: 29-line block ×8, first 2 shown]
	s_barrier
	buffer_gl0_inv
	s_clause 0x1
	global_load_b128 v[38:41], v[7:8], off offset:640
	global_load_b128 v[42:45], v[9:10], off offset:640
	s_waitcnt vmcnt(1)
	ds_store_b128 v14, v[38:41]
	s_waitcnt vmcnt(0)
	ds_store_b128 v15, v[42:45]
	s_waitcnt lgkmcnt(0)
	s_barrier
	buffer_gl0_inv
	ds_load_b128 v[38:41], v17 offset:9216
	ds_load_b128 v[42:45], v16 offset:640
	ds_load_b128 v[46:49], v17 offset:13824
	s_waitcnt lgkmcnt(1)
	;;#ASMSTART
	v_dot2_f32_f16 v36, v38, v42, v36
	;;#ASMEND
	;;#ASMSTART
	v_dot2_f32_f16 v36, v39, v43, v36
	;;#ASMEND
	;;#ASMSTART
	v_dot2_f32_f16 v36, v40, v44, v36
	;;#ASMEND
	;;#ASMSTART
	v_dot2_f32_f16 v36, v41, v45, v36
	;;#ASMEND
	s_waitcnt lgkmcnt(0)
	;;#ASMSTART
	v_dot2_f32_f16 v37, v46, v42, v37
	;;#ASMEND
	;;#ASMSTART
	v_dot2_f32_f16 v37, v47, v43, v37
	;;#ASMEND
	;;#ASMSTART
	v_dot2_f32_f16 v37, v48, v44, v37
	;;#ASMEND
	;;#ASMSTART
	v_dot2_f32_f16 v37, v49, v45, v37
	;;#ASMEND
	ds_load_b128 v[38:41], v17 offset:9232
	ds_load_b128 v[42:45], v16 offset:656
	ds_load_b128 v[46:49], v17 offset:13840
	s_waitcnt lgkmcnt(1)
	;;#ASMSTART
	v_dot2_f32_f16 v36, v38, v42, v36
	;;#ASMEND
	;;#ASMSTART
	v_dot2_f32_f16 v36, v39, v43, v36
	;;#ASMEND
	;;#ASMSTART
	v_dot2_f32_f16 v36, v40, v44, v36
	;;#ASMEND
	;;#ASMSTART
	v_dot2_f32_f16 v36, v41, v45, v36
	;;#ASMEND
	s_waitcnt lgkmcnt(0)
	;;#ASMSTART
	v_dot2_f32_f16 v37, v46, v42, v37
	;;#ASMEND
	;;#ASMSTART
	v_dot2_f32_f16 v37, v47, v43, v37
	;;#ASMEND
	;;#ASMSTART
	v_dot2_f32_f16 v37, v48, v44, v37
	;;#ASMEND
	;;#ASMSTART
	v_dot2_f32_f16 v37, v49, v45, v37
	;;#ASMEND
	;; [unrolled: 29-line block ×8, first 2 shown]
	s_barrier
	buffer_gl0_inv
	s_clause 0x1
	global_load_b128 v[38:41], v[7:8], off offset:768
	global_load_b128 v[42:45], v[9:10], off offset:768
	s_waitcnt vmcnt(1)
	ds_store_b128 v14, v[38:41]
	s_waitcnt vmcnt(0)
	ds_store_b128 v15, v[42:45]
	s_waitcnt lgkmcnt(0)
	s_barrier
	buffer_gl0_inv
	ds_load_b128 v[38:41], v17 offset:9216
	ds_load_b128 v[42:45], v16 offset:768
	ds_load_b128 v[46:49], v17 offset:13824
	s_waitcnt lgkmcnt(1)
	;;#ASMSTART
	v_dot2_f32_f16 v36, v38, v42, v36
	;;#ASMEND
	;;#ASMSTART
	v_dot2_f32_f16 v36, v39, v43, v36
	;;#ASMEND
	;;#ASMSTART
	v_dot2_f32_f16 v36, v40, v44, v36
	;;#ASMEND
	;;#ASMSTART
	v_dot2_f32_f16 v36, v41, v45, v36
	;;#ASMEND
	s_waitcnt lgkmcnt(0)
	;;#ASMSTART
	v_dot2_f32_f16 v37, v46, v42, v37
	;;#ASMEND
	;;#ASMSTART
	v_dot2_f32_f16 v37, v47, v43, v37
	;;#ASMEND
	;;#ASMSTART
	v_dot2_f32_f16 v37, v48, v44, v37
	;;#ASMEND
	;;#ASMSTART
	v_dot2_f32_f16 v37, v49, v45, v37
	;;#ASMEND
	ds_load_b128 v[38:41], v17 offset:9232
	ds_load_b128 v[42:45], v16 offset:784
	ds_load_b128 v[46:49], v17 offset:13840
	s_waitcnt lgkmcnt(1)
	;;#ASMSTART
	v_dot2_f32_f16 v36, v38, v42, v36
	;;#ASMEND
	;;#ASMSTART
	v_dot2_f32_f16 v36, v39, v43, v36
	;;#ASMEND
	;;#ASMSTART
	v_dot2_f32_f16 v36, v40, v44, v36
	;;#ASMEND
	;;#ASMSTART
	v_dot2_f32_f16 v36, v41, v45, v36
	;;#ASMEND
	s_waitcnt lgkmcnt(0)
	;;#ASMSTART
	v_dot2_f32_f16 v37, v46, v42, v37
	;;#ASMEND
	;;#ASMSTART
	v_dot2_f32_f16 v37, v47, v43, v37
	;;#ASMEND
	;;#ASMSTART
	v_dot2_f32_f16 v37, v48, v44, v37
	;;#ASMEND
	;;#ASMSTART
	v_dot2_f32_f16 v37, v49, v45, v37
	;;#ASMEND
	;; [unrolled: 29-line block ×8, first 2 shown]
	s_barrier
	buffer_gl0_inv
	s_clause 0x1
	global_load_b128 v[38:41], v[7:8], off offset:896
	global_load_b128 v[42:45], v[9:10], off offset:896
	s_waitcnt vmcnt(1)
	ds_store_b128 v14, v[38:41]
	s_waitcnt vmcnt(0)
	ds_store_b128 v15, v[42:45]
	s_waitcnt lgkmcnt(0)
	s_barrier
	buffer_gl0_inv
	ds_load_b128 v[38:41], v17 offset:9216
	ds_load_b128 v[42:45], v16 offset:896
	ds_load_b128 v[46:49], v17 offset:13824
	s_waitcnt lgkmcnt(1)
	;;#ASMSTART
	v_dot2_f32_f16 v36, v38, v42, v36
	;;#ASMEND
	;;#ASMSTART
	v_dot2_f32_f16 v36, v39, v43, v36
	;;#ASMEND
	;;#ASMSTART
	v_dot2_f32_f16 v36, v40, v44, v36
	;;#ASMEND
	;;#ASMSTART
	v_dot2_f32_f16 v36, v41, v45, v36
	;;#ASMEND
	s_waitcnt lgkmcnt(0)
	;;#ASMSTART
	v_dot2_f32_f16 v37, v46, v42, v37
	;;#ASMEND
	;;#ASMSTART
	v_dot2_f32_f16 v37, v47, v43, v37
	;;#ASMEND
	;;#ASMSTART
	v_dot2_f32_f16 v37, v48, v44, v37
	;;#ASMEND
	;;#ASMSTART
	v_dot2_f32_f16 v37, v49, v45, v37
	;;#ASMEND
	ds_load_b128 v[38:41], v17 offset:9232
	ds_load_b128 v[42:45], v16 offset:912
	ds_load_b128 v[46:49], v17 offset:13840
	s_waitcnt lgkmcnt(1)
	;;#ASMSTART
	v_dot2_f32_f16 v36, v38, v42, v36
	;;#ASMEND
	;;#ASMSTART
	v_dot2_f32_f16 v36, v39, v43, v36
	;;#ASMEND
	;;#ASMSTART
	v_dot2_f32_f16 v36, v40, v44, v36
	;;#ASMEND
	;;#ASMSTART
	v_dot2_f32_f16 v36, v41, v45, v36
	;;#ASMEND
	s_waitcnt lgkmcnt(0)
	;;#ASMSTART
	v_dot2_f32_f16 v37, v46, v42, v37
	;;#ASMEND
	;;#ASMSTART
	v_dot2_f32_f16 v37, v47, v43, v37
	;;#ASMEND
	;;#ASMSTART
	v_dot2_f32_f16 v37, v48, v44, v37
	;;#ASMEND
	;;#ASMSTART
	v_dot2_f32_f16 v37, v49, v45, v37
	;;#ASMEND
	;; [unrolled: 29-line block ×8, first 2 shown]
	s_barrier
	buffer_gl0_inv
	s_clause 0x1
	global_load_b128 v[38:41], v[7:8], off offset:1024
	global_load_b128 v[7:10], v[9:10], off offset:1024
	s_waitcnt vmcnt(1)
	ds_store_b128 v14, v[38:41]
	s_waitcnt vmcnt(0)
	ds_store_b128 v15, v[7:10]
	s_waitcnt lgkmcnt(0)
	s_barrier
	buffer_gl0_inv
	ds_load_b128 v[7:10], v17 offset:9216
	ds_load_b128 v[38:41], v16 offset:1024
	ds_load_b128 v[42:45], v17 offset:13824
	s_waitcnt lgkmcnt(1)
	;;#ASMSTART
	v_dot2_f32_f16 v36, v7, v38, v36
	;;#ASMEND
	;;#ASMSTART
	v_dot2_f32_f16 v36, v8, v39, v36
	;;#ASMEND
	;;#ASMSTART
	v_dot2_f32_f16 v36, v9, v40, v36
	;;#ASMEND
	;;#ASMSTART
	v_dot2_f32_f16 v36, v10, v41, v36
	;;#ASMEND
	s_waitcnt lgkmcnt(0)
	;;#ASMSTART
	v_dot2_f32_f16 v37, v42, v38, v37
	;;#ASMEND
	;;#ASMSTART
	v_dot2_f32_f16 v37, v43, v39, v37
	;;#ASMEND
	;;#ASMSTART
	v_dot2_f32_f16 v37, v44, v40, v37
	;;#ASMEND
	;;#ASMSTART
	v_dot2_f32_f16 v37, v45, v41, v37
	;;#ASMEND
	ds_load_b128 v[7:10], v17 offset:9232
	ds_load_b128 v[38:41], v16 offset:1040
	ds_load_b128 v[42:45], v17 offset:13840
	s_waitcnt lgkmcnt(1)
	;;#ASMSTART
	v_dot2_f32_f16 v36, v7, v38, v36
	;;#ASMEND
	;;#ASMSTART
	v_dot2_f32_f16 v36, v8, v39, v36
	;;#ASMEND
	;;#ASMSTART
	v_dot2_f32_f16 v36, v9, v40, v36
	;;#ASMEND
	;;#ASMSTART
	v_dot2_f32_f16 v36, v10, v41, v36
	;;#ASMEND
	s_waitcnt lgkmcnt(0)
	;;#ASMSTART
	v_dot2_f32_f16 v37, v42, v38, v37
	;;#ASMEND
	;;#ASMSTART
	v_dot2_f32_f16 v37, v43, v39, v37
	;;#ASMEND
	;;#ASMSTART
	v_dot2_f32_f16 v37, v44, v40, v37
	;;#ASMEND
	;;#ASMSTART
	v_dot2_f32_f16 v37, v45, v41, v37
	;;#ASMEND
	;; [unrolled: 29-line block ×7, first 2 shown]
	ds_load_b128 v[7:10], v17 offset:9328
	ds_load_b128 v[38:41], v16 offset:1136
	;; [unrolled: 1-line block ×3, first 2 shown]
	s_waitcnt lgkmcnt(1)
	;;#ASMSTART
	v_dot2_f32_f16 v36, v7, v38, v36
	;;#ASMEND
	;;#ASMSTART
	v_dot2_f32_f16 v36, v8, v39, v36
	;;#ASMEND
	;; [unrolled: 3-line block ×4, first 2 shown]
	v_cmp_ngt_f32_e64 s8, 0x3f200000, |v36|
	s_waitcnt lgkmcnt(0)
	;;#ASMSTART
	v_dot2_f32_f16 v37, v42, v38, v37
	;;#ASMEND
	;;#ASMSTART
	v_dot2_f32_f16 v37, v43, v39, v37
	;;#ASMEND
	;; [unrolled: 3-line block ×4, first 2 shown]
                                        ; implicit-def: $vgpr9
	s_and_saveexec_b32 s9, s8
	s_delay_alu instid0(SALU_CYCLE_1)
	s_xor_b32 s8, exec_lo, s9
	s_cbranch_execz .LBB27_13
; %bb.12:                               ;   in Loop: Header=BB27_11 Depth=1
	v_add_f32_e64 v7, |v36|, |v36|
	s_delay_alu instid0(VALU_DEP_1) | instskip(SKIP_1) | instid1(VALU_DEP_2)
	v_mul_f32_e32 v8, 0x3fb8aa3b, v7
	v_cmp_ngt_f32_e32 vcc_lo, 0xc2ce8ed0, v7
	v_rndne_f32_e32 v9, v8
	v_fma_f32 v10, 0x3fb8aa3b, v7, -v8
	s_delay_alu instid0(VALU_DEP_2) | instskip(NEXT) | instid1(VALU_DEP_2)
	v_sub_f32_e32 v8, v8, v9
	v_fmac_f32_e32 v10, 0x32a5705f, v7
	v_cvt_i32_f32_e32 v9, v9
	s_delay_alu instid0(VALU_DEP_2) | instskip(NEXT) | instid1(VALU_DEP_1)
	v_add_f32_e32 v8, v8, v10
	v_exp_f32_e32 v8, v8
	s_waitcnt_depctr 0xfff
	v_ldexp_f32 v8, v8, v9
	s_delay_alu instid0(VALU_DEP_1) | instskip(SKIP_1) | instid1(VALU_DEP_2)
	v_cndmask_b32_e32 v8, 0, v8, vcc_lo
	v_cmp_nlt_f32_e32 vcc_lo, 0x42b17218, v7
	v_cndmask_b32_e32 v7, 0x7f800000, v8, vcc_lo
	s_delay_alu instid0(VALU_DEP_1) | instskip(NEXT) | instid1(VALU_DEP_1)
	v_add_f32_e32 v7, 1.0, v7
	v_rcp_f32_e32 v7, v7
	s_waitcnt_depctr 0xfff
	v_fma_f32 v9, v7, -2.0, 1.0
.LBB27_13:                              ;   in Loop: Header=BB27_11 Depth=1
	s_and_not1_saveexec_b32 s8, s8
; %bb.14:                               ;   in Loop: Header=BB27_11 Depth=1
	v_mul_f32_e32 v7, v36, v36
	s_delay_alu instid0(VALU_DEP_1) | instskip(NEXT) | instid1(VALU_DEP_1)
	v_fmaak_f32 v8, s11, v7, 0x3ca908c9
	v_fmaak_f32 v8, v7, v8, 0xbd5c1c4e
	s_delay_alu instid0(VALU_DEP_1) | instskip(NEXT) | instid1(VALU_DEP_1)
	v_fmaak_f32 v8, v7, v8, 0x3e088382
	v_fmaak_f32 v8, v7, v8, 0xbeaaaa99
	s_delay_alu instid0(VALU_DEP_1) | instskip(NEXT) | instid1(VALU_DEP_1)
	v_mul_f32_e64 v8, |v36|, v8
	v_fma_f32 v9, v7, v8, |v36|
; %bb.15:                               ;   in Loop: Header=BB27_11 Depth=1
	s_or_b32 exec_lo, exec_lo, s8
	v_add_nc_u32_e32 v7, s3, v2
	v_cmp_ngt_f32_e64 s8, 0x3f200000, |v37|
                                        ; implicit-def: $vgpr38
	s_delay_alu instid0(VALU_DEP_2) | instskip(NEXT) | instid1(VALU_DEP_1)
	v_ashrrev_i32_e32 v8, 31, v7
	v_lshlrev_b64 v[7:8], 1, v[7:8]
	s_delay_alu instid0(VALU_DEP_1) | instskip(NEXT) | instid1(VALU_DEP_2)
	v_add_co_u32 v7, vcc_lo, s34, v7
	v_add_co_ci_u32_e32 v8, vcc_lo, s35, v8, vcc_lo
	flat_load_u16 v10, v[7:8]
	s_and_saveexec_b32 s9, s8
	s_delay_alu instid0(SALU_CYCLE_1)
	s_xor_b32 s8, exec_lo, s9
	s_cbranch_execz .LBB27_17
; %bb.16:                               ;   in Loop: Header=BB27_11 Depth=1
	v_add_f32_e64 v38, |v37|, |v37|
	s_delay_alu instid0(VALU_DEP_1) | instskip(SKIP_1) | instid1(VALU_DEP_2)
	v_mul_f32_e32 v39, 0x3fb8aa3b, v38
	v_cmp_ngt_f32_e32 vcc_lo, 0xc2ce8ed0, v38
	v_rndne_f32_e32 v40, v39
	v_fma_f32 v41, 0x3fb8aa3b, v38, -v39
	s_delay_alu instid0(VALU_DEP_2) | instskip(NEXT) | instid1(VALU_DEP_2)
	v_sub_f32_e32 v39, v39, v40
	v_fmac_f32_e32 v41, 0x32a5705f, v38
	v_cvt_i32_f32_e32 v40, v40
	s_delay_alu instid0(VALU_DEP_2) | instskip(NEXT) | instid1(VALU_DEP_1)
	v_add_f32_e32 v39, v39, v41
	v_exp_f32_e32 v39, v39
	s_waitcnt_depctr 0xfff
	v_ldexp_f32 v39, v39, v40
	s_delay_alu instid0(VALU_DEP_1) | instskip(SKIP_1) | instid1(VALU_DEP_2)
	v_cndmask_b32_e32 v39, 0, v39, vcc_lo
	v_cmp_nlt_f32_e32 vcc_lo, 0x42b17218, v38
	v_cndmask_b32_e32 v38, 0x7f800000, v39, vcc_lo
	s_delay_alu instid0(VALU_DEP_1) | instskip(NEXT) | instid1(VALU_DEP_1)
	v_add_f32_e32 v38, 1.0, v38
	v_rcp_f32_e32 v38, v38
	s_waitcnt_depctr 0xfff
	v_fma_f32 v38, v38, -2.0, 1.0
.LBB27_17:                              ;   in Loop: Header=BB27_11 Depth=1
	s_and_not1_saveexec_b32 s8, s8
; %bb.18:                               ;   in Loop: Header=BB27_11 Depth=1
	v_mul_f32_e32 v38, v37, v37
	s_delay_alu instid0(VALU_DEP_1) | instskip(NEXT) | instid1(VALU_DEP_1)
	v_fmaak_f32 v39, s11, v38, 0x3ca908c9
	v_fmaak_f32 v39, v38, v39, 0xbd5c1c4e
	s_delay_alu instid0(VALU_DEP_1) | instskip(NEXT) | instid1(VALU_DEP_1)
	v_fmaak_f32 v39, v38, v39, 0x3e088382
	v_fmaak_f32 v39, v38, v39, 0xbeaaaa99
	s_delay_alu instid0(VALU_DEP_1) | instskip(NEXT) | instid1(VALU_DEP_1)
	v_mul_f32_e64 v39, |v37|, v39
	v_fma_f32 v38, v38, v39, |v37|
; %bb.19:                               ;   in Loop: Header=BB27_11 Depth=1
	s_or_b32 exec_lo, exec_lo, s8
	flat_load_u16 v39, v[7:8] offset:64
	s_mul_hi_i32 s9, s3, s10
	s_mul_i32 s8, s3, s10
	s_waitcnt vmcnt(0) lgkmcnt(0)
	s_lshl_b64 s[8:9], s[8:9], 2
	s_barrier
	v_add_co_u32 v7, vcc_lo, v23, s8
	v_add_co_ci_u32_e32 v8, vcc_lo, s9, v24, vcc_lo
	buffer_gl0_inv
	s_clause 0x1
	global_load_b128 v[43:46], v[7:8], off
	global_load_b128 v[47:50], v[7:8], off offset:512
	v_bfi_b32 v7, 0x7fffffff, v9, v36
	v_bfi_b32 v9, 0x7fffffff, v38, v37
	v_xor_b32_e32 v8, 16, v13
	s_or_b32 s8, s3, 8
	s_delay_alu instid0(VALU_DEP_3) | instskip(SKIP_1) | instid1(VALU_DEP_2)
	v_fma_mix_f32 v38, v7, s15, v10 op_sel_hi:[0,0,1]
	s_mul_hi_i32 s9, s8, s10
	v_cmp_gt_i32_e32 vcc_lo, 32, v8
	s_mul_i32 s8, s8, s10
	s_delay_alu instid0(SALU_CYCLE_1) | instskip(SKIP_2) | instid1(VALU_DEP_2)
	s_lshl_b64 s[8:9], s[8:9], 2
	v_fma_mix_f32 v39, v9, s15, v39 op_sel_hi:[0,0,1]
	v_cndmask_b32_e32 v7, v13, v8, vcc_lo
	v_dual_add_f32 v9, 0x40051340, v38 :: v_dual_add_f32 v10, 0x40051340, v39
	s_delay_alu instid0(VALU_DEP_1) | instskip(SKIP_1) | instid1(VALU_DEP_1)
	v_max3_f32 v10, v35, v9, v10
	v_xor_b32_e32 v9, 8, v13
	v_cmp_gt_i32_e32 vcc_lo, 32, v9
	v_dual_cndmask_b32 v36, v13, v9 :: v_dual_lshlrev_b32 v7, 2, v7
	ds_bpermute_b32 v7, v7, v10
	s_waitcnt lgkmcnt(0)
	v_dual_max_f32 v7, v7, v7 :: v_dual_lshlrev_b32 v36, 2, v36
	s_delay_alu instid0(VALU_DEP_1)
	v_max_f32_e32 v7, v10, v7
	v_xor_b32_e32 v10, 4, v13
	ds_bpermute_b32 v36, v36, v7
	v_cmp_gt_i32_e32 vcc_lo, 32, v10
	s_waitcnt lgkmcnt(0)
	v_dual_cndmask_b32 v37, v13, v10 :: v_dual_max_f32 v36, v36, v36
	s_delay_alu instid0(VALU_DEP_1) | instskip(SKIP_1) | instid1(VALU_DEP_1)
	v_max_f32_e32 v7, v7, v36
	v_xor_b32_e32 v36, 2, v13
	v_cmp_gt_i32_e32 vcc_lo, 32, v36
	v_cndmask_b32_e32 v40, v13, v36, vcc_lo
	s_delay_alu instid0(VALU_DEP_1) | instskip(SKIP_4) | instid1(VALU_DEP_1)
	v_lshlrev_b32_e32 v40, 2, v40
	v_lshlrev_b32_e32 v37, 2, v37
	ds_bpermute_b32 v37, v37, v7
	s_waitcnt lgkmcnt(0)
	v_max_f32_e32 v37, v37, v37
	v_max_f32_e32 v7, v7, v37
	v_xor_b32_e32 v37, 1, v13
	ds_bpermute_b32 v40, v40, v7
	v_cmp_gt_i32_e32 vcc_lo, 32, v37
	v_cndmask_b32_e32 v41, v13, v37, vcc_lo
	s_waitcnt lgkmcnt(0)
	s_delay_alu instid0(VALU_DEP_1) | instskip(NEXT) | instid1(VALU_DEP_1)
	v_dual_max_f32 v40, v40, v40 :: v_dual_lshlrev_b32 v41, 2, v41
	v_max_f32_e32 v7, v7, v40
	ds_bpermute_b32 v40, v41, v7
	s_waitcnt lgkmcnt(0)
	v_max_f32_e32 v40, v40, v40
	s_delay_alu instid0(VALU_DEP_1) | instskip(NEXT) | instid1(VALU_DEP_1)
	v_max_f32_e32 v7, v7, v40
	v_sub_f32_e32 v42, v39, v7
	v_sub_f32_e32 v38, v38, v7
	s_delay_alu instid0(VALU_DEP_2) | instskip(NEXT) | instid1(VALU_DEP_2)
	v_mul_f32_e32 v40, 0x3fb8aa3b, v42
	v_cmp_ngt_f32_e32 vcc_lo, 0xc2ce8ed0, v38
	s_delay_alu instid0(VALU_DEP_2) | instskip(SKIP_1) | instid1(VALU_DEP_2)
	v_fma_f32 v52, 0x3fb8aa3b, v42, -v40
	v_rndne_f32_e32 v53, v40
	v_fmac_f32_e32 v52, 0x32a5705f, v42
	s_delay_alu instid0(VALU_DEP_2) | instskip(NEXT) | instid1(VALU_DEP_1)
	v_dual_sub_f32 v40, v40, v53 :: v_dual_mul_f32 v39, 0x3fb8aa3b, v38
	v_add_f32_e32 v40, v40, v52
	s_delay_alu instid0(VALU_DEP_2) | instskip(SKIP_2) | instid1(VALU_DEP_3)
	v_fma_f32 v41, 0x3fb8aa3b, v38, -v39
	v_rndne_f32_e32 v51, v39
	v_cvt_i32_f32_e32 v52, v53
	v_fmac_f32_e32 v41, 0x32a5705f, v38
	s_delay_alu instid0(VALU_DEP_3) | instskip(SKIP_1) | instid1(VALU_DEP_2)
	v_sub_f32_e32 v39, v39, v51
	v_cvt_i32_f32_e32 v51, v51
	v_add_f32_e32 v39, v39, v41
	v_exp_f32_e32 v41, v40
	v_dual_sub_f32 v35, v35, v7 :: v_dual_add_nc_u32 v40, 0x800, v22
	s_delay_alu instid0(VALU_DEP_2) | instskip(NEXT) | instid1(VALU_DEP_1)
	v_exp_f32_e32 v39, v39
	v_mul_f32_e32 v119, 0x3fb8aa3b, v35
	s_waitcnt_depctr 0xfff
	v_ldexp_f32 v41, v41, v52
	v_fma_f32 v120, 0x3fb8aa3b, v35, -v119
	v_rndne_f32_e32 v121, v119
	v_ldexp_f32 v51, v39, v51
	v_add_nc_u32_e32 v39, 0x1000, v22
	s_delay_alu instid0(VALU_DEP_3) | instskip(NEXT) | instid1(VALU_DEP_3)
	v_dual_fmac_f32 v120, 0x32a5705f, v35 :: v_dual_sub_f32 v119, v119, v121
	v_cndmask_b32_e32 v51, 0, v51, vcc_lo
	v_cmp_ngt_f32_e32 vcc_lo, 0xc2ce8ed0, v42
	s_delay_alu instid0(VALU_DEP_3)
	v_add_f32_e32 v119, v119, v120
	v_cvt_i32_f32_e32 v120, v121
	v_cndmask_b32_e32 v52, 0, v41, vcc_lo
	v_cmp_nlt_f32_e32 vcc_lo, 0x42b17218, v38
	v_add_nc_u32_e32 v38, 0x1800, v22
	v_exp_f32_e32 v119, v119
	v_cndmask_b32_e32 v41, 0x7f800000, v51, vcc_lo
	v_cmp_nlt_f32_e32 vcc_lo, 0x42b17218, v42
	s_delay_alu instid0(VALU_DEP_2) | instskip(SKIP_3) | instid1(VALU_DEP_3)
	v_cvt_f16_f32_e32 v51, v41
	v_cndmask_b32_e32 v42, 0x7f800000, v52, vcc_lo
	v_add_co_u32 v115, vcc_lo, v23, s8
	v_add_co_ci_u32_e32 v116, vcc_lo, s9, v24, vcc_lo
	v_cvt_f16_f32_e32 v52, v42
	ds_store_b16 v19, v51
	ds_store_b16 v19, v52 offset:64
	s_waitcnt vmcnt(1)
	ds_store_b128 v20, v[43:46]
	s_waitcnt vmcnt(0)
	ds_store_b128 v21, v[47:50]
	s_waitcnt lgkmcnt(0)
	s_barrier
	buffer_gl0_inv
	ds_load_2addr_b64 v[43:46], v22 offset1:32
	ds_load_2addr_b64 v[47:50], v22 offset0:64 offset1:96
	ds_load_b128 v[51:54], v18
	ds_load_2addr_b64 v[55:58], v22 offset0:128 offset1:160
	ds_load_2addr_b64 v[59:62], v22 offset0:192 offset1:224
	ds_load_2addr_b64 v[63:66], v40 offset1:32
	ds_load_2addr_b64 v[67:70], v40 offset0:64 offset1:96
	ds_load_2addr_b64 v[71:74], v40 offset0:128 offset1:160
	ds_load_2addr_b64 v[75:78], v40 offset0:192 offset1:224
	ds_load_2addr_b64 v[79:82], v39 offset1:32
	ds_load_2addr_b64 v[83:86], v39 offset0:64 offset1:96
	;; [unrolled: 4-line block ×3, first 2 shown]
	ds_load_2addr_b64 v[103:106], v38 offset0:128 offset1:160
	ds_load_2addr_b64 v[107:110], v38 offset0:192 offset1:224
	s_waitcnt lgkmcnt(0)
	s_barrier
	buffer_gl0_inv
	s_clause 0x1
	global_load_b128 v[111:114], v[115:116], off
	global_load_b128 v[115:118], v[115:116], off offset:512
	v_ldexp_f32 v119, v119, v120
	v_cmp_ngt_f32_e32 vcc_lo, 0xc2ce8ed0, v35
	v_pk_mul_f16 v43, v43, v51 op_sel_hi:[1,0]
	v_pk_mul_f16 v44, v44, v51 op_sel_hi:[1,0]
	s_or_b32 s8, s3, 16
	v_add_f32_e32 v41, v41, v42
	v_cndmask_b32_e32 v119, 0, v119, vcc_lo
	v_cmp_nlt_f32_e32 vcc_lo, 0x42b17218, v35
	s_mul_hi_i32 s9, s8, s10
	s_mul_i32 s8, s8, s10
	s_waitcnt vmcnt(1)
	ds_store_b128 v20, v[111:114]
	s_waitcnt vmcnt(0)
	ds_store_b128 v21, v[115:118]
	v_cndmask_b32_e32 v35, 0x7f800000, v119, vcc_lo
	s_lshl_b64 s[8:9], s[8:9], 2
	s_waitcnt lgkmcnt(0)
	v_add_co_u32 v139, vcc_lo, v23, s8
	s_delay_alu instid0(VALU_DEP_2)
	v_cvt_f16_f32_e32 v119, v35
	v_add_co_ci_u32_e32 v140, vcc_lo, s9, v24, vcc_lo
	s_barrier
	buffer_gl0_inv
	v_pk_mul_f16 v29, v119, v29 op_sel_hi:[0,1]
	v_pk_mul_f16 v30, v119, v30 op_sel_hi:[0,1]
	;; [unrolled: 1-line block ×6, first 2 shown]
	v_pk_fma_f16 v29, v47, v51, v29 op_sel_hi:[1,0,1]
	v_pk_fma_f16 v30, v48, v51, v30 op_sel_hi:[1,0,1]
	;; [unrolled: 1-line block ×8, first 2 shown]
	v_pk_fma_f16 v29, v59, v51, v29 op_sel:[0,1,0]
	v_pk_fma_f16 v30, v60, v51, v30 op_sel:[0,1,0]
	;; [unrolled: 1-line block ×8, first 2 shown]
	v_pk_fma_f16 v29, v67, v52, v29 op_sel_hi:[1,0,1]
	v_pk_fma_f16 v30, v68, v52, v30 op_sel_hi:[1,0,1]
	;; [unrolled: 1-line block ×8, first 2 shown]
	v_pk_fma_f16 v29, v75, v52, v29 op_sel:[0,1,0]
	v_pk_fma_f16 v30, v76, v52, v30 op_sel:[0,1,0]
	;; [unrolled: 1-line block ×8, first 2 shown]
	v_pk_fma_f16 v146, v83, v53, v29 op_sel_hi:[1,0,1]
	v_pk_fma_f16 v147, v84, v53, v30 op_sel_hi:[1,0,1]
	;; [unrolled: 1-line block ×4, first 2 shown]
	ds_load_2addr_b64 v[27:30], v22 offset1:32
	ds_load_2addr_b64 v[31:34], v22 offset0:64 offset1:96
	ds_load_b128 v[43:46], v18 offset:16
	ds_load_2addr_b64 v[47:50], v22 offset0:128 offset1:160
	ds_load_2addr_b64 v[55:58], v22 offset0:192 offset1:224
	ds_load_2addr_b64 v[59:62], v40 offset1:32
	ds_load_2addr_b64 v[63:66], v40 offset0:64 offset1:96
	ds_load_2addr_b64 v[67:70], v40 offset0:128 offset1:160
	ds_load_2addr_b64 v[71:74], v40 offset0:192 offset1:224
	ds_load_2addr_b64 v[75:78], v39 offset1:32
	ds_load_2addr_b64 v[83:86], v39 offset0:64 offset1:96
	;; [unrolled: 4-line block ×3, first 2 shown]
	ds_load_2addr_b64 v[127:130], v38 offset0:128 offset1:160
	ds_load_2addr_b64 v[131:134], v38 offset0:192 offset1:224
	s_waitcnt lgkmcnt(0)
	s_barrier
	buffer_gl0_inv
	s_clause 0x1
	global_load_b128 v[135:138], v[139:140], off
	global_load_b128 v[139:142], v[139:140], off offset:512
	v_pk_fma_f16 v51, v81, v53, v51 op_sel_hi:[1,0,1]
	v_pk_fma_f16 v81, v82, v53, v143 op_sel_hi:[1,0,1]
	;; [unrolled: 1-line block ×4, first 2 shown]
	v_pk_fma_f16 v82, v92, v53, v147 op_sel:[0,1,0]
	v_pk_fma_f16 v51, v89, v53, v51 op_sel:[0,1,0]
	;; [unrolled: 1-line block ×8, first 2 shown]
	v_pk_fma_f16 v51, v97, v54, v51 op_sel_hi:[1,0,1]
	v_pk_fma_f16 v53, v98, v54, v80 op_sel_hi:[1,0,1]
	;; [unrolled: 1-line block ×8, first 2 shown]
	v_pk_fma_f16 v51, v105, v54, v51 op_sel:[0,1,0]
	v_pk_fma_f16 v53, v106, v54, v53 op_sel:[0,1,0]
	;; [unrolled: 1-line block ×8, first 2 shown]
	v_pk_fma_f16 v27, v27, v43, v79 op_sel_hi:[1,0,1]
	v_pk_fma_f16 v28, v28, v43, v52 op_sel_hi:[1,0,1]
	;; [unrolled: 1-line block ×8, first 2 shown]
	v_pk_fma_f16 v27, v47, v43, v27 op_sel:[0,1,0]
	v_pk_fma_f16 v28, v48, v43, v28 op_sel:[0,1,0]
	;; [unrolled: 1-line block ×4, first 2 shown]
	s_or_b32 s8, s3, 24
	v_pk_fma_f16 v31, v55, v43, v31 op_sel:[0,1,0]
	s_mul_hi_i32 s9, s8, s10
	s_mul_i32 s8, s8, s10
	v_pk_fma_f16 v32, v56, v43, v32 op_sel:[0,1,0]
	v_pk_fma_f16 v33, v57, v43, v33 op_sel:[0,1,0]
	;; [unrolled: 1-line block ×3, first 2 shown]
	v_pk_fma_f16 v27, v59, v44, v27 op_sel_hi:[1,0,1]
	v_pk_fma_f16 v28, v60, v44, v28 op_sel_hi:[1,0,1]
	;; [unrolled: 1-line block ×4, first 2 shown]
	s_lshl_b64 s[8:9], s[8:9], 2
	v_pk_fma_f16 v31, v63, v44, v31 op_sel_hi:[1,0,1]
	v_add_co_u32 v143, vcc_lo, v23, s8
	v_add_co_ci_u32_e32 v144, vcc_lo, s9, v24, vcc_lo
	v_pk_fma_f16 v32, v64, v44, v32 op_sel_hi:[1,0,1]
	v_pk_fma_f16 v33, v65, v44, v33 op_sel_hi:[1,0,1]
	;; [unrolled: 1-line block ×3, first 2 shown]
	v_pk_fma_f16 v27, v67, v44, v27 op_sel:[0,1,0]
	v_pk_fma_f16 v28, v68, v44, v28 op_sel:[0,1,0]
	;; [unrolled: 1-line block ×8, first 2 shown]
	v_pk_fma_f16 v147, v75, v45, v27 op_sel_hi:[1,0,1]
	v_pk_fma_f16 v148, v76, v45, v28 op_sel_hi:[1,0,1]
	;; [unrolled: 1-line block ×8, first 2 shown]
	v_pk_fma_f16 v85, v111, v45, v147 op_sel:[0,1,0]
	v_pk_fma_f16 v86, v112, v45, v148 op_sel:[0,1,0]
	;; [unrolled: 1-line block ×8, first 2 shown]
	v_pk_fma_f16 v45, v119, v46, v85 op_sel_hi:[1,0,1]
	v_pk_fma_f16 v85, v120, v46, v86 op_sel_hi:[1,0,1]
	;; [unrolled: 1-line block ×8, first 2 shown]
	v_pk_fma_f16 v45, v127, v46, v45 op_sel:[0,1,0]
	v_pk_fma_f16 v85, v128, v46, v85 op_sel:[0,1,0]
	;; [unrolled: 1-line block ×8, first 2 shown]
	s_or_b32 s8, s3, 32
	v_fmac_f32_e32 v41, v26, v35
	s_mul_hi_i32 s9, s8, s10
	s_mul_i32 s8, s8, s10
	s_waitcnt vmcnt(1)
	ds_store_b128 v20, v[135:138]
	s_waitcnt vmcnt(0)
	ds_store_b128 v21, v[139:142]
	s_waitcnt lgkmcnt(0)
	s_barrier
	buffer_gl0_inv
	ds_load_2addr_b64 v[27:30], v22 offset1:32
	ds_load_2addr_b64 v[31:34], v22 offset0:64 offset1:96
	ds_load_b128 v[47:50], v18 offset:32
	ds_load_2addr_b64 v[51:54], v22 offset0:128 offset1:160
	ds_load_2addr_b64 v[55:58], v22 offset0:192 offset1:224
	ds_load_2addr_b64 v[59:62], v40 offset1:32
	ds_load_2addr_b64 v[63:66], v40 offset0:64 offset1:96
	ds_load_2addr_b64 v[67:70], v40 offset0:128 offset1:160
	ds_load_2addr_b64 v[71:74], v40 offset0:192 offset1:224
	ds_load_2addr_b64 v[75:78], v39 offset1:32
	ds_load_2addr_b64 v[79:82], v39 offset0:64 offset1:96
	;; [unrolled: 4-line block ×3, first 2 shown]
	ds_load_2addr_b64 v[103:106], v38 offset0:128 offset1:160
	ds_load_2addr_b64 v[107:110], v38 offset0:192 offset1:224
	s_waitcnt lgkmcnt(0)
	s_barrier
	buffer_gl0_inv
	s_clause 0x1
	global_load_b128 v[135:138], v[143:144], off
	global_load_b128 v[139:142], v[143:144], off offset:512
	s_lshl_b64 s[8:9], s[8:9], 2
	v_pk_fma_f16 v27, v27, v47, v45 op_sel_hi:[1,0,1]
	v_pk_fma_f16 v28, v28, v47, v85 op_sel_hi:[1,0,1]
	;; [unrolled: 1-line block ×8, first 2 shown]
	v_pk_fma_f16 v27, v51, v47, v27 op_sel:[0,1,0]
	v_pk_fma_f16 v28, v52, v47, v28 op_sel:[0,1,0]
	;; [unrolled: 1-line block ×8, first 2 shown]
	v_pk_fma_f16 v27, v59, v48, v27 op_sel_hi:[1,0,1]
	v_pk_fma_f16 v28, v60, v48, v28 op_sel_hi:[1,0,1]
	;; [unrolled: 1-line block ×4, first 2 shown]
	v_add_co_u32 v143, vcc_lo, v23, s8
	v_add_co_ci_u32_e32 v144, vcc_lo, s9, v24, vcc_lo
	v_pk_fma_f16 v31, v63, v48, v31 op_sel_hi:[1,0,1]
	v_pk_fma_f16 v32, v64, v48, v32 op_sel_hi:[1,0,1]
	;; [unrolled: 1-line block ×4, first 2 shown]
	v_pk_fma_f16 v27, v67, v48, v27 op_sel:[0,1,0]
	v_pk_fma_f16 v28, v68, v48, v28 op_sel:[0,1,0]
	v_pk_fma_f16 v29, v69, v48, v29 op_sel:[0,1,0]
	v_pk_fma_f16 v30, v70, v48, v30 op_sel:[0,1,0]
	v_pk_fma_f16 v47, v71, v48, v31 op_sel:[0,1,0]
	v_pk_fma_f16 v145, v72, v48, v32 op_sel:[0,1,0]
	v_pk_fma_f16 v146, v73, v48, v33 op_sel:[0,1,0]
	v_pk_fma_f16 v48, v74, v48, v34 op_sel:[0,1,0]
	v_pk_fma_f16 v147, v75, v49, v27 op_sel_hi:[1,0,1]
	v_pk_fma_f16 v148, v76, v49, v28 op_sel_hi:[1,0,1]
	;; [unrolled: 1-line block ×8, first 2 shown]
	v_pk_fma_f16 v81, v87, v49, v147 op_sel:[0,1,0]
	v_pk_fma_f16 v82, v88, v49, v148 op_sel:[0,1,0]
	;; [unrolled: 1-line block ×8, first 2 shown]
	v_pk_fma_f16 v49, v95, v50, v81 op_sel_hi:[1,0,1]
	v_pk_fma_f16 v81, v96, v50, v82 op_sel_hi:[1,0,1]
	;; [unrolled: 1-line block ×8, first 2 shown]
	v_pk_fma_f16 v49, v103, v50, v49 op_sel:[0,1,0]
	v_pk_fma_f16 v81, v104, v50, v81 op_sel:[0,1,0]
	v_pk_fma_f16 v82, v105, v50, v82 op_sel:[0,1,0]
	v_pk_fma_f16 v87, v106, v50, v87 op_sel:[0,1,0]
	v_pk_fma_f16 v47, v107, v50, v47 op_sel:[0,1,0]
	v_pk_fma_f16 v79, v108, v50, v79 op_sel:[0,1,0]
	v_pk_fma_f16 v80, v109, v50, v80 op_sel:[0,1,0]
	v_pk_fma_f16 v48, v110, v50, v48 op_sel:[0,1,0]
	s_or_b32 s8, s3, 40
	s_waitcnt vmcnt(1)
	ds_store_b128 v20, v[135:138]
	s_waitcnt vmcnt(0)
	ds_store_b128 v21, v[139:142]
	s_waitcnt lgkmcnt(0)
	s_barrier
	buffer_gl0_inv
	ds_load_2addr_b64 v[27:30], v22 offset1:32
	ds_load_2addr_b64 v[31:34], v22 offset0:64 offset1:96
	ds_load_b128 v[43:46], v18 offset:48
	ds_load_2addr_b64 v[51:54], v22 offset0:128 offset1:160
	ds_load_2addr_b64 v[55:58], v22 offset0:192 offset1:224
	ds_load_2addr_b64 v[59:62], v40 offset1:32
	ds_load_2addr_b64 v[63:66], v40 offset0:64 offset1:96
	ds_load_2addr_b64 v[67:70], v40 offset0:128 offset1:160
	ds_load_2addr_b64 v[71:74], v40 offset0:192 offset1:224
	ds_load_2addr_b64 v[75:78], v39 offset1:32
	ds_load_2addr_b64 v[83:86], v39 offset0:64 offset1:96
	;; [unrolled: 4-line block ×3, first 2 shown]
	ds_load_2addr_b64 v[127:130], v38 offset0:128 offset1:160
	ds_load_2addr_b64 v[131:134], v38 offset0:192 offset1:224
	s_waitcnt lgkmcnt(0)
	s_barrier
	buffer_gl0_inv
	s_clause 0x1
	global_load_b128 v[135:138], v[143:144], off
	global_load_b128 v[139:142], v[143:144], off offset:512
	s_mul_hi_i32 s9, s8, s10
	v_pk_fma_f16 v27, v27, v43, v49 op_sel_hi:[1,0,1]
	v_pk_fma_f16 v28, v28, v43, v81 op_sel_hi:[1,0,1]
	;; [unrolled: 1-line block ×8, first 2 shown]
	v_pk_fma_f16 v27, v51, v43, v27 op_sel:[0,1,0]
	v_pk_fma_f16 v28, v52, v43, v28 op_sel:[0,1,0]
	;; [unrolled: 1-line block ×4, first 2 shown]
	s_mul_i32 s8, s8, s10
	v_pk_fma_f16 v31, v55, v43, v31 op_sel:[0,1,0]
	v_pk_fma_f16 v32, v56, v43, v32 op_sel:[0,1,0]
	;; [unrolled: 1-line block ×4, first 2 shown]
	v_pk_fma_f16 v27, v59, v44, v27 op_sel_hi:[1,0,1]
	v_pk_fma_f16 v28, v60, v44, v28 op_sel_hi:[1,0,1]
	;; [unrolled: 1-line block ×4, first 2 shown]
	s_lshl_b64 s[8:9], s[8:9], 2
	v_pk_fma_f16 v31, v63, v44, v31 op_sel_hi:[1,0,1]
	v_add_co_u32 v143, vcc_lo, v23, s8
	v_add_co_ci_u32_e32 v144, vcc_lo, s9, v24, vcc_lo
	v_pk_fma_f16 v32, v64, v44, v32 op_sel_hi:[1,0,1]
	v_pk_fma_f16 v33, v65, v44, v33 op_sel_hi:[1,0,1]
	;; [unrolled: 1-line block ×3, first 2 shown]
	v_pk_fma_f16 v27, v67, v44, v27 op_sel:[0,1,0]
	v_pk_fma_f16 v28, v68, v44, v28 op_sel:[0,1,0]
	;; [unrolled: 1-line block ×8, first 2 shown]
	v_pk_fma_f16 v147, v75, v45, v27 op_sel_hi:[1,0,1]
	v_pk_fma_f16 v148, v76, v45, v28 op_sel_hi:[1,0,1]
	;; [unrolled: 1-line block ×8, first 2 shown]
	v_pk_fma_f16 v85, v111, v45, v147 op_sel:[0,1,0]
	v_pk_fma_f16 v86, v112, v45, v148 op_sel:[0,1,0]
	;; [unrolled: 1-line block ×8, first 2 shown]
	v_pk_fma_f16 v45, v119, v46, v85 op_sel_hi:[1,0,1]
	v_pk_fma_f16 v85, v120, v46, v86 op_sel_hi:[1,0,1]
	v_pk_fma_f16 v86, v121, v46, v111 op_sel_hi:[1,0,1]
	v_pk_fma_f16 v111, v122, v46, v112 op_sel_hi:[1,0,1]
	v_pk_fma_f16 v43, v123, v46, v43 op_sel_hi:[1,0,1]
	v_pk_fma_f16 v83, v124, v46, v83 op_sel_hi:[1,0,1]
	v_pk_fma_f16 v84, v125, v46, v84 op_sel_hi:[1,0,1]
	v_pk_fma_f16 v44, v126, v46, v44 op_sel_hi:[1,0,1]
	v_pk_fma_f16 v45, v127, v46, v45 op_sel:[0,1,0]
	v_pk_fma_f16 v85, v128, v46, v85 op_sel:[0,1,0]
	;; [unrolled: 1-line block ×8, first 2 shown]
	s_or_b32 s8, s3, 48
	s_waitcnt vmcnt(1)
	ds_store_b128 v20, v[135:138]
	s_waitcnt vmcnt(0)
	ds_store_b128 v21, v[139:142]
	s_waitcnt lgkmcnt(0)
	s_barrier
	buffer_gl0_inv
	ds_load_2addr_b64 v[27:30], v22 offset1:32
	ds_load_2addr_b64 v[31:34], v22 offset0:64 offset1:96
	ds_load_b128 v[47:50], v18 offset:64
	ds_load_2addr_b64 v[51:54], v22 offset0:128 offset1:160
	ds_load_2addr_b64 v[55:58], v22 offset0:192 offset1:224
	ds_load_2addr_b64 v[59:62], v40 offset1:32
	ds_load_2addr_b64 v[63:66], v40 offset0:64 offset1:96
	ds_load_2addr_b64 v[67:70], v40 offset0:128 offset1:160
	ds_load_2addr_b64 v[71:74], v40 offset0:192 offset1:224
	ds_load_2addr_b64 v[75:78], v39 offset1:32
	ds_load_2addr_b64 v[79:82], v39 offset0:64 offset1:96
	;; [unrolled: 4-line block ×3, first 2 shown]
	ds_load_2addr_b64 v[103:106], v38 offset0:128 offset1:160
	ds_load_2addr_b64 v[107:110], v38 offset0:192 offset1:224
	s_waitcnt lgkmcnt(0)
	s_barrier
	buffer_gl0_inv
	s_clause 0x1
	global_load_b128 v[135:138], v[143:144], off
	global_load_b128 v[139:142], v[143:144], off offset:512
	s_mul_hi_i32 s9, s8, s10
	v_pk_fma_f16 v27, v27, v47, v45 op_sel_hi:[1,0,1]
	v_pk_fma_f16 v28, v28, v47, v85 op_sel_hi:[1,0,1]
	;; [unrolled: 1-line block ×8, first 2 shown]
	v_pk_fma_f16 v27, v51, v47, v27 op_sel:[0,1,0]
	v_pk_fma_f16 v28, v52, v47, v28 op_sel:[0,1,0]
	;; [unrolled: 1-line block ×4, first 2 shown]
	s_mul_i32 s8, s8, s10
	v_pk_fma_f16 v31, v55, v47, v31 op_sel:[0,1,0]
	v_pk_fma_f16 v32, v56, v47, v32 op_sel:[0,1,0]
	;; [unrolled: 1-line block ×4, first 2 shown]
	v_pk_fma_f16 v27, v59, v48, v27 op_sel_hi:[1,0,1]
	v_pk_fma_f16 v28, v60, v48, v28 op_sel_hi:[1,0,1]
	;; [unrolled: 1-line block ×4, first 2 shown]
	s_lshl_b64 s[8:9], s[8:9], 2
	v_pk_fma_f16 v31, v63, v48, v31 op_sel_hi:[1,0,1]
	v_add_co_u32 v143, vcc_lo, v23, s8
	v_add_co_ci_u32_e32 v144, vcc_lo, s9, v24, vcc_lo
	v_pk_fma_f16 v32, v64, v48, v32 op_sel_hi:[1,0,1]
	v_pk_fma_f16 v33, v65, v48, v33 op_sel_hi:[1,0,1]
	;; [unrolled: 1-line block ×3, first 2 shown]
	v_pk_fma_f16 v27, v67, v48, v27 op_sel:[0,1,0]
	v_pk_fma_f16 v28, v68, v48, v28 op_sel:[0,1,0]
	;; [unrolled: 1-line block ×8, first 2 shown]
	v_pk_fma_f16 v147, v75, v49, v27 op_sel_hi:[1,0,1]
	v_pk_fma_f16 v148, v76, v49, v28 op_sel_hi:[1,0,1]
	v_pk_fma_f16 v149, v77, v49, v29 op_sel_hi:[1,0,1]
	v_pk_fma_f16 v150, v78, v49, v30 op_sel_hi:[1,0,1]
	v_pk_fma_f16 v26, v79, v49, v47 op_sel_hi:[1,0,1]
	v_pk_fma_f16 v35, v80, v49, v145 op_sel_hi:[1,0,1]
	v_pk_fma_f16 v42, v81, v49, v146 op_sel_hi:[1,0,1]
	v_pk_fma_f16 v47, v82, v49, v48 op_sel_hi:[1,0,1]
	v_pk_fma_f16 v48, v87, v49, v147 op_sel:[0,1,0]
	v_pk_fma_f16 v79, v88, v49, v148 op_sel:[0,1,0]
	;; [unrolled: 1-line block ×8, first 2 shown]
	v_pk_fma_f16 v48, v95, v50, v48 op_sel_hi:[1,0,1]
	v_pk_fma_f16 v49, v96, v50, v79 op_sel_hi:[1,0,1]
	;; [unrolled: 1-line block ×8, first 2 shown]
	v_pk_fma_f16 v48, v103, v50, v48 op_sel:[0,1,0]
	v_pk_fma_f16 v49, v104, v50, v49 op_sel:[0,1,0]
	;; [unrolled: 1-line block ×8, first 2 shown]
	s_or_b32 s8, s3, 56
	s_waitcnt vmcnt(1)
	ds_store_b128 v20, v[135:138]
	s_waitcnt vmcnt(0)
	ds_store_b128 v21, v[139:142]
	s_waitcnt lgkmcnt(0)
	s_barrier
	buffer_gl0_inv
	ds_load_2addr_b64 v[27:30], v22 offset1:32
	ds_load_2addr_b64 v[31:34], v22 offset0:64 offset1:96
	ds_load_b128 v[43:46], v18 offset:80
	ds_load_2addr_b64 v[51:54], v22 offset0:128 offset1:160
	ds_load_2addr_b64 v[55:58], v22 offset0:192 offset1:224
	ds_load_2addr_b64 v[59:62], v40 offset1:32
	ds_load_2addr_b64 v[63:66], v40 offset0:64 offset1:96
	ds_load_2addr_b64 v[67:70], v40 offset0:128 offset1:160
	ds_load_2addr_b64 v[71:74], v40 offset0:192 offset1:224
	ds_load_2addr_b64 v[75:78], v39 offset1:32
	ds_load_2addr_b64 v[83:86], v39 offset0:64 offset1:96
	;; [unrolled: 4-line block ×3, first 2 shown]
	ds_load_2addr_b64 v[127:130], v38 offset0:128 offset1:160
	ds_load_2addr_b64 v[131:134], v38 offset0:192 offset1:224
	s_waitcnt lgkmcnt(0)
	s_barrier
	buffer_gl0_inv
	s_clause 0x1
	global_load_b128 v[135:138], v[143:144], off
	global_load_b128 v[139:142], v[143:144], off offset:512
	s_mul_hi_i32 s9, s8, s10
	v_pk_fma_f16 v27, v27, v43, v48 op_sel_hi:[1,0,1]
	v_pk_fma_f16 v28, v28, v43, v49 op_sel_hi:[1,0,1]
	;; [unrolled: 1-line block ×8, first 2 shown]
	s_mul_i32 s8, s8, s10
	v_pk_fma_f16 v27, v51, v43, v27 op_sel:[0,1,0]
	v_pk_fma_f16 v28, v52, v43, v28 op_sel:[0,1,0]
	;; [unrolled: 1-line block ×8, first 2 shown]
	s_lshl_b64 s[8:9], s[8:9], 2
	v_pk_fma_f16 v27, v59, v44, v27 op_sel_hi:[1,0,1]
	v_add_co_u32 v143, vcc_lo, v23, s8
	v_add_co_ci_u32_e32 v144, vcc_lo, s9, v24, vcc_lo
	v_pk_fma_f16 v28, v60, v44, v28 op_sel_hi:[1,0,1]
	v_pk_fma_f16 v29, v61, v44, v29 op_sel_hi:[1,0,1]
	;; [unrolled: 1-line block ×7, first 2 shown]
	v_pk_fma_f16 v34, v67, v44, v27 op_sel:[0,1,0]
	v_pk_fma_f16 v35, v68, v44, v28 op_sel:[0,1,0]
	;; [unrolled: 1-line block ×8, first 2 shown]
	v_pk_fma_f16 v34, v75, v45, v34 op_sel_hi:[1,0,1]
	v_pk_fma_f16 v35, v76, v45, v35 op_sel_hi:[1,0,1]
	;; [unrolled: 1-line block ×8, first 2 shown]
	v_pk_fma_f16 v34, v111, v45, v34 op_sel:[0,1,0]
	v_pk_fma_f16 v35, v112, v45, v35 op_sel:[0,1,0]
	;; [unrolled: 1-line block ×8, first 2 shown]
	v_pk_fma_f16 v34, v119, v46, v34 op_sel_hi:[1,0,1]
	v_pk_fma_f16 v35, v120, v46, v35 op_sel_hi:[1,0,1]
	;; [unrolled: 1-line block ×8, first 2 shown]
	v_pk_fma_f16 v34, v127, v46, v34 op_sel:[0,1,0]
	v_pk_fma_f16 v35, v128, v46, v35 op_sel:[0,1,0]
	;; [unrolled: 1-line block ×8, first 2 shown]
	s_waitcnt vmcnt(1)
	ds_store_b128 v20, v[135:138]
	s_waitcnt vmcnt(0)
	ds_store_b128 v21, v[139:142]
	s_waitcnt lgkmcnt(0)
	s_barrier
	buffer_gl0_inv
	ds_load_2addr_b64 v[26:29], v22 offset1:32
	ds_load_2addr_b64 v[30:33], v22 offset0:64 offset1:96
	ds_load_b128 v[47:50], v18 offset:96
	ds_load_2addr_b64 v[51:54], v22 offset0:128 offset1:160
	ds_load_2addr_b64 v[55:58], v22 offset0:192 offset1:224
	ds_load_2addr_b64 v[59:62], v40 offset1:32
	ds_load_2addr_b64 v[63:66], v40 offset0:64 offset1:96
	ds_load_2addr_b64 v[67:70], v40 offset0:128 offset1:160
	ds_load_2addr_b64 v[71:74], v40 offset0:192 offset1:224
	ds_load_2addr_b64 v[79:82], v39 offset1:32
	ds_load_2addr_b64 v[87:90], v39 offset0:64 offset1:96
	;; [unrolled: 4-line block ×3, first 2 shown]
	ds_load_2addr_b64 v[107:110], v38 offset0:128 offset1:160
	ds_load_2addr_b64 v[135:138], v38 offset0:192 offset1:224
	s_waitcnt lgkmcnt(0)
	s_barrier
	buffer_gl0_inv
	s_clause 0x1
	global_load_b128 v[139:142], v[143:144], off
	global_load_b128 v[143:146], v[143:144], off offset:512
	s_waitcnt vmcnt(1)
	ds_store_b128 v20, v[139:142]
	s_waitcnt vmcnt(0)
	ds_store_b128 v21, v[143:146]
	v_pk_fma_f16 v26, v26, v47, v34 op_sel_hi:[1,0,1]
	v_pk_fma_f16 v27, v27, v47, v35 op_sel_hi:[1,0,1]
	v_pk_fma_f16 v28, v28, v47, v42 op_sel_hi:[1,0,1]
	v_pk_fma_f16 v29, v29, v47, v43 op_sel_hi:[1,0,1]
	v_pk_fma_f16 v30, v30, v47, v45 op_sel_hi:[1,0,1]
	v_pk_fma_f16 v31, v31, v47, v75 op_sel_hi:[1,0,1]
	v_pk_fma_f16 v32, v32, v47, v76 op_sel_hi:[1,0,1]
	v_pk_fma_f16 v33, v33, v47, v44 op_sel_hi:[1,0,1]
	v_pk_fma_f16 v26, v51, v47, v26 op_sel:[0,1,0]
	v_pk_fma_f16 v27, v52, v47, v27 op_sel:[0,1,0]
	v_pk_fma_f16 v28, v53, v47, v28 op_sel:[0,1,0]
	v_pk_fma_f16 v29, v54, v47, v29 op_sel:[0,1,0]
	v_pk_fma_f16 v30, v55, v47, v30 op_sel:[0,1,0]
	v_pk_fma_f16 v31, v56, v47, v31 op_sel:[0,1,0]
	v_pk_fma_f16 v32, v57, v47, v32 op_sel:[0,1,0]
	v_pk_fma_f16 v33, v58, v47, v33 op_sel:[0,1,0]
	v_pk_fma_f16 v26, v59, v48, v26 op_sel_hi:[1,0,1]
	v_pk_fma_f16 v27, v60, v48, v27 op_sel_hi:[1,0,1]
	v_pk_fma_f16 v28, v61, v48, v28 op_sel_hi:[1,0,1]
	v_pk_fma_f16 v29, v62, v48, v29 op_sel_hi:[1,0,1]
	v_pk_fma_f16 v30, v63, v48, v30 op_sel_hi:[1,0,1]
	v_pk_fma_f16 v31, v64, v48, v31 op_sel_hi:[1,0,1]
	v_pk_fma_f16 v32, v65, v48, v32 op_sel_hi:[1,0,1]
	v_pk_fma_f16 v33, v66, v48, v33 op_sel_hi:[1,0,1]
	v_pk_fma_f16 v26, v67, v48, v26 op_sel:[0,1,0]
	v_pk_fma_f16 v27, v68, v48, v27 op_sel:[0,1,0]
	v_pk_fma_f16 v28, v69, v48, v28 op_sel:[0,1,0]
	v_pk_fma_f16 v29, v70, v48, v29 op_sel:[0,1,0]
	v_pk_fma_f16 v30, v71, v48, v30 op_sel:[0,1,0]
	v_pk_fma_f16 v31, v72, v48, v31 op_sel:[0,1,0]
	v_pk_fma_f16 v32, v73, v48, v32 op_sel:[0,1,0]
	v_pk_fma_f16 v33, v74, v48, v33 op_sel:[0,1,0]
	;; [unrolled: 16-line block ×3, first 2 shown]
	v_pk_fma_f16 v112, v99, v50, v26 op_sel_hi:[1,0,1]
	v_pk_fma_f16 v113, v100, v50, v27 op_sel_hi:[1,0,1]
	;; [unrolled: 1-line block ×5, first 2 shown]
	s_waitcnt lgkmcnt(0)
	s_barrier
	buffer_gl0_inv
	ds_load_2addr_b64 v[26:29], v22 offset1:32
	ds_load_2addr_b64 v[30:33], v22 offset0:64 offset1:96
	ds_load_b128 v[42:45], v18 offset:112
	ds_load_2addr_b64 v[46:49], v22 offset0:128 offset1:160
	ds_load_2addr_b64 v[51:54], v22 offset0:192 offset1:224
	ds_load_2addr_b64 v[55:58], v40 offset1:32
	ds_load_2addr_b64 v[59:62], v40 offset0:64 offset1:96
	ds_load_2addr_b64 v[63:66], v40 offset0:128 offset1:160
	ds_load_2addr_b64 v[67:70], v40 offset0:192 offset1:224
	ds_load_2addr_b64 v[71:74], v39 offset1:32
	ds_load_2addr_b64 v[75:78], v39 offset0:64 offset1:96
	ds_load_2addr_b64 v[79:82], v39 offset0:128 offset1:160
	ds_load_2addr_b64 v[83:86], v39 offset0:192 offset1:224
	ds_load_2addr_b64 v[87:90], v38 offset1:32
	ds_load_2addr_b64 v[91:94], v38 offset0:64 offset1:96
	ds_load_2addr_b64 v[95:98], v38 offset0:128 offset1:160
	ds_load_2addr_b64 v[99:102], v38 offset0:192 offset1:224
	v_pk_fma_f16 v34, v104, v50, v34 op_sel_hi:[1,0,1]
	v_pk_fma_f16 v35, v105, v50, v35 op_sel_hi:[1,0,1]
	;; [unrolled: 1-line block ×3, first 2 shown]
	v_pk_fma_f16 v39, v107, v50, v112 op_sel:[0,1,0]
	v_pk_fma_f16 v40, v108, v50, v113 op_sel:[0,1,0]
	;; [unrolled: 1-line block ×8, first 2 shown]
	s_waitcnt lgkmcnt(14)
	v_pk_fma_f16 v26, v26, v42, v39 op_sel_hi:[1,0,1]
	v_pk_fma_f16 v27, v27, v42, v40 op_sel_hi:[1,0,1]
	;; [unrolled: 1-line block ×8, first 2 shown]
	s_waitcnt lgkmcnt(13)
	v_pk_fma_f16 v26, v46, v42, v26 op_sel:[0,1,0]
	v_pk_fma_f16 v27, v47, v42, v27 op_sel:[0,1,0]
	;; [unrolled: 1-line block ×4, first 2 shown]
	s_waitcnt lgkmcnt(12)
	v_pk_fma_f16 v30, v51, v42, v30 op_sel:[0,1,0]
	v_pk_fma_f16 v31, v52, v42, v31 op_sel:[0,1,0]
	;; [unrolled: 1-line block ×4, first 2 shown]
	s_waitcnt lgkmcnt(11)
	v_pk_fma_f16 v26, v55, v43, v26 op_sel_hi:[1,0,1]
	v_pk_fma_f16 v27, v56, v43, v27 op_sel_hi:[1,0,1]
	;; [unrolled: 1-line block ×4, first 2 shown]
	s_waitcnt lgkmcnt(10)
	v_pk_fma_f16 v30, v59, v43, v30 op_sel_hi:[1,0,1]
	v_pk_fma_f16 v31, v60, v43, v31 op_sel_hi:[1,0,1]
	;; [unrolled: 1-line block ×4, first 2 shown]
	s_waitcnt lgkmcnt(0)
	s_barrier
	buffer_gl0_inv
	s_load_b32 s8, s[4:5], 0x4
	v_pk_fma_f16 v26, v63, v43, v26 op_sel:[0,1,0]
	v_pk_fma_f16 v27, v64, v43, v27 op_sel:[0,1,0]
	;; [unrolled: 1-line block ×8, first 2 shown]
	v_pk_fma_f16 v26, v71, v44, v26 op_sel_hi:[1,0,1]
	v_pk_fma_f16 v27, v72, v44, v27 op_sel_hi:[1,0,1]
	;; [unrolled: 1-line block ×8, first 2 shown]
	v_pk_fma_f16 v26, v79, v44, v26 op_sel:[0,1,0]
	v_pk_fma_f16 v27, v80, v44, v27 op_sel:[0,1,0]
	;; [unrolled: 1-line block ×8, first 2 shown]
	v_pk_fma_f16 v26, v87, v45, v26 op_sel_hi:[1,0,1]
	v_pk_fma_f16 v27, v88, v45, v27 op_sel_hi:[1,0,1]
	;; [unrolled: 1-line block ×8, first 2 shown]
	s_waitcnt lgkmcnt(0)
	s_lshl_b32 s8, s8, 6
	v_pk_fma_f16 v32, v95, v45, v26 op_sel:[0,1,0]
	v_pk_fma_f16 v34, v96, v45, v27 op_sel:[0,1,0]
	;; [unrolled: 1-line block ×8, first 2 shown]
	s_add_i32 s3, s8, s3
	s_delay_alu instid0(SALU_CYCLE_1)
	s_cmp_lt_i32 s3, s2
	s_cbranch_scc0 .LBB27_21
; %bb.20:                               ;   in Loop: Header=BB27_11 Depth=1
	v_dual_mov_b32 v35, v7 :: v_dual_mov_b32 v26, v41
	s_branch .LBB27_11
.LBB27_21:
	v_dual_mov_b32 v2, 32 :: v_dual_mov_b32 v3, v13
.LBB27_22:
	s_delay_alu instid0(VALU_DEP_1)
	v_cmp_lt_i32_e32 vcc_lo, v8, v2
	s_cmp_eq_u64 s[24:25], 0
	s_cselect_b32 s2, -1, 0
	s_cmp_lg_u32 s14, 0
	v_cndmask_b32_e32 v4, v3, v8, vcc_lo
	v_cmp_lt_i32_e32 vcc_lo, v9, v2
	s_cselect_b32 s3, -1, 0
	s_delay_alu instid0(SALU_CYCLE_1) | instskip(SKIP_2) | instid1(VALU_DEP_2)
	s_or_b32 s2, s3, s2
	v_cndmask_b32_e32 v5, v3, v9, vcc_lo
	v_cmp_lt_i32_e32 vcc_lo, v10, v2
	v_lshlrev_b32_e32 v5, 2, v5
	v_lshlrev_b32_e32 v4, 2, v4
	v_cndmask_b32_e32 v6, v3, v10, vcc_lo
	v_cmp_lt_i32_e32 vcc_lo, v36, v2
	ds_bpermute_b32 v4, v4, v41
	v_lshlrev_b32_e32 v6, 2, v6
	s_waitcnt lgkmcnt(0)
	v_add_f32_e32 v4, v41, v4
	ds_bpermute_b32 v5, v5, v4
	s_waitcnt lgkmcnt(0)
	v_add_f32_e32 v4, v4, v5
	ds_bpermute_b32 v5, v6, v4
	v_cndmask_b32_e32 v6, v3, v36, vcc_lo
	v_cmp_lt_i32_e32 vcc_lo, v37, v2
	s_delay_alu instid0(VALU_DEP_2) | instskip(SKIP_2) | instid1(VALU_DEP_1)
	v_lshlrev_b32_e32 v6, 2, v6
	v_cndmask_b32_e32 v2, v3, v37, vcc_lo
	s_and_b32 vcc_lo, exec_lo, s2
	v_lshlrev_b32_e32 v2, 2, v2
	s_waitcnt lgkmcnt(0)
	v_add_f32_e32 v4, v4, v5
	ds_bpermute_b32 v5, v6, v4
	s_waitcnt lgkmcnt(0)
	v_add_f32_e32 v3, v4, v5
	ds_bpermute_b32 v2, v2, v3
	s_waitcnt lgkmcnt(0)
	v_add_f32_e32 v8, v3, v2
	s_cbranch_vccnz .LBB27_24
; %bb.23:
	v_add_nc_u32_e32 v2, s12, v11
	s_delay_alu instid0(VALU_DEP_1) | instskip(NEXT) | instid1(VALU_DEP_1)
	v_ashrrev_i32_e32 v3, 31, v2
	v_lshlrev_b64 v[2:3], 2, v[2:3]
	s_delay_alu instid0(VALU_DEP_1) | instskip(NEXT) | instid1(VALU_DEP_2)
	v_add_co_u32 v2, vcc_lo, s24, v2
	v_add_co_ci_u32_e32 v3, vcc_lo, s25, v3, vcc_lo
	global_load_b32 v2, v[2:3], off
	s_waitcnt vmcnt(0)
	v_dual_max_f32 v3, v7, v7 :: v_dual_max_f32 v4, v2, v2
	s_delay_alu instid0(VALU_DEP_1) | instskip(NEXT) | instid1(VALU_DEP_1)
	v_max_f32_e32 v3, v3, v4
	v_sub_f32_e32 v4, v7, v3
	s_delay_alu instid0(VALU_DEP_1) | instskip(NEXT) | instid1(VALU_DEP_1)
	v_dual_sub_f32 v2, v2, v3 :: v_dual_mul_f32 v5, 0x3fb8aa3b, v4
	v_fma_f32 v7, 0x3fb8aa3b, v4, -v5
	v_rndne_f32_e32 v9, v5
	s_delay_alu instid0(VALU_DEP_1) | instskip(NEXT) | instid1(VALU_DEP_3)
	v_sub_f32_e32 v5, v5, v9
	v_fmac_f32_e32 v7, 0x32a5705f, v4
	v_mul_f32_e32 v6, 0x3fb8aa3b, v2
	v_cmp_ngt_f32_e32 vcc_lo, 0xc2ce8ed0, v4
	s_delay_alu instid0(VALU_DEP_3) | instskip(NEXT) | instid1(VALU_DEP_3)
	v_add_f32_e32 v5, v5, v7
	v_fma_f32 v10, 0x3fb8aa3b, v2, -v6
	v_rndne_f32_e32 v13, v6
	v_cvt_i32_f32_e32 v7, v9
	s_delay_alu instid0(VALU_DEP_4) | instskip(NEXT) | instid1(VALU_DEP_3)
	v_exp_f32_e32 v5, v5
	v_fmac_f32_e32 v10, 0x32a5705f, v2
	s_delay_alu instid0(VALU_DEP_3) | instskip(SKIP_4) | instid1(VALU_DEP_2)
	v_sub_f32_e32 v6, v6, v13
	v_cvt_i32_f32_e32 v9, v13
	s_waitcnt_depctr 0xfff
	v_ldexp_f32 v5, v5, v7
	v_dual_mov_b32 v7, v3 :: v_dual_add_f32 v6, v6, v10
	v_cndmask_b32_e32 v5, 0, v5, vcc_lo
	v_cmp_ngt_f32_e32 vcc_lo, 0xc2ce8ed0, v2
	s_delay_alu instid0(VALU_DEP_3) | instskip(SKIP_2) | instid1(VALU_DEP_1)
	v_exp_f32_e32 v6, v6
	s_waitcnt_depctr 0xfff
	v_ldexp_f32 v6, v6, v9
	v_cndmask_b32_e32 v6, 0, v6, vcc_lo
	v_cmp_nlt_f32_e32 vcc_lo, 0x42b17218, v4
	v_cndmask_b32_e32 v4, 0x7f800000, v5, vcc_lo
	v_cmp_nlt_f32_e32 vcc_lo, 0x42b17218, v2
	s_delay_alu instid0(VALU_DEP_2) | instskip(SKIP_1) | instid1(VALU_DEP_2)
	v_cvt_f16_f32_e32 v5, v4
	v_cndmask_b32_e32 v2, 0x7f800000, v6, vcc_lo
	v_pk_mul_f16 v32, v5, v32 op_sel_hi:[0,1]
	s_delay_alu instid0(VALU_DEP_2)
	v_fmac_f32_e32 v2, v8, v4
	v_pk_mul_f16 v34, v5, v34 op_sel_hi:[0,1]
	v_pk_mul_f16 v31, v5, v31 op_sel_hi:[0,1]
	;; [unrolled: 1-line block ×7, first 2 shown]
	v_mov_b32_e32 v8, v2
.LBB27_24:
	s_mov_b32 s2, exec_lo
	v_cmpx_gt_i32_e64 s6, v1
	s_cbranch_execz .LBB27_27
; %bb.25:
	s_delay_alu instid0(VALU_DEP_2) | instskip(SKIP_2) | instid1(VALU_DEP_2)
	v_div_scale_f32 v4, null, v8, v8, 1.0
	v_mad_u64_u32 v[2:3], null, s33, s6, v[1:2]
	s_load_b32 s0, s[0:1], 0xd4
	v_rcp_f32_e32 v5, v4
	v_div_scale_f32 v3, vcc_lo, 1.0, v8, 1.0
	v_lshrrev_b32_e32 v14, 16, v33
	v_lshrrev_b32_e32 v19, 16, v31
	s_delay_alu instid0(VALU_DEP_4) | instskip(SKIP_4) | instid1(TRANS32_DEP_1)
	v_mul_lo_u32 v2, v2, s7
	v_lshrrev_b32_e32 v10, 16, v32
	v_lshrrev_b32_e32 v6, 16, v34
	v_cvt_f32_f16_e32 v13, v32
	v_cvt_f32_f16_e32 v20, v31
	v_fma_f32 v1, -v4, v5, 1.0
	v_cvt_f32_f16_e32 v10, v10
	v_cvt_f32_f16_e32 v6, v6
	v_add3_u32 v11, s12, v11, v2
	v_cvt_f32_f16_e32 v9, v34
	v_dual_fmac_f32 v5, v1, v5 :: v_dual_mov_b32 v18, 0
	v_cvt_f32_f16_e32 v16, v33
	v_lshrrev_b32_e32 v25, 16, v29
	s_waitcnt lgkmcnt(0)
	v_mad_u64_u32 v[1:2], null, s0, v11, s[14:15]
	v_mul_f32_e32 v15, v3, v5
	v_lshrrev_b32_e32 v11, 16, v30
	s_cmp_lg_u32 s0, 1
	v_cvt_f32_f16_e32 v25, v25
	s_cselect_b32 s1, -1, 0
	v_fma_f32 v2, -v4, v15, v3
	v_lshl_add_u32 v17, v1, 9, v12
	v_cvt_f32_f16_e32 v12, v14
	v_cvt_f32_f16_e32 v14, v19
	;; [unrolled: 1-line block ×3, first 2 shown]
	v_fmac_f32_e32 v15, v2, v5
	v_cvt_f32_f16_e32 v26, v29
	v_lshrrev_b32_e32 v29, 16, v28
	v_add_nc_u32_e32 v2, 0x80, v17
	s_delay_alu instid0(VALU_DEP_4) | instskip(SKIP_1) | instid1(VALU_DEP_4)
	v_fma_f32 v4, -v4, v15, v3
	v_mov_b32_e32 v3, v18
	v_cvt_f32_f16_e32 v29, v29
	s_delay_alu instid0(VALU_DEP_3) | instskip(SKIP_1) | instid1(VALU_DEP_4)
	v_div_fmas_f32 v15, v4, v5, v15
	v_lshlrev_b64 v[4:5], 2, v[17:18]
	v_lshlrev_b64 v[2:3], 2, v[2:3]
	s_delay_alu instid0(VALU_DEP_3) | instskip(NEXT) | instid1(VALU_DEP_3)
	v_div_fixup_f32 v11, v15, v8, 1.0
	v_add_co_u32 v21, vcc_lo, s28, v4
	s_delay_alu instid0(VALU_DEP_4) | instskip(NEXT) | instid1(VALU_DEP_3)
	v_add_co_ci_u32_e32 v22, vcc_lo, s29, v5, vcc_lo
	v_cndmask_b32_e64 v31, v11, 1.0, s1
	v_add_co_u32 v23, vcc_lo, s28, v2
	v_add_co_ci_u32_e32 v24, vcc_lo, s29, v3, vcc_lo
	s_delay_alu instid0(VALU_DEP_3)
	v_mul_f32_e32 v3, v31, v10
	v_mul_f32_e32 v2, v31, v13
	v_dual_mul_f32 v10, v31, v14 :: v_dual_add_nc_u32 v13, 0x100, v17
	v_dual_mov_b32 v14, v18 :: v_dual_mul_f32 v5, v31, v6
	v_cvt_f32_f16_e32 v6, v30
	v_mul_f32_e32 v4, v31, v9
	v_mul_f32_e32 v11, v31, v16
	v_mul_f32_e32 v9, v31, v20
	v_dual_mul_f32 v16, v31, v19 :: v_dual_add_nc_u32 v17, 0x180, v17
	v_lshlrev_b64 v[19:20], 2, v[13:14]
	v_mul_f32_e32 v15, v31, v6
	v_lshrrev_b32_e32 v6, 16, v27
	v_mul_f32_e32 v14, v31, v25
	v_cvt_f32_f16_e32 v30, v28
	v_mul_f32_e32 v13, v31, v26
	v_add_co_u32 v25, vcc_lo, s28, v19
	v_cvt_f32_f16_e32 v19, v27
	v_lshlrev_b64 v[27:28], 2, v[17:18]
	v_cvt_f32_f16_e32 v6, v6
	v_add_co_ci_u32_e32 v26, vcc_lo, s29, v20, vcc_lo
	v_cmp_eq_u32_e32 vcc_lo, 0, v0
	v_mul_f32_e32 v12, v31, v12
	v_add_co_u32 v27, s0, s28, v27
	v_mul_f32_e32 v20, v31, v6
	v_mul_f32_e32 v19, v31, v19
	;; [unrolled: 1-line block ×4, first 2 shown]
	v_add_co_ci_u32_e64 v28, s0, s29, v28, s0
	s_and_b32 s0, vcc_lo, s1
	s_clause 0x3
	global_store_b128 v[21:22], v[2:5], off
	global_store_b128 v[23:24], v[9:12], off
	;; [unrolled: 1-line block ×4, first 2 shown]
	s_and_b32 exec_lo, exec_lo, s0
	s_cbranch_execz .LBB27_27
; %bb.26:
	v_ashrrev_i32_e32 v2, 31, v1
	s_delay_alu instid0(VALU_DEP_1) | instskip(NEXT) | instid1(VALU_DEP_1)
	v_lshlrev_b64 v[0:1], 3, v[1:2]
	v_add_co_u32 v0, vcc_lo, s30, v0
	s_delay_alu instid0(VALU_DEP_2)
	v_add_co_ci_u32_e32 v1, vcc_lo, s31, v1, vcc_lo
	global_store_b64 v[0:1], v[7:8], off
.LBB27_27:
	s_nop 0
	s_sendmsg sendmsg(MSG_DEALLOC_VGPRS)
	s_endpgm
	.section	.rodata,"a",@progbits
	.p2align	6, 0x0
	.amdhsa_kernel _ZL15flash_attn_tileILi576ELi512ELi2ELi4ELb1EEvPKcS1_S1_S1_S1_PKiPfP15HIP_vector_typeIfLj2EEffffjfiS5_IjLj3EEiiiiiiiiiiiliiliiiiil
		.amdhsa_group_segment_fixed_size 19456
		.amdhsa_private_segment_fixed_size 0
		.amdhsa_kernarg_size 464
		.amdhsa_user_sgpr_count 13
		.amdhsa_user_sgpr_dispatch_ptr 0
		.amdhsa_user_sgpr_queue_ptr 0
		.amdhsa_user_sgpr_kernarg_segment_ptr 1
		.amdhsa_user_sgpr_dispatch_id 0
		.amdhsa_user_sgpr_private_segment_size 0
		.amdhsa_wavefront_size32 1
		.amdhsa_uses_dynamic_stack 0
		.amdhsa_enable_private_segment 0
		.amdhsa_system_sgpr_workgroup_id_x 1
		.amdhsa_system_sgpr_workgroup_id_y 1
		.amdhsa_system_sgpr_workgroup_id_z 1
		.amdhsa_system_sgpr_workgroup_info 0
		.amdhsa_system_vgpr_workitem_id 1
		.amdhsa_next_free_vgpr 151
		.amdhsa_next_free_sgpr 40
		.amdhsa_reserve_vcc 1
		.amdhsa_float_round_mode_32 0
		.amdhsa_float_round_mode_16_64 0
		.amdhsa_float_denorm_mode_32 3
		.amdhsa_float_denorm_mode_16_64 3
		.amdhsa_dx10_clamp 1
		.amdhsa_ieee_mode 1
		.amdhsa_fp16_overflow 0
		.amdhsa_workgroup_processor_mode 1
		.amdhsa_memory_ordered 1
		.amdhsa_forward_progress 0
		.amdhsa_shared_vgpr_count 0
		.amdhsa_exception_fp_ieee_invalid_op 0
		.amdhsa_exception_fp_denorm_src 0
		.amdhsa_exception_fp_ieee_div_zero 0
		.amdhsa_exception_fp_ieee_overflow 0
		.amdhsa_exception_fp_ieee_underflow 0
		.amdhsa_exception_fp_ieee_inexact 0
		.amdhsa_exception_int_div_zero 0
	.end_amdhsa_kernel
	.section	.text._ZL15flash_attn_tileILi576ELi512ELi2ELi4ELb1EEvPKcS1_S1_S1_S1_PKiPfP15HIP_vector_typeIfLj2EEffffjfiS5_IjLj3EEiiiiiiiiiiiliiliiiiil,"axG",@progbits,_ZL15flash_attn_tileILi576ELi512ELi2ELi4ELb1EEvPKcS1_S1_S1_S1_PKiPfP15HIP_vector_typeIfLj2EEffffjfiS5_IjLj3EEiiiiiiiiiiiliiliiiiil,comdat
.Lfunc_end27:
	.size	_ZL15flash_attn_tileILi576ELi512ELi2ELi4ELb1EEvPKcS1_S1_S1_S1_PKiPfP15HIP_vector_typeIfLj2EEffffjfiS5_IjLj3EEiiiiiiiiiiiliiliiiiil, .Lfunc_end27-_ZL15flash_attn_tileILi576ELi512ELi2ELi4ELb1EEvPKcS1_S1_S1_S1_PKiPfP15HIP_vector_typeIfLj2EEffffjfiS5_IjLj3EEiiiiiiiiiiiliiliiiiil
                                        ; -- End function
	.section	.AMDGPU.csdata,"",@progbits
; Kernel info:
; codeLenInByte = 24836
; NumSgprs: 42
; NumVgprs: 151
; ScratchSize: 0
; MemoryBound: 0
; FloatMode: 240
; IeeeMode: 1
; LDSByteSize: 19456 bytes/workgroup (compile time only)
; SGPRBlocks: 5
; VGPRBlocks: 18
; NumSGPRsForWavesPerEU: 42
; NumVGPRsForWavesPerEU: 151
; Occupancy: 9
; WaveLimiterHint : 1
; COMPUTE_PGM_RSRC2:SCRATCH_EN: 0
; COMPUTE_PGM_RSRC2:USER_SGPR: 13
; COMPUTE_PGM_RSRC2:TRAP_HANDLER: 0
; COMPUTE_PGM_RSRC2:TGID_X_EN: 1
; COMPUTE_PGM_RSRC2:TGID_Y_EN: 1
; COMPUTE_PGM_RSRC2:TGID_Z_EN: 1
; COMPUTE_PGM_RSRC2:TIDIG_COMP_CNT: 1
	.section	.text._ZL15flash_attn_tileILi576ELi512ELi1ELi4ELb1EEvPKcS1_S1_S1_S1_PKiPfP15HIP_vector_typeIfLj2EEffffjfiS5_IjLj3EEiiiiiiiiiiiliiliiiiil,"axG",@progbits,_ZL15flash_attn_tileILi576ELi512ELi1ELi4ELb1EEvPKcS1_S1_S1_S1_PKiPfP15HIP_vector_typeIfLj2EEffffjfiS5_IjLj3EEiiiiiiiiiiiliiliiiiil,comdat
	.globl	_ZL15flash_attn_tileILi576ELi512ELi1ELi4ELb1EEvPKcS1_S1_S1_S1_PKiPfP15HIP_vector_typeIfLj2EEffffjfiS5_IjLj3EEiiiiiiiiiiiliiliiiiil ; -- Begin function _ZL15flash_attn_tileILi576ELi512ELi1ELi4ELb1EEvPKcS1_S1_S1_S1_PKiPfP15HIP_vector_typeIfLj2EEffffjfiS5_IjLj3EEiiiiiiiiiiiliiliiiiil
	.p2align	8
	.type	_ZL15flash_attn_tileILi576ELi512ELi1ELi4ELb1EEvPKcS1_S1_S1_S1_PKiPfP15HIP_vector_typeIfLj2EEffffjfiS5_IjLj3EEiiiiiiiiiiiliiliiiiil,@function
_ZL15flash_attn_tileILi576ELi512ELi1ELi4ELb1EEvPKcS1_S1_S1_S1_PKiPfP15HIP_vector_typeIfLj2EEffffjfiS5_IjLj3EEiiiiiiiiiiiliiliiiiil: ; @_ZL15flash_attn_tileILi576ELi512ELi1ELi4ELb1EEvPKcS1_S1_S1_S1_PKiPfP15HIP_vector_typeIfLj2EEffffjfiS5_IjLj3EEiiiiiiiiiiiliiliiiiil
; %bb.0:
	s_clause 0x1
	s_load_b128 s[4:7], s[0:1], 0x5c
	s_load_b64 s[2:3], s[0:1], 0x80
	s_mov_b64 s[34:35], 0
	s_waitcnt lgkmcnt(0)
	s_ashr_i32 s8, s7, 31
	s_delay_alu instid0(SALU_CYCLE_1) | instskip(NEXT) | instid1(SALU_CYCLE_1)
	s_lshr_b32 s8, s8, 30
	s_add_i32 s8, s7, s8
	s_delay_alu instid0(SALU_CYCLE_1) | instskip(NEXT) | instid1(SALU_CYCLE_1)
	s_ashr_i32 s8, s8, 2
	v_cvt_f32_u32_e32 v1, s8
	s_sub_i32 s10, 0, s8
	s_delay_alu instid0(VALU_DEP_1) | instskip(SKIP_2) | instid1(VALU_DEP_1)
	v_rcp_iflag_f32_e32 v1, v1
	s_waitcnt_depctr 0xfff
	v_mul_f32_e32 v1, 0x4f7ffffe, v1
	v_cvt_u32_f32_e32 v1, v1
	s_delay_alu instid0(VALU_DEP_1) | instskip(NEXT) | instid1(VALU_DEP_1)
	v_readfirstlane_b32 s9, v1
	s_mul_i32 s10, s10, s9
	s_delay_alu instid0(SALU_CYCLE_1) | instskip(NEXT) | instid1(SALU_CYCLE_1)
	s_mul_hi_u32 s10, s9, s10
	s_add_i32 s9, s9, s10
	s_delay_alu instid0(SALU_CYCLE_1) | instskip(NEXT) | instid1(SALU_CYCLE_1)
	s_mul_hi_u32 s9, s15, s9
	s_mul_i32 s10, s9, s8
	s_add_i32 s11, s9, 1
	s_sub_i32 s10, s15, s10
	s_delay_alu instid0(SALU_CYCLE_1)
	s_sub_i32 s12, s10, s8
	s_cmp_ge_u32 s10, s8
	s_cselect_b32 s9, s11, s9
	s_cselect_b32 s10, s12, s10
	s_add_i32 s11, s9, 1
	s_cmp_ge_u32 s10, s8
	s_cselect_b32 s12, s11, s9
	s_abs_i32 s8, s3
	s_abs_i32 s16, s7
	v_cvt_f32_u32_e32 v1, s8
	s_sub_i32 s10, 0, s8
	s_lshl_b32 s11, s15, 2
	s_mul_i32 s15, s12, s7
	s_xor_b32 s3, s7, s3
	v_rcp_iflag_f32_e32 v1, v1
	s_sub_i32 s15, s11, s15
	s_ashr_i32 s3, s3, 31
	s_waitcnt_depctr 0xfff
	v_mul_f32_e32 v1, 0x4f7ffffe, v1
	s_delay_alu instid0(VALU_DEP_1) | instskip(NEXT) | instid1(VALU_DEP_1)
	v_cvt_u32_f32_e32 v1, v1
	v_readfirstlane_b32 s9, v1
	s_delay_alu instid0(VALU_DEP_1) | instskip(NEXT) | instid1(SALU_CYCLE_1)
	s_mul_i32 s10, s10, s9
	s_mul_hi_u32 s10, s9, s10
	s_delay_alu instid0(SALU_CYCLE_1) | instskip(NEXT) | instid1(SALU_CYCLE_1)
	s_add_i32 s9, s9, s10
	s_mul_hi_u32 s9, s16, s9
	s_delay_alu instid0(SALU_CYCLE_1) | instskip(SKIP_2) | instid1(SALU_CYCLE_1)
	s_mul_i32 s10, s9, s8
	s_add_i32 s11, s9, 1
	s_sub_i32 s10, s16, s10
	s_sub_i32 s16, s10, s8
	s_cmp_ge_u32 s10, s8
	s_cselect_b32 s9, s11, s9
	s_cselect_b32 s10, s16, s10
	s_add_i32 s11, s9, 1
	s_cmp_ge_u32 s10, s8
	s_clause 0x1
	s_load_b512 s[16:31], s[0:1], 0x0
	s_load_b64 s[36:37], s[0:1], 0xb8
	s_cselect_b32 s8, s11, s9
	s_delay_alu instid0(SALU_CYCLE_1) | instskip(NEXT) | instid1(SALU_CYCLE_1)
	s_xor_b32 s8, s8, s3
	s_sub_i32 s38, s8, s3
	s_delay_alu instid0(SALU_CYCLE_1) | instskip(NEXT) | instid1(SALU_CYCLE_1)
	s_abs_i32 s33, s38
	v_cvt_f32_u32_e32 v1, s33
	s_delay_alu instid0(VALU_DEP_1) | instskip(SKIP_4) | instid1(VALU_DEP_1)
	v_rcp_iflag_f32_e32 v1, v1
	s_waitcnt lgkmcnt(0)
	s_cmp_eq_u64 s[22:23], 0
	s_waitcnt_depctr 0xfff
	v_mul_f32_e32 v1, 0x4f7ffffe, v1
	v_cvt_u32_f32_e32 v1, v1
	s_delay_alu instid0(VALU_DEP_1)
	v_readfirstlane_b32 s39, v1
	s_cbranch_scc1 .LBB28_2
; %bb.1:
	s_abs_i32 s3, s36
	s_abs_i32 s10, s12
	v_cvt_f32_u32_e32 v1, s3
	s_sub_i32 s9, 0, s3
	s_delay_alu instid0(VALU_DEP_1) | instskip(SKIP_2) | instid1(VALU_DEP_1)
	v_rcp_iflag_f32_e32 v1, v1
	s_waitcnt_depctr 0xfff
	v_mul_f32_e32 v1, 0x4f7ffffe, v1
	v_cvt_u32_f32_e32 v1, v1
	s_delay_alu instid0(VALU_DEP_1) | instskip(NEXT) | instid1(VALU_DEP_1)
	v_readfirstlane_b32 s8, v1
	s_mul_i32 s9, s9, s8
	s_delay_alu instid0(SALU_CYCLE_1) | instskip(NEXT) | instid1(SALU_CYCLE_1)
	s_mul_hi_u32 s9, s8, s9
	s_add_i32 s11, s8, s9
	s_load_b64 s[8:9], s[0:1], 0xc8
	s_mul_hi_u32 s11, s10, s11
	s_delay_alu instid0(SALU_CYCLE_1) | instskip(NEXT) | instid1(SALU_CYCLE_1)
	s_mul_i32 s11, s11, s3
	s_sub_i32 s10, s10, s11
	s_ashr_i32 s11, s12, 31
	s_sub_i32 s34, s10, s3
	s_cmp_ge_u32 s10, s3
	s_cselect_b32 s10, s34, s10
	s_delay_alu instid0(SALU_CYCLE_1) | instskip(SKIP_2) | instid1(SALU_CYCLE_1)
	s_sub_i32 s34, s10, s3
	s_cmp_ge_u32 s10, s3
	s_cselect_b32 s3, s34, s10
	s_xor_b32 s3, s3, s11
	s_delay_alu instid0(SALU_CYCLE_1)
	s_sub_i32 s3, s3, s11
	s_waitcnt lgkmcnt(0)
	s_mul_i32 s9, s3, s9
	s_mul_hi_u32 s10, s3, s8
	s_ashr_i32 s11, s3, 31
	s_add_i32 s9, s10, s9
	s_mul_i32 s11, s11, s8
	s_mul_i32 s3, s3, s8
	s_add_i32 s9, s9, s11
	s_add_u32 s34, s22, s3
	s_addc_u32 s35, s23, s9
.LBB28_2:
	v_bfe_u32 v2, v0, 10, 10
	s_load_b128 s[8:11], s[0:1], 0x70
	v_and_b32_e32 v84, 0x3ff, v0
	s_delay_alu instid0(VALU_DEP_2) | instskip(SKIP_1) | instid1(VALU_DEP_3)
	v_lshrrev_b32_e32 v1, 2, v2
	v_and_b32_e32 v100, 3, v2
	v_lshlrev_b32_e32 v21, 1, v84
	s_delay_alu instid0(VALU_DEP_3) | instskip(NEXT) | instid1(VALU_DEP_1)
	v_add_nc_u32_e32 v85, s13, v1
	v_mul_hi_u32 v1, s4, v85
	s_waitcnt lgkmcnt(0)
	s_mul_i32 s3, s12, s10
	s_mul_i32 s4, s15, s9
	s_delay_alu instid0(VALU_DEP_1) | instskip(NEXT) | instid1(VALU_DEP_1)
	v_add_nc_u32_e32 v1, v85, v1
	v_lshrrev_b32_e32 v1, s5, v1
	s_ashr_i32 s5, s3, 31
	s_add_u32 s3, s16, s3
	s_addc_u32 s5, s17, s5
	s_ashr_i32 s10, s4, 31
	v_mul_lo_u32 v1, v1, s6
	s_add_u32 s3, s3, s4
	s_addc_u32 s4, s5, s10
	s_ashr_i32 s5, s9, 31
	s_ashr_i32 s10, s8, 31
	v_alignbit_b32 v6, s5, s9, 2
	v_alignbit_b32 v8, s10, s8, 2
	s_lshr_b32 s5, s5, 2
	v_sub_nc_u32_e32 v3, v85, v1
	s_delay_alu instid0(VALU_DEP_3) | instskip(NEXT) | instid1(VALU_DEP_2)
	v_mad_u64_u32 v[4:5], null, v6, v100, 0
	v_mad_u64_u32 v[6:7], null, v8, v3, 0
	s_delay_alu instid0(VALU_DEP_2) | instskip(NEXT) | instid1(VALU_DEP_2)
	v_mov_b32_e32 v1, v5
	v_mov_b32_e32 v5, v7
	s_delay_alu instid0(VALU_DEP_2)
	v_mad_u64_u32 v[7:8], null, s5, v100, v[1:2]
	s_lshr_b32 s5, s10, 2
	s_delay_alu instid0(VALU_DEP_2) | instid1(SALU_CYCLE_1)
	v_mad_u64_u32 v[8:9], null, s5, v3, v[5:6]
	s_delay_alu instid0(VALU_DEP_2) | instskip(NEXT) | instid1(VALU_DEP_2)
	v_mov_b32_e32 v5, v7
	v_mov_b32_e32 v7, v8
	s_delay_alu instid0(VALU_DEP_1) | instskip(SKIP_1) | instid1(VALU_DEP_4)
	v_lshlrev_b64 v[0:1], 2, v[6:7]
	v_lshlrev_b32_e32 v6, 4, v84
	v_lshlrev_b64 v[4:5], 2, v[4:5]
	s_delay_alu instid0(VALU_DEP_1) | instskip(NEXT) | instid1(VALU_DEP_2)
	v_add_co_u32 v4, vcc_lo, s3, v4
	v_add_co_ci_u32_e32 v5, vcc_lo, s4, v5, vcc_lo
	s_load_b32 s3, s[0:1], 0x40
	s_delay_alu instid0(VALU_DEP_2) | instskip(NEXT) | instid1(VALU_DEP_2)
	v_add_co_u32 v0, vcc_lo, v4, v0
	v_add_co_ci_u32_e32 v1, vcc_lo, v5, v1, vcc_lo
	v_mul_u32_u24_e32 v4, 0x120, v2
	s_delay_alu instid0(VALU_DEP_3) | instskip(NEXT) | instid1(VALU_DEP_3)
	v_add_co_u32 v0, vcc_lo, v0, v6
	v_add_co_ci_u32_e32 v1, vcc_lo, 0, v1, vcc_lo
	s_clause 0x3
	global_load_b128 v[5:8], v[0:1], off
	global_load_b128 v[9:12], v[0:1], off offset:512
	global_load_b128 v[13:16], v[0:1], off offset:1024
	;; [unrolled: 1-line block ×3, first 2 shown]
	v_add_lshl_u32 v4, v21, v4, 2
	s_mov_b32 s4, exec_lo
	s_delay_alu instid0(VALU_DEP_1)
	v_add_nc_u32_e32 v29, 0x2000, v4
	s_waitcnt vmcnt(3) lgkmcnt(0)
	v_fma_mixlo_f16 v21, v5, s3, 0
	v_fma_mixlo_f16 v22, v7, s3, 0
	s_waitcnt vmcnt(2)
	v_fma_mixlo_f16 v23, v9, s3, 0
	v_fma_mixlo_f16 v24, v11, s3, 0
	s_waitcnt vmcnt(1)
	;; [unrolled: 3-line block ×3, first 2 shown]
	v_fma_mixlo_f16 v27, v17, s3, 0
	v_fma_mixlo_f16 v28, v19, s3, 0
	v_fma_mixhi_f16 v22, v8, s3, 0
	v_fma_mixhi_f16 v21, v6, s3, 0
	;; [unrolled: 1-line block ×8, first 2 shown]
	ds_store_2addr_b64 v29, v[21:22], v[23:24] offset0:128 offset1:160
	ds_store_2addr_b64 v29, v[25:26], v[27:28] offset0:192 offset1:224
	v_cmpx_gt_u32_e32 16, v84
	s_cbranch_execz .LBB28_4
; %bb.3:
	global_load_b128 v[5:8], v[0:1], off offset:2048
	v_add_nc_u32_e32 v4, 0x2400, v4
	s_waitcnt vmcnt(0)
	v_fma_mixlo_f16 v1, v7, s3, 0
	v_fma_mixlo_f16 v0, v5, s3, 0
	s_delay_alu instid0(VALU_DEP_2) | instskip(NEXT) | instid1(VALU_DEP_2)
	v_fma_mixhi_f16 v1, v8, s3, 0
	v_fma_mixhi_f16 v0, v6, s3, 0
	ds_store_b64 v4, v[0:1] offset:1024
.LBB28_4:
	s_or_b32 exec_lo, exec_lo, s4
	s_cmp_eq_u64 s[26:27], 0
	s_waitcnt lgkmcnt(0)
	s_barrier
	buffer_gl0_inv
	s_cbranch_scc1 .LBB28_6
; %bb.5:
	s_load_b32 s2, s[0:1], 0xd0
	s_mov_b32 s3, 0
	s_waitcnt lgkmcnt(0)
	s_mul_i32 s2, s2, s12
	s_delay_alu instid0(SALU_CYCLE_1) | instskip(NEXT) | instid1(SALU_CYCLE_1)
	s_add_i32 s2, s2, s13
	s_lshl_b64 s[2:3], s[2:3], 2
	s_delay_alu instid0(SALU_CYCLE_1)
	s_add_u32 s2, s26, s2
	s_addc_u32 s3, s27, s3
	s_load_b32 s2, s[2:3], 0x0
.LBB28_6:
	v_lshlrev_b32_e32 v101, 2, v84
	v_mbcnt_lo_u32_b32 v102, -1, 0
	s_lshl_b32 s3, s14, 6
	s_waitcnt lgkmcnt(0)
	s_cmp_lt_i32 s3, s2
	s_cbranch_scc1 .LBB28_8
; %bb.7:
	v_mbcnt_lo_u32_b32 v4, -1, 0
	v_mov_b32_e32 v1, 32
	s_mov_b32 s4, 0
	s_mov_b32 s5, 0xfeffffff
	s_delay_alu instid0(VALU_DEP_2)
	v_xor_b32_e32 v128, 16, v4
	v_xor_b32_e32 v129, 8, v4
	;; [unrolled: 1-line block ×5, first 2 shown]
	s_branch .LBB28_9
.LBB28_8:
	s_mov_b32 s4, -1
                                        ; implicit-def: $sgpr5
                                        ; implicit-def: $vgpr4
                                        ; implicit-def: $vgpr1
                                        ; implicit-def: $vgpr128
                                        ; implicit-def: $vgpr129
                                        ; implicit-def: $vgpr130
                                        ; implicit-def: $vgpr131
                                        ; implicit-def: $vgpr132
.LBB28_9:
	s_delay_alu instid0(SALU_CYCLE_1) | instskip(SKIP_2) | instid1(VALU_DEP_3)
	v_cndmask_b32_e64 v5, 0, 1, s4
	v_dual_mov_b32 v123, s4 :: v_dual_mov_b32 v0, s4
	v_dual_mov_b32 v99, s5 :: v_dual_mov_b32 v124, s4
	v_cmp_ne_u32_e32 vcc_lo, 1, v5
	v_dual_mov_b32 v125, s4 :: v_dual_mov_b32 v126, s4
	v_dual_mov_b32 v121, s4 :: v_dual_mov_b32 v122, s4
	;; [unrolled: 1-line block ×3, first 2 shown]
	s_cbranch_vccnz .LBB28_22
; %bb.10:
	s_clause 0x1
	s_load_b64 s[4:5], s[0:1], 0x8c
	s_load_b128 s[8:11], s[0:1], 0x98
	s_sub_i32 s13, 0, s33
	s_abs_i32 s17, s15
	s_mul_i32 s13, s13, s39
	s_ashr_i32 s27, s38, 31
	s_mul_hi_u32 s13, s39, s13
	s_ashr_i32 s38, s12, 31
	s_add_i32 s39, s39, s13
	s_ashr_i32 s36, s37, 1
	s_mul_hi_u32 s37, s17, s39
	s_ashr_i32 s26, s15, 31
	s_load_b64 s[22:23], s[0:1], 0xa8
	s_mul_i32 s39, s37, s33
	v_lshrrev_b32_e32 v0, 3, v84
	v_dual_mov_b32 v119, 0 :: v_dual_and_b32 v12, 28, v101
	v_dual_mov_b32 v126, 0 :: v_dual_lshlrev_b32 v107, 2, v101
	s_delay_alu instid0(VALU_DEP_3)
	v_lshl_add_u32 v1, v2, 2, v0
	s_waitcnt lgkmcnt(0)
	s_ashr_i32 s13, s4, 2
	s_mul_i32 s4, s12, s9
	s_mul_hi_u32 s9, s12, s8
	s_mul_i32 s40, s38, s8
	s_add_i32 s4, s9, s4
	s_mul_i32 s8, s12, s8
	s_ashr_i32 s16, s10, 2
	s_add_i32 s4, s4, s40
	s_add_u32 s8, s18, s8
	s_addc_u32 s4, s19, s4
	s_sub_i32 s17, s17, s39
	s_xor_b32 s9, s26, s27
	s_add_i32 s18, s37, 1
	s_sub_i32 s19, s17, s33
	s_cmp_ge_u32 s17, s33
	s_mul_i32 s38, s38, s22
	s_cselect_b32 s18, s18, s37
	s_cselect_b32 s17, s19, s17
	s_add_i32 s19, s18, 1
	s_cmp_ge_u32 s17, s33
	v_mul_lo_u32 v0, s13, v1
	s_cselect_b32 s17, s19, s18
	s_mul_i32 s18, s12, s23
	s_xor_b32 s17, s17, s9
	s_mul_hi_u32 s19, s12, s22
	s_sub_i32 s17, s17, s9
	s_mul_i32 s22, s12, s22
	s_mul_i32 s5, s17, s5
	;; [unrolled: 1-line block ×3, first 2 shown]
	s_ashr_i32 s9, s5, 31
	s_add_u32 s8, s8, s5
	s_addc_u32 s9, s4, s9
	s_add_i32 s4, s19, s18
	v_mul_lo_u32 v10, s16, v2
	s_add_i32 s4, s4, s38
	s_add_u32 s5, s20, s22
	s_addc_u32 s4, s21, s4
	s_ashr_i32 s18, s17, 31
	s_add_u32 s11, s5, s17
	s_addc_u32 s17, s4, s18
	s_lshl_b32 s4, s13, 4
	s_delay_alu instid0(SALU_CYCLE_1) | instskip(SKIP_3) | instid1(VALU_DEP_3)
	v_dual_mov_b32 v127, 0xfeffffff :: v_dual_add_nc_u32 v4, s4, v0
	s_load_b32 s18, s[0:1], 0x54
	v_mov_b32_e32 v121, 0
	v_dual_mov_b32 v120, 0 :: v_dual_lshlrev_b32 v5, 2, v12
	v_add_nc_u32_e32 v6, s4, v4
	v_lshl_add_u32 v110, v2, 7, 0x3600
	v_lshl_add_u32 v111, v2, 10, v107
	s_delay_alu instid0(VALU_DEP_4)
	v_mad_u32_u24 v103, 0x90, v1, v5
	v_ashrrev_i32_e32 v1, 31, v0
	v_dual_mov_b32 v123, 0 :: v_dual_add_nc_u32 v8, s4, v6
	s_movk_i32 s4, 0x480
	v_ashrrev_i32_e32 v5, 31, v4
	v_mad_u32_u24 v108, v2, s4, 0x2400
	s_and_b32 s4, s10, -4
	v_ashrrev_i32_e32 v7, 31, v6
	v_add_nc_u32_e32 v2, s4, v10
	v_ashrrev_i32_e32 v9, 31, v8
	v_mad_u64_u32 v[86:87], null, v3, s36, v[84:85]
	v_ashrrev_i32_e32 v11, 31, v10
	s_delay_alu instid0(VALU_DEP_4)
	v_ashrrev_i32_e32 v3, 31, v2
	v_lshlrev_b64 v[87:88], 2, v[0:1]
	v_lshlrev_b64 v[89:90], 2, v[4:5]
	;; [unrolled: 1-line block ×6, first 2 shown]
	v_dual_mov_b32 v125, 0 :: v_dual_add_nc_u32 v104, 0x900, v103
	v_dual_mov_b32 v122, 0 :: v_dual_add_nc_u32 v105, 0x1200, v103
	v_add_nc_u32_e32 v106, 0x1b00, v103
	v_mul_u32_u24_e32 v109, 0x90, v84
	v_lshl_add_u32 v112, v84, 1, v110
	v_dual_mov_b32 v124, 0 :: v_dual_add_nc_u32 v113, 0x200, v111
	v_add_nc_u32_e32 v114, 0x1000, v111
	v_dual_mov_b32 v118, 0 :: v_dual_add_nc_u32 v115, 0x1200, v111
	v_lshlrev_b32_e32 v116, 3, v84
	v_lshlrev_b32_e32 v117, 2, v12
	s_add_u32 s4, s0, 0xd0
	s_addc_u32 s5, s1, 0
	s_mov_b32 s10, 0xbbbac73d
.LBB28_11:                              ; =>This Inner Loop Header: Depth=1
	s_mul_hi_i32 s21, s3, s13
	s_mul_i32 s20, s3, s13
	s_delay_alu instid0(SALU_CYCLE_1) | instskip(NEXT) | instid1(SALU_CYCLE_1)
	s_lshl_b64 s[20:21], s[20:21], 2
	s_add_u32 s19, s8, s20
	s_addc_u32 s20, s9, s21
	v_add_co_u32 v0, vcc_lo, s19, v87
	v_add_co_ci_u32_e32 v1, vcc_lo, s20, v88, vcc_lo
	v_add_co_u32 v2, vcc_lo, s19, v89
	v_add_co_ci_u32_e32 v3, vcc_lo, s20, v90, vcc_lo
	s_delay_alu instid0(VALU_DEP_4) | instskip(NEXT) | instid1(VALU_DEP_4)
	v_add_co_u32 v0, vcc_lo, v0, v117
	v_add_co_ci_u32_e32 v1, vcc_lo, 0, v1, vcc_lo
	s_delay_alu instid0(VALU_DEP_4) | instskip(NEXT) | instid1(VALU_DEP_4)
	v_add_co_u32 v2, vcc_lo, v2, v117
	v_add_co_ci_u32_e32 v3, vcc_lo, 0, v3, vcc_lo
	v_add_co_u32 v4, vcc_lo, s19, v91
	v_add_co_ci_u32_e32 v5, vcc_lo, s20, v92, vcc_lo
	;; [unrolled: 2-line block ×3, first 2 shown]
	s_delay_alu instid0(VALU_DEP_4) | instskip(NEXT) | instid1(VALU_DEP_4)
	v_add_co_u32 v4, vcc_lo, v4, v117
	v_add_co_ci_u32_e32 v5, vcc_lo, 0, v5, vcc_lo
	s_delay_alu instid0(VALU_DEP_4) | instskip(NEXT) | instid1(VALU_DEP_4)
	v_add_co_u32 v6, vcc_lo, v6, v117
	v_add_co_ci_u32_e32 v7, vcc_lo, 0, v7, vcc_lo
	s_clause 0x3
	global_load_b128 v[8:11], v[0:1], off
	global_load_b128 v[12:15], v[2:3], off
	global_load_b128 v[16:19], v[4:5], off
	global_load_b128 v[20:23], v[6:7], off
	s_waitcnt vmcnt(3)
	ds_store_b128 v103, v[8:11]
	s_waitcnt vmcnt(2)
	ds_store_b128 v104, v[12:15]
	;; [unrolled: 2-line block ×4, first 2 shown]
	s_waitcnt lgkmcnt(0)
	s_barrier
	buffer_gl0_inv
	ds_load_b128 v[10:13], v109
	ds_load_b128 v[14:17], v108
	ds_load_b128 v[18:21], v109 offset:4608
	v_dual_mov_b32 v8, 0 :: v_dual_mov_b32 v9, 0
	s_waitcnt lgkmcnt(1)
	;;#ASMSTART
	v_dot2_f32_f16 v8, v10, v14, v8
	;;#ASMEND
	;;#ASMSTART
	v_dot2_f32_f16 v8, v11, v15, v8
	;;#ASMEND
	;;#ASMSTART
	v_dot2_f32_f16 v8, v12, v16, v8
	;;#ASMEND
	;;#ASMSTART
	v_dot2_f32_f16 v8, v13, v17, v8
	;;#ASMEND
	s_waitcnt lgkmcnt(0)
	;;#ASMSTART
	v_dot2_f32_f16 v9, v18, v14, v9
	;;#ASMEND
	;;#ASMSTART
	v_dot2_f32_f16 v9, v19, v15, v9
	;;#ASMEND
	;;#ASMSTART
	v_dot2_f32_f16 v9, v20, v16, v9
	;;#ASMEND
	;;#ASMSTART
	v_dot2_f32_f16 v9, v21, v17, v9
	;;#ASMEND
	ds_load_b128 v[10:13], v109 offset:16
	ds_load_b128 v[14:17], v108 offset:16
	ds_load_b128 v[18:21], v109 offset:4624
	s_waitcnt lgkmcnt(1)
	;;#ASMSTART
	v_dot2_f32_f16 v8, v10, v14, v8
	;;#ASMEND
	;;#ASMSTART
	v_dot2_f32_f16 v8, v11, v15, v8
	;;#ASMEND
	;;#ASMSTART
	v_dot2_f32_f16 v8, v12, v16, v8
	;;#ASMEND
	;;#ASMSTART
	v_dot2_f32_f16 v8, v13, v17, v8
	;;#ASMEND
	s_waitcnt lgkmcnt(0)
	;;#ASMSTART
	v_dot2_f32_f16 v9, v18, v14, v9
	;;#ASMEND
	;;#ASMSTART
	v_dot2_f32_f16 v9, v19, v15, v9
	;;#ASMEND
	;;#ASMSTART
	v_dot2_f32_f16 v9, v20, v16, v9
	;;#ASMEND
	;;#ASMSTART
	v_dot2_f32_f16 v9, v21, v17, v9
	;;#ASMEND
	ds_load_b128 v[10:13], v109 offset:32
	ds_load_b128 v[14:17], v108 offset:32
	ds_load_b128 v[18:21], v109 offset:4640
	;; [unrolled: 29-line block ×7, first 2 shown]
	s_waitcnt lgkmcnt(1)
	;;#ASMSTART
	v_dot2_f32_f16 v8, v10, v14, v8
	;;#ASMEND
	;;#ASMSTART
	v_dot2_f32_f16 v8, v11, v15, v8
	;;#ASMEND
	;; [unrolled: 3-line block ×4, first 2 shown]
	s_waitcnt lgkmcnt(0)
	;;#ASMSTART
	v_dot2_f32_f16 v9, v18, v14, v9
	;;#ASMEND
	;;#ASMSTART
	v_dot2_f32_f16 v9, v19, v15, v9
	;;#ASMEND
	;; [unrolled: 3-line block ×4, first 2 shown]
	s_barrier
	buffer_gl0_inv
	s_clause 0x3
	global_load_b128 v[10:13], v[0:1], off offset:128
	global_load_b128 v[14:17], v[2:3], off offset:128
	;; [unrolled: 1-line block ×4, first 2 shown]
	s_waitcnt vmcnt(3)
	ds_store_b128 v103, v[10:13]
	s_waitcnt vmcnt(2)
	ds_store_b128 v104, v[14:17]
	s_waitcnt vmcnt(1)
	ds_store_b128 v105, v[18:21]
	s_waitcnt vmcnt(0)
	ds_store_b128 v106, v[22:25]
	s_waitcnt lgkmcnt(0)
	s_barrier
	buffer_gl0_inv
	ds_load_b128 v[10:13], v109
	ds_load_b128 v[14:17], v108 offset:128
	ds_load_b128 v[18:21], v109 offset:4608
	s_waitcnt lgkmcnt(1)
	;;#ASMSTART
	v_dot2_f32_f16 v8, v10, v14, v8
	;;#ASMEND
	;;#ASMSTART
	v_dot2_f32_f16 v8, v11, v15, v8
	;;#ASMEND
	;;#ASMSTART
	v_dot2_f32_f16 v8, v12, v16, v8
	;;#ASMEND
	;;#ASMSTART
	v_dot2_f32_f16 v8, v13, v17, v8
	;;#ASMEND
	s_waitcnt lgkmcnt(0)
	;;#ASMSTART
	v_dot2_f32_f16 v9, v18, v14, v9
	;;#ASMEND
	;;#ASMSTART
	v_dot2_f32_f16 v9, v19, v15, v9
	;;#ASMEND
	;;#ASMSTART
	v_dot2_f32_f16 v9, v20, v16, v9
	;;#ASMEND
	;;#ASMSTART
	v_dot2_f32_f16 v9, v21, v17, v9
	;;#ASMEND
	ds_load_b128 v[10:13], v109 offset:16
	ds_load_b128 v[14:17], v108 offset:144
	ds_load_b128 v[18:21], v109 offset:4624
	s_waitcnt lgkmcnt(1)
	;;#ASMSTART
	v_dot2_f32_f16 v8, v10, v14, v8
	;;#ASMEND
	;;#ASMSTART
	v_dot2_f32_f16 v8, v11, v15, v8
	;;#ASMEND
	;;#ASMSTART
	v_dot2_f32_f16 v8, v12, v16, v8
	;;#ASMEND
	;;#ASMSTART
	v_dot2_f32_f16 v8, v13, v17, v8
	;;#ASMEND
	s_waitcnt lgkmcnt(0)
	;;#ASMSTART
	v_dot2_f32_f16 v9, v18, v14, v9
	;;#ASMEND
	;;#ASMSTART
	v_dot2_f32_f16 v9, v19, v15, v9
	;;#ASMEND
	;;#ASMSTART
	v_dot2_f32_f16 v9, v20, v16, v9
	;;#ASMEND
	;;#ASMSTART
	v_dot2_f32_f16 v9, v21, v17, v9
	;;#ASMEND
	ds_load_b128 v[10:13], v109 offset:32
	;; [unrolled: 29-line block ×7, first 2 shown]
	ds_load_b128 v[14:17], v108 offset:240
	ds_load_b128 v[18:21], v109 offset:4720
	s_waitcnt lgkmcnt(1)
	;;#ASMSTART
	v_dot2_f32_f16 v8, v10, v14, v8
	;;#ASMEND
	;;#ASMSTART
	v_dot2_f32_f16 v8, v11, v15, v8
	;;#ASMEND
	;; [unrolled: 3-line block ×4, first 2 shown]
	s_waitcnt lgkmcnt(0)
	;;#ASMSTART
	v_dot2_f32_f16 v9, v18, v14, v9
	;;#ASMEND
	;;#ASMSTART
	v_dot2_f32_f16 v9, v19, v15, v9
	;;#ASMEND
	;; [unrolled: 3-line block ×4, first 2 shown]
	s_barrier
	buffer_gl0_inv
	s_clause 0x3
	global_load_b128 v[10:13], v[0:1], off offset:256
	global_load_b128 v[14:17], v[2:3], off offset:256
	global_load_b128 v[18:21], v[4:5], off offset:256
	global_load_b128 v[22:25], v[6:7], off offset:256
	s_waitcnt vmcnt(3)
	ds_store_b128 v103, v[10:13]
	s_waitcnt vmcnt(2)
	ds_store_b128 v104, v[14:17]
	;; [unrolled: 2-line block ×4, first 2 shown]
	s_waitcnt lgkmcnt(0)
	s_barrier
	buffer_gl0_inv
	ds_load_b128 v[10:13], v109
	ds_load_b128 v[14:17], v108 offset:256
	ds_load_b128 v[18:21], v109 offset:4608
	s_waitcnt lgkmcnt(1)
	;;#ASMSTART
	v_dot2_f32_f16 v8, v10, v14, v8
	;;#ASMEND
	;;#ASMSTART
	v_dot2_f32_f16 v8, v11, v15, v8
	;;#ASMEND
	;;#ASMSTART
	v_dot2_f32_f16 v8, v12, v16, v8
	;;#ASMEND
	;;#ASMSTART
	v_dot2_f32_f16 v8, v13, v17, v8
	;;#ASMEND
	s_waitcnt lgkmcnt(0)
	;;#ASMSTART
	v_dot2_f32_f16 v9, v18, v14, v9
	;;#ASMEND
	;;#ASMSTART
	v_dot2_f32_f16 v9, v19, v15, v9
	;;#ASMEND
	;;#ASMSTART
	v_dot2_f32_f16 v9, v20, v16, v9
	;;#ASMEND
	;;#ASMSTART
	v_dot2_f32_f16 v9, v21, v17, v9
	;;#ASMEND
	ds_load_b128 v[10:13], v109 offset:16
	ds_load_b128 v[14:17], v108 offset:272
	ds_load_b128 v[18:21], v109 offset:4624
	s_waitcnt lgkmcnt(1)
	;;#ASMSTART
	v_dot2_f32_f16 v8, v10, v14, v8
	;;#ASMEND
	;;#ASMSTART
	v_dot2_f32_f16 v8, v11, v15, v8
	;;#ASMEND
	;;#ASMSTART
	v_dot2_f32_f16 v8, v12, v16, v8
	;;#ASMEND
	;;#ASMSTART
	v_dot2_f32_f16 v8, v13, v17, v8
	;;#ASMEND
	s_waitcnt lgkmcnt(0)
	;;#ASMSTART
	v_dot2_f32_f16 v9, v18, v14, v9
	;;#ASMEND
	;;#ASMSTART
	v_dot2_f32_f16 v9, v19, v15, v9
	;;#ASMEND
	;;#ASMSTART
	v_dot2_f32_f16 v9, v20, v16, v9
	;;#ASMEND
	;;#ASMSTART
	v_dot2_f32_f16 v9, v21, v17, v9
	;;#ASMEND
	ds_load_b128 v[10:13], v109 offset:32
	;; [unrolled: 29-line block ×7, first 2 shown]
	ds_load_b128 v[14:17], v108 offset:368
	ds_load_b128 v[18:21], v109 offset:4720
	s_waitcnt lgkmcnt(1)
	;;#ASMSTART
	v_dot2_f32_f16 v8, v10, v14, v8
	;;#ASMEND
	;;#ASMSTART
	v_dot2_f32_f16 v8, v11, v15, v8
	;;#ASMEND
	;; [unrolled: 3-line block ×4, first 2 shown]
	s_waitcnt lgkmcnt(0)
	;;#ASMSTART
	v_dot2_f32_f16 v9, v18, v14, v9
	;;#ASMEND
	;;#ASMSTART
	v_dot2_f32_f16 v9, v19, v15, v9
	;;#ASMEND
	;;#ASMSTART
	v_dot2_f32_f16 v9, v20, v16, v9
	;;#ASMEND
	;;#ASMSTART
	v_dot2_f32_f16 v9, v21, v17, v9
	;;#ASMEND
	s_barrier
	buffer_gl0_inv
	s_clause 0x3
	global_load_b128 v[10:13], v[0:1], off offset:384
	global_load_b128 v[14:17], v[2:3], off offset:384
	;; [unrolled: 1-line block ×4, first 2 shown]
	s_waitcnt vmcnt(3)
	ds_store_b128 v103, v[10:13]
	s_waitcnt vmcnt(2)
	ds_store_b128 v104, v[14:17]
	;; [unrolled: 2-line block ×4, first 2 shown]
	s_waitcnt lgkmcnt(0)
	s_barrier
	buffer_gl0_inv
	ds_load_b128 v[10:13], v109
	ds_load_b128 v[14:17], v108 offset:384
	ds_load_b128 v[18:21], v109 offset:4608
	s_waitcnt lgkmcnt(1)
	;;#ASMSTART
	v_dot2_f32_f16 v8, v10, v14, v8
	;;#ASMEND
	;;#ASMSTART
	v_dot2_f32_f16 v8, v11, v15, v8
	;;#ASMEND
	;;#ASMSTART
	v_dot2_f32_f16 v8, v12, v16, v8
	;;#ASMEND
	;;#ASMSTART
	v_dot2_f32_f16 v8, v13, v17, v8
	;;#ASMEND
	s_waitcnt lgkmcnt(0)
	;;#ASMSTART
	v_dot2_f32_f16 v9, v18, v14, v9
	;;#ASMEND
	;;#ASMSTART
	v_dot2_f32_f16 v9, v19, v15, v9
	;;#ASMEND
	;;#ASMSTART
	v_dot2_f32_f16 v9, v20, v16, v9
	;;#ASMEND
	;;#ASMSTART
	v_dot2_f32_f16 v9, v21, v17, v9
	;;#ASMEND
	ds_load_b128 v[10:13], v109 offset:16
	ds_load_b128 v[14:17], v108 offset:400
	ds_load_b128 v[18:21], v109 offset:4624
	s_waitcnt lgkmcnt(1)
	;;#ASMSTART
	v_dot2_f32_f16 v8, v10, v14, v8
	;;#ASMEND
	;;#ASMSTART
	v_dot2_f32_f16 v8, v11, v15, v8
	;;#ASMEND
	;;#ASMSTART
	v_dot2_f32_f16 v8, v12, v16, v8
	;;#ASMEND
	;;#ASMSTART
	v_dot2_f32_f16 v8, v13, v17, v8
	;;#ASMEND
	s_waitcnt lgkmcnt(0)
	;;#ASMSTART
	v_dot2_f32_f16 v9, v18, v14, v9
	;;#ASMEND
	;;#ASMSTART
	v_dot2_f32_f16 v9, v19, v15, v9
	;;#ASMEND
	;;#ASMSTART
	v_dot2_f32_f16 v9, v20, v16, v9
	;;#ASMEND
	;;#ASMSTART
	v_dot2_f32_f16 v9, v21, v17, v9
	;;#ASMEND
	ds_load_b128 v[10:13], v109 offset:32
	;; [unrolled: 29-line block ×7, first 2 shown]
	ds_load_b128 v[14:17], v108 offset:496
	ds_load_b128 v[18:21], v109 offset:4720
	s_waitcnt lgkmcnt(1)
	;;#ASMSTART
	v_dot2_f32_f16 v8, v10, v14, v8
	;;#ASMEND
	;;#ASMSTART
	v_dot2_f32_f16 v8, v11, v15, v8
	;;#ASMEND
	;; [unrolled: 3-line block ×4, first 2 shown]
	s_waitcnt lgkmcnt(0)
	;;#ASMSTART
	v_dot2_f32_f16 v9, v18, v14, v9
	;;#ASMEND
	;;#ASMSTART
	v_dot2_f32_f16 v9, v19, v15, v9
	;;#ASMEND
	;; [unrolled: 3-line block ×4, first 2 shown]
	s_barrier
	buffer_gl0_inv
	s_clause 0x3
	global_load_b128 v[10:13], v[0:1], off offset:512
	global_load_b128 v[14:17], v[2:3], off offset:512
	;; [unrolled: 1-line block ×4, first 2 shown]
	s_waitcnt vmcnt(3)
	ds_store_b128 v103, v[10:13]
	s_waitcnt vmcnt(2)
	ds_store_b128 v104, v[14:17]
	;; [unrolled: 2-line block ×4, first 2 shown]
	s_waitcnt lgkmcnt(0)
	s_barrier
	buffer_gl0_inv
	ds_load_b128 v[10:13], v109
	ds_load_b128 v[14:17], v108 offset:512
	ds_load_b128 v[18:21], v109 offset:4608
	s_waitcnt lgkmcnt(1)
	;;#ASMSTART
	v_dot2_f32_f16 v8, v10, v14, v8
	;;#ASMEND
	;;#ASMSTART
	v_dot2_f32_f16 v8, v11, v15, v8
	;;#ASMEND
	;;#ASMSTART
	v_dot2_f32_f16 v8, v12, v16, v8
	;;#ASMEND
	;;#ASMSTART
	v_dot2_f32_f16 v8, v13, v17, v8
	;;#ASMEND
	s_waitcnt lgkmcnt(0)
	;;#ASMSTART
	v_dot2_f32_f16 v9, v18, v14, v9
	;;#ASMEND
	;;#ASMSTART
	v_dot2_f32_f16 v9, v19, v15, v9
	;;#ASMEND
	;;#ASMSTART
	v_dot2_f32_f16 v9, v20, v16, v9
	;;#ASMEND
	;;#ASMSTART
	v_dot2_f32_f16 v9, v21, v17, v9
	;;#ASMEND
	ds_load_b128 v[10:13], v109 offset:16
	ds_load_b128 v[14:17], v108 offset:528
	ds_load_b128 v[18:21], v109 offset:4624
	s_waitcnt lgkmcnt(1)
	;;#ASMSTART
	v_dot2_f32_f16 v8, v10, v14, v8
	;;#ASMEND
	;;#ASMSTART
	v_dot2_f32_f16 v8, v11, v15, v8
	;;#ASMEND
	;;#ASMSTART
	v_dot2_f32_f16 v8, v12, v16, v8
	;;#ASMEND
	;;#ASMSTART
	v_dot2_f32_f16 v8, v13, v17, v8
	;;#ASMEND
	s_waitcnt lgkmcnt(0)
	;;#ASMSTART
	v_dot2_f32_f16 v9, v18, v14, v9
	;;#ASMEND
	;;#ASMSTART
	v_dot2_f32_f16 v9, v19, v15, v9
	;;#ASMEND
	;;#ASMSTART
	v_dot2_f32_f16 v9, v20, v16, v9
	;;#ASMEND
	;;#ASMSTART
	v_dot2_f32_f16 v9, v21, v17, v9
	;;#ASMEND
	ds_load_b128 v[10:13], v109 offset:32
	;; [unrolled: 29-line block ×7, first 2 shown]
	ds_load_b128 v[14:17], v108 offset:624
	ds_load_b128 v[18:21], v109 offset:4720
	s_waitcnt lgkmcnt(1)
	;;#ASMSTART
	v_dot2_f32_f16 v8, v10, v14, v8
	;;#ASMEND
	;;#ASMSTART
	v_dot2_f32_f16 v8, v11, v15, v8
	;;#ASMEND
	;; [unrolled: 3-line block ×4, first 2 shown]
	s_waitcnt lgkmcnt(0)
	;;#ASMSTART
	v_dot2_f32_f16 v9, v18, v14, v9
	;;#ASMEND
	;;#ASMSTART
	v_dot2_f32_f16 v9, v19, v15, v9
	;;#ASMEND
	;; [unrolled: 3-line block ×4, first 2 shown]
	s_barrier
	buffer_gl0_inv
	s_clause 0x3
	global_load_b128 v[10:13], v[0:1], off offset:640
	global_load_b128 v[14:17], v[2:3], off offset:640
	;; [unrolled: 1-line block ×4, first 2 shown]
	s_waitcnt vmcnt(3)
	ds_store_b128 v103, v[10:13]
	s_waitcnt vmcnt(2)
	ds_store_b128 v104, v[14:17]
	;; [unrolled: 2-line block ×4, first 2 shown]
	s_waitcnt lgkmcnt(0)
	s_barrier
	buffer_gl0_inv
	ds_load_b128 v[10:13], v109
	ds_load_b128 v[14:17], v108 offset:640
	ds_load_b128 v[18:21], v109 offset:4608
	s_waitcnt lgkmcnt(1)
	;;#ASMSTART
	v_dot2_f32_f16 v8, v10, v14, v8
	;;#ASMEND
	;;#ASMSTART
	v_dot2_f32_f16 v8, v11, v15, v8
	;;#ASMEND
	;;#ASMSTART
	v_dot2_f32_f16 v8, v12, v16, v8
	;;#ASMEND
	;;#ASMSTART
	v_dot2_f32_f16 v8, v13, v17, v8
	;;#ASMEND
	s_waitcnt lgkmcnt(0)
	;;#ASMSTART
	v_dot2_f32_f16 v9, v18, v14, v9
	;;#ASMEND
	;;#ASMSTART
	v_dot2_f32_f16 v9, v19, v15, v9
	;;#ASMEND
	;;#ASMSTART
	v_dot2_f32_f16 v9, v20, v16, v9
	;;#ASMEND
	;;#ASMSTART
	v_dot2_f32_f16 v9, v21, v17, v9
	;;#ASMEND
	ds_load_b128 v[10:13], v109 offset:16
	ds_load_b128 v[14:17], v108 offset:656
	ds_load_b128 v[18:21], v109 offset:4624
	s_waitcnt lgkmcnt(1)
	;;#ASMSTART
	v_dot2_f32_f16 v8, v10, v14, v8
	;;#ASMEND
	;;#ASMSTART
	v_dot2_f32_f16 v8, v11, v15, v8
	;;#ASMEND
	;;#ASMSTART
	v_dot2_f32_f16 v8, v12, v16, v8
	;;#ASMEND
	;;#ASMSTART
	v_dot2_f32_f16 v8, v13, v17, v8
	;;#ASMEND
	s_waitcnt lgkmcnt(0)
	;;#ASMSTART
	v_dot2_f32_f16 v9, v18, v14, v9
	;;#ASMEND
	;;#ASMSTART
	v_dot2_f32_f16 v9, v19, v15, v9
	;;#ASMEND
	;;#ASMSTART
	v_dot2_f32_f16 v9, v20, v16, v9
	;;#ASMEND
	;;#ASMSTART
	v_dot2_f32_f16 v9, v21, v17, v9
	;;#ASMEND
	ds_load_b128 v[10:13], v109 offset:32
	;; [unrolled: 29-line block ×7, first 2 shown]
	ds_load_b128 v[14:17], v108 offset:752
	ds_load_b128 v[18:21], v109 offset:4720
	s_waitcnt lgkmcnt(1)
	;;#ASMSTART
	v_dot2_f32_f16 v8, v10, v14, v8
	;;#ASMEND
	;;#ASMSTART
	v_dot2_f32_f16 v8, v11, v15, v8
	;;#ASMEND
	;; [unrolled: 3-line block ×4, first 2 shown]
	s_waitcnt lgkmcnt(0)
	;;#ASMSTART
	v_dot2_f32_f16 v9, v18, v14, v9
	;;#ASMEND
	;;#ASMSTART
	v_dot2_f32_f16 v9, v19, v15, v9
	;;#ASMEND
	;; [unrolled: 3-line block ×4, first 2 shown]
	s_barrier
	buffer_gl0_inv
	s_clause 0x3
	global_load_b128 v[10:13], v[0:1], off offset:768
	global_load_b128 v[14:17], v[2:3], off offset:768
	;; [unrolled: 1-line block ×4, first 2 shown]
	s_waitcnt vmcnt(3)
	ds_store_b128 v103, v[10:13]
	s_waitcnt vmcnt(2)
	ds_store_b128 v104, v[14:17]
	;; [unrolled: 2-line block ×4, first 2 shown]
	s_waitcnt lgkmcnt(0)
	s_barrier
	buffer_gl0_inv
	ds_load_b128 v[10:13], v109
	ds_load_b128 v[14:17], v108 offset:768
	ds_load_b128 v[18:21], v109 offset:4608
	s_waitcnt lgkmcnt(1)
	;;#ASMSTART
	v_dot2_f32_f16 v8, v10, v14, v8
	;;#ASMEND
	;;#ASMSTART
	v_dot2_f32_f16 v8, v11, v15, v8
	;;#ASMEND
	;;#ASMSTART
	v_dot2_f32_f16 v8, v12, v16, v8
	;;#ASMEND
	;;#ASMSTART
	v_dot2_f32_f16 v8, v13, v17, v8
	;;#ASMEND
	s_waitcnt lgkmcnt(0)
	;;#ASMSTART
	v_dot2_f32_f16 v9, v18, v14, v9
	;;#ASMEND
	;;#ASMSTART
	v_dot2_f32_f16 v9, v19, v15, v9
	;;#ASMEND
	;;#ASMSTART
	v_dot2_f32_f16 v9, v20, v16, v9
	;;#ASMEND
	;;#ASMSTART
	v_dot2_f32_f16 v9, v21, v17, v9
	;;#ASMEND
	ds_load_b128 v[10:13], v109 offset:16
	ds_load_b128 v[14:17], v108 offset:784
	ds_load_b128 v[18:21], v109 offset:4624
	s_waitcnt lgkmcnt(1)
	;;#ASMSTART
	v_dot2_f32_f16 v8, v10, v14, v8
	;;#ASMEND
	;;#ASMSTART
	v_dot2_f32_f16 v8, v11, v15, v8
	;;#ASMEND
	;;#ASMSTART
	v_dot2_f32_f16 v8, v12, v16, v8
	;;#ASMEND
	;;#ASMSTART
	v_dot2_f32_f16 v8, v13, v17, v8
	;;#ASMEND
	s_waitcnt lgkmcnt(0)
	;;#ASMSTART
	v_dot2_f32_f16 v9, v18, v14, v9
	;;#ASMEND
	;;#ASMSTART
	v_dot2_f32_f16 v9, v19, v15, v9
	;;#ASMEND
	;;#ASMSTART
	v_dot2_f32_f16 v9, v20, v16, v9
	;;#ASMEND
	;;#ASMSTART
	v_dot2_f32_f16 v9, v21, v17, v9
	;;#ASMEND
	ds_load_b128 v[10:13], v109 offset:32
	;; [unrolled: 29-line block ×7, first 2 shown]
	ds_load_b128 v[14:17], v108 offset:880
	ds_load_b128 v[18:21], v109 offset:4720
	s_waitcnt lgkmcnt(1)
	;;#ASMSTART
	v_dot2_f32_f16 v8, v10, v14, v8
	;;#ASMEND
	;;#ASMSTART
	v_dot2_f32_f16 v8, v11, v15, v8
	;;#ASMEND
	;; [unrolled: 3-line block ×4, first 2 shown]
	s_waitcnt lgkmcnt(0)
	;;#ASMSTART
	v_dot2_f32_f16 v9, v18, v14, v9
	;;#ASMEND
	;;#ASMSTART
	v_dot2_f32_f16 v9, v19, v15, v9
	;;#ASMEND
	;; [unrolled: 3-line block ×4, first 2 shown]
	s_barrier
	buffer_gl0_inv
	s_clause 0x3
	global_load_b128 v[10:13], v[0:1], off offset:896
	global_load_b128 v[14:17], v[2:3], off offset:896
	;; [unrolled: 1-line block ×4, first 2 shown]
	s_waitcnt vmcnt(3)
	ds_store_b128 v103, v[10:13]
	s_waitcnt vmcnt(2)
	ds_store_b128 v104, v[14:17]
	s_waitcnt vmcnt(1)
	ds_store_b128 v105, v[18:21]
	s_waitcnt vmcnt(0)
	ds_store_b128 v106, v[22:25]
	s_waitcnt lgkmcnt(0)
	s_barrier
	buffer_gl0_inv
	ds_load_b128 v[10:13], v109
	ds_load_b128 v[14:17], v108 offset:896
	ds_load_b128 v[18:21], v109 offset:4608
	s_waitcnt lgkmcnt(1)
	;;#ASMSTART
	v_dot2_f32_f16 v8, v10, v14, v8
	;;#ASMEND
	;;#ASMSTART
	v_dot2_f32_f16 v8, v11, v15, v8
	;;#ASMEND
	;;#ASMSTART
	v_dot2_f32_f16 v8, v12, v16, v8
	;;#ASMEND
	;;#ASMSTART
	v_dot2_f32_f16 v8, v13, v17, v8
	;;#ASMEND
	s_waitcnt lgkmcnt(0)
	;;#ASMSTART
	v_dot2_f32_f16 v9, v18, v14, v9
	;;#ASMEND
	;;#ASMSTART
	v_dot2_f32_f16 v9, v19, v15, v9
	;;#ASMEND
	;;#ASMSTART
	v_dot2_f32_f16 v9, v20, v16, v9
	;;#ASMEND
	;;#ASMSTART
	v_dot2_f32_f16 v9, v21, v17, v9
	;;#ASMEND
	ds_load_b128 v[10:13], v109 offset:16
	ds_load_b128 v[14:17], v108 offset:912
	ds_load_b128 v[18:21], v109 offset:4624
	s_waitcnt lgkmcnt(1)
	;;#ASMSTART
	v_dot2_f32_f16 v8, v10, v14, v8
	;;#ASMEND
	;;#ASMSTART
	v_dot2_f32_f16 v8, v11, v15, v8
	;;#ASMEND
	;;#ASMSTART
	v_dot2_f32_f16 v8, v12, v16, v8
	;;#ASMEND
	;;#ASMSTART
	v_dot2_f32_f16 v8, v13, v17, v8
	;;#ASMEND
	s_waitcnt lgkmcnt(0)
	;;#ASMSTART
	v_dot2_f32_f16 v9, v18, v14, v9
	;;#ASMEND
	;;#ASMSTART
	v_dot2_f32_f16 v9, v19, v15, v9
	;;#ASMEND
	;;#ASMSTART
	v_dot2_f32_f16 v9, v20, v16, v9
	;;#ASMEND
	;;#ASMSTART
	v_dot2_f32_f16 v9, v21, v17, v9
	;;#ASMEND
	ds_load_b128 v[10:13], v109 offset:32
	;; [unrolled: 29-line block ×7, first 2 shown]
	ds_load_b128 v[14:17], v108 offset:1008
	ds_load_b128 v[18:21], v109 offset:4720
	s_waitcnt lgkmcnt(1)
	;;#ASMSTART
	v_dot2_f32_f16 v8, v10, v14, v8
	;;#ASMEND
	;;#ASMSTART
	v_dot2_f32_f16 v8, v11, v15, v8
	;;#ASMEND
	;; [unrolled: 3-line block ×4, first 2 shown]
	s_waitcnt lgkmcnt(0)
	;;#ASMSTART
	v_dot2_f32_f16 v9, v18, v14, v9
	;;#ASMEND
	;;#ASMSTART
	v_dot2_f32_f16 v9, v19, v15, v9
	;;#ASMEND
	;; [unrolled: 3-line block ×4, first 2 shown]
	s_barrier
	buffer_gl0_inv
	s_clause 0x3
	global_load_b128 v[10:13], v[0:1], off offset:1024
	global_load_b128 v[0:3], v[2:3], off offset:1024
	;; [unrolled: 1-line block ×4, first 2 shown]
	s_waitcnt vmcnt(3)
	ds_store_b128 v103, v[10:13]
	s_waitcnt vmcnt(2)
	ds_store_b128 v104, v[0:3]
	;; [unrolled: 2-line block ×4, first 2 shown]
	s_waitcnt lgkmcnt(0)
	s_barrier
	buffer_gl0_inv
	ds_load_b128 v[0:3], v109
	ds_load_b128 v[4:7], v108 offset:1024
	ds_load_b128 v[10:13], v109 offset:4608
	s_waitcnt lgkmcnt(1)
	;;#ASMSTART
	v_dot2_f32_f16 v8, v0, v4, v8
	;;#ASMEND
	;;#ASMSTART
	v_dot2_f32_f16 v8, v1, v5, v8
	;;#ASMEND
	;;#ASMSTART
	v_dot2_f32_f16 v8, v2, v6, v8
	;;#ASMEND
	;;#ASMSTART
	v_dot2_f32_f16 v8, v3, v7, v8
	;;#ASMEND
	s_waitcnt lgkmcnt(0)
	;;#ASMSTART
	v_dot2_f32_f16 v9, v10, v4, v9
	;;#ASMEND
	;;#ASMSTART
	v_dot2_f32_f16 v9, v11, v5, v9
	;;#ASMEND
	;;#ASMSTART
	v_dot2_f32_f16 v9, v12, v6, v9
	;;#ASMEND
	;;#ASMSTART
	v_dot2_f32_f16 v9, v13, v7, v9
	;;#ASMEND
	ds_load_b128 v[0:3], v109 offset:16
	ds_load_b128 v[4:7], v108 offset:1040
	ds_load_b128 v[10:13], v109 offset:4624
	s_waitcnt lgkmcnt(1)
	;;#ASMSTART
	v_dot2_f32_f16 v8, v0, v4, v8
	;;#ASMEND
	;;#ASMSTART
	v_dot2_f32_f16 v8, v1, v5, v8
	;;#ASMEND
	;;#ASMSTART
	v_dot2_f32_f16 v8, v2, v6, v8
	;;#ASMEND
	;;#ASMSTART
	v_dot2_f32_f16 v8, v3, v7, v8
	;;#ASMEND
	s_waitcnt lgkmcnt(0)
	;;#ASMSTART
	v_dot2_f32_f16 v9, v10, v4, v9
	;;#ASMEND
	;;#ASMSTART
	v_dot2_f32_f16 v9, v11, v5, v9
	;;#ASMEND
	;;#ASMSTART
	v_dot2_f32_f16 v9, v12, v6, v9
	;;#ASMEND
	;;#ASMSTART
	v_dot2_f32_f16 v9, v13, v7, v9
	;;#ASMEND
	ds_load_b128 v[0:3], v109 offset:32
	;; [unrolled: 29-line block ×7, first 2 shown]
	ds_load_b128 v[4:7], v108 offset:1136
	ds_load_b128 v[10:13], v109 offset:4720
	s_waitcnt lgkmcnt(1)
	;;#ASMSTART
	v_dot2_f32_f16 v8, v0, v4, v8
	;;#ASMEND
	;;#ASMSTART
	v_dot2_f32_f16 v8, v1, v5, v8
	;;#ASMEND
	;; [unrolled: 3-line block ×4, first 2 shown]
	v_cmp_ngt_f32_e64 s19, 0x3f200000, |v8|
	s_waitcnt lgkmcnt(0)
	;;#ASMSTART
	v_dot2_f32_f16 v9, v10, v4, v9
	;;#ASMEND
	;;#ASMSTART
	v_dot2_f32_f16 v9, v11, v5, v9
	;;#ASMEND
	;; [unrolled: 3-line block ×4, first 2 shown]
                                        ; implicit-def: $vgpr2
	s_and_saveexec_b32 s20, s19
	s_delay_alu instid0(SALU_CYCLE_1)
	s_xor_b32 s19, exec_lo, s20
	s_cbranch_execz .LBB28_13
; %bb.12:                               ;   in Loop: Header=BB28_11 Depth=1
	v_add_f32_e64 v0, |v8|, |v8|
	s_delay_alu instid0(VALU_DEP_1) | instskip(SKIP_1) | instid1(VALU_DEP_2)
	v_mul_f32_e32 v1, 0x3fb8aa3b, v0
	v_cmp_ngt_f32_e32 vcc_lo, 0xc2ce8ed0, v0
	v_rndne_f32_e32 v2, v1
	v_fma_f32 v3, 0x3fb8aa3b, v0, -v1
	s_delay_alu instid0(VALU_DEP_2) | instskip(NEXT) | instid1(VALU_DEP_2)
	v_sub_f32_e32 v1, v1, v2
	v_fmac_f32_e32 v3, 0x32a5705f, v0
	v_cvt_i32_f32_e32 v2, v2
	s_delay_alu instid0(VALU_DEP_2) | instskip(NEXT) | instid1(VALU_DEP_1)
	v_add_f32_e32 v1, v1, v3
	v_exp_f32_e32 v1, v1
	s_waitcnt_depctr 0xfff
	v_ldexp_f32 v1, v1, v2
	s_delay_alu instid0(VALU_DEP_1) | instskip(SKIP_1) | instid1(VALU_DEP_2)
	v_cndmask_b32_e32 v1, 0, v1, vcc_lo
	v_cmp_nlt_f32_e32 vcc_lo, 0x42b17218, v0
	v_cndmask_b32_e32 v0, 0x7f800000, v1, vcc_lo
	s_delay_alu instid0(VALU_DEP_1) | instskip(NEXT) | instid1(VALU_DEP_1)
	v_add_f32_e32 v0, 1.0, v0
	v_rcp_f32_e32 v0, v0
	s_waitcnt_depctr 0xfff
	v_fma_f32 v2, v0, -2.0, 1.0
.LBB28_13:                              ;   in Loop: Header=BB28_11 Depth=1
	s_and_not1_saveexec_b32 s19, s19
; %bb.14:                               ;   in Loop: Header=BB28_11 Depth=1
	v_mul_f32_e32 v0, v8, v8
	s_delay_alu instid0(VALU_DEP_1) | instskip(NEXT) | instid1(VALU_DEP_1)
	v_fmaak_f32 v1, s10, v0, 0x3ca908c9
	v_fmaak_f32 v1, v0, v1, 0xbd5c1c4e
	s_delay_alu instid0(VALU_DEP_1) | instskip(NEXT) | instid1(VALU_DEP_1)
	v_fmaak_f32 v1, v0, v1, 0x3e088382
	v_fmaak_f32 v1, v0, v1, 0xbeaaaa99
	s_delay_alu instid0(VALU_DEP_1) | instskip(NEXT) | instid1(VALU_DEP_1)
	v_mul_f32_e64 v1, |v8|, v1
	v_fma_f32 v2, v0, v1, |v8|
; %bb.15:                               ;   in Loop: Header=BB28_11 Depth=1
	s_or_b32 exec_lo, exec_lo, s19
	v_add_nc_u32_e32 v0, s3, v86
	v_cmp_ngt_f32_e64 s19, 0x3f200000, |v9|
                                        ; implicit-def: $vgpr4
	s_delay_alu instid0(VALU_DEP_2) | instskip(NEXT) | instid1(VALU_DEP_1)
	v_ashrrev_i32_e32 v1, 31, v0
	v_lshlrev_b64 v[0:1], 1, v[0:1]
	s_delay_alu instid0(VALU_DEP_1) | instskip(NEXT) | instid1(VALU_DEP_2)
	v_add_co_u32 v0, vcc_lo, s34, v0
	v_add_co_ci_u32_e32 v1, vcc_lo, s35, v1, vcc_lo
	flat_load_u16 v3, v[0:1]
	s_and_saveexec_b32 s20, s19
	s_delay_alu instid0(SALU_CYCLE_1)
	s_xor_b32 s19, exec_lo, s20
	s_cbranch_execz .LBB28_17
; %bb.16:                               ;   in Loop: Header=BB28_11 Depth=1
	v_add_f32_e64 v4, |v9|, |v9|
	s_delay_alu instid0(VALU_DEP_1) | instskip(SKIP_1) | instid1(VALU_DEP_2)
	v_mul_f32_e32 v5, 0x3fb8aa3b, v4
	v_cmp_ngt_f32_e32 vcc_lo, 0xc2ce8ed0, v4
	v_rndne_f32_e32 v6, v5
	v_fma_f32 v7, 0x3fb8aa3b, v4, -v5
	s_delay_alu instid0(VALU_DEP_2) | instskip(NEXT) | instid1(VALU_DEP_2)
	v_sub_f32_e32 v5, v5, v6
	v_fmac_f32_e32 v7, 0x32a5705f, v4
	v_cvt_i32_f32_e32 v6, v6
	s_delay_alu instid0(VALU_DEP_2) | instskip(NEXT) | instid1(VALU_DEP_1)
	v_add_f32_e32 v5, v5, v7
	v_exp_f32_e32 v5, v5
	s_waitcnt_depctr 0xfff
	v_ldexp_f32 v5, v5, v6
	s_delay_alu instid0(VALU_DEP_1) | instskip(SKIP_1) | instid1(VALU_DEP_2)
	v_cndmask_b32_e32 v5, 0, v5, vcc_lo
	v_cmp_nlt_f32_e32 vcc_lo, 0x42b17218, v4
	v_cndmask_b32_e32 v4, 0x7f800000, v5, vcc_lo
	s_delay_alu instid0(VALU_DEP_1) | instskip(NEXT) | instid1(VALU_DEP_1)
	v_add_f32_e32 v4, 1.0, v4
	v_rcp_f32_e32 v4, v4
	s_waitcnt_depctr 0xfff
	v_fma_f32 v4, v4, -2.0, 1.0
.LBB28_17:                              ;   in Loop: Header=BB28_11 Depth=1
	s_and_not1_saveexec_b32 s19, s19
; %bb.18:                               ;   in Loop: Header=BB28_11 Depth=1
	v_mul_f32_e32 v4, v9, v9
	s_delay_alu instid0(VALU_DEP_1) | instskip(NEXT) | instid1(VALU_DEP_1)
	v_fmaak_f32 v5, s10, v4, 0x3ca908c9
	v_fmaak_f32 v5, v4, v5, 0xbd5c1c4e
	s_delay_alu instid0(VALU_DEP_1) | instskip(NEXT) | instid1(VALU_DEP_1)
	v_fmaak_f32 v5, v4, v5, 0x3e088382
	v_fmaak_f32 v5, v4, v5, 0xbeaaaa99
	s_delay_alu instid0(VALU_DEP_1) | instskip(NEXT) | instid1(VALU_DEP_1)
	v_mul_f32_e64 v5, |v9|, v5
	v_fma_f32 v4, v4, v5, |v9|
; %bb.19:                               ;   in Loop: Header=BB28_11 Depth=1
	s_or_b32 exec_lo, exec_lo, s19
	flat_load_u16 v7, v[0:1] offset:64
	s_mul_hi_i32 s21, s3, s16
	s_mul_i32 s20, s3, s16
	s_waitcnt vmcnt(0) lgkmcnt(0)
	s_lshl_b64 s[20:21], s[20:21], 2
	s_barrier
	s_add_u32 s19, s11, s20
	s_addc_u32 s20, s17, s21
	v_add_co_u32 v0, vcc_lo, s19, v95
	v_add_co_ci_u32_e32 v1, vcc_lo, s20, v96, vcc_lo
	v_add_co_u32 v5, vcc_lo, s19, v97
	v_add_co_ci_u32_e32 v6, vcc_lo, s20, v98, vcc_lo
	s_delay_alu instid0(VALU_DEP_4) | instskip(NEXT) | instid1(VALU_DEP_4)
	v_add_co_u32 v0, vcc_lo, v0, v107
	v_add_co_ci_u32_e32 v1, vcc_lo, 0, v1, vcc_lo
	s_delay_alu instid0(VALU_DEP_4) | instskip(NEXT) | instid1(VALU_DEP_4)
	v_add_co_u32 v5, vcc_lo, v5, v107
	v_add_co_ci_u32_e32 v6, vcc_lo, 0, v6, vcc_lo
	buffer_gl0_inv
	s_clause 0x3
	global_load_b128 v[10:13], v[0:1], off
	global_load_b128 v[14:17], v[0:1], off offset:512
	global_load_b128 v[18:21], v[5:6], off
	global_load_b128 v[22:25], v[5:6], off offset:512
	v_bfi_b32 v0, 0x7fffffff, v2, v8
	v_bfi_b32 v1, 0x7fffffff, v4, v9
	v_xor_b32_e32 v128, 16, v102
	v_xor_b32_e32 v129, 8, v102
	;; [unrolled: 1-line block ×3, first 2 shown]
	v_fma_mix_f32 v0, v0, s18, v3 op_sel_hi:[0,0,1]
	v_xor_b32_e32 v131, 2, v102
	v_cmp_gt_i32_e32 vcc_lo, 32, v128
	v_xor_b32_e32 v132, 1, v102
	s_or_b32 s19, s3, 8
	v_add_nc_u32_e32 v134, 0x1000, v116
	s_mul_hi_i32 s21, s19, s16
	v_cndmask_b32_e32 v2, v102, v128, vcc_lo
	v_cmp_gt_i32_e32 vcc_lo, 32, v129
	s_mul_i32 s20, s19, s16
	v_add_nc_u32_e32 v135, 0x800, v116
	s_lshl_b64 s[20:21], s[20:21], 2
	v_lshlrev_b32_e32 v2, 2, v2
	s_add_u32 s19, s11, s20
	s_addc_u32 s20, s17, s21
	v_add_nc_u32_e32 v133, 0x1800, v116
	v_fma_mix_f32 v1, v1, s18, v7 op_sel_hi:[0,0,1]
	s_delay_alu instid0(VALU_DEP_1) | instskip(NEXT) | instid1(VALU_DEP_1)
	v_dual_add_f32 v3, 0x40051340, v0 :: v_dual_add_f32 v4, 0x40051340, v1
	v_max3_f32 v3, v127, v3, v4
	v_cndmask_b32_e32 v4, v102, v129, vcc_lo
	v_cmp_gt_i32_e32 vcc_lo, 32, v130
	ds_bpermute_b32 v2, v2, v3
	v_lshlrev_b32_e32 v4, 2, v4
	s_waitcnt lgkmcnt(0)
	v_max_f32_e32 v2, v2, v2
	s_delay_alu instid0(VALU_DEP_1) | instskip(SKIP_4) | instid1(VALU_DEP_2)
	v_max_f32_e32 v2, v3, v2
	ds_bpermute_b32 v3, v4, v2
	v_cndmask_b32_e32 v4, v102, v130, vcc_lo
	v_cmp_gt_i32_e32 vcc_lo, 32, v131
	s_waitcnt lgkmcnt(0)
	v_dual_max_f32 v3, v3, v3 :: v_dual_lshlrev_b32 v4, 2, v4
	s_delay_alu instid0(VALU_DEP_1) | instskip(SKIP_4) | instid1(VALU_DEP_2)
	v_max_f32_e32 v2, v2, v3
	ds_bpermute_b32 v3, v4, v2
	v_cndmask_b32_e32 v4, v102, v131, vcc_lo
	v_cmp_gt_i32_e32 vcc_lo, 32, v132
	s_waitcnt lgkmcnt(0)
	v_dual_max_f32 v3, v3, v3 :: v_dual_lshlrev_b32 v4, 2, v4
	s_delay_alu instid0(VALU_DEP_1) | instskip(SKIP_3) | instid1(VALU_DEP_1)
	v_max_f32_e32 v2, v2, v3
	ds_bpermute_b32 v3, v4, v2
	v_cndmask_b32_e32 v4, v102, v132, vcc_lo
	s_waitcnt lgkmcnt(0)
	v_dual_max_f32 v3, v3, v3 :: v_dual_lshlrev_b32 v4, 2, v4
	s_delay_alu instid0(VALU_DEP_1) | instskip(SKIP_3) | instid1(VALU_DEP_1)
	v_max_f32_e32 v2, v2, v3
	ds_bpermute_b32 v3, v4, v2
	s_waitcnt lgkmcnt(0)
	v_max_f32_e32 v3, v3, v3
	v_max_f32_e32 v99, v2, v3
	s_delay_alu instid0(VALU_DEP_1) | instskip(SKIP_1) | instid1(VALU_DEP_2)
	v_sub_f32_e32 v0, v0, v99
	v_sub_f32_e32 v1, v1, v99
	v_dual_sub_f32 v127, v127, v99 :: v_dual_mul_f32 v2, 0x3fb8aa3b, v0
	s_delay_alu instid0(VALU_DEP_1) | instskip(NEXT) | instid1(VALU_DEP_2)
	v_dual_mul_f32 v3, 0x3fb8aa3b, v1 :: v_dual_mul_f32 v138, 0x3fb8aa3b, v127
	v_fma_f32 v4, 0x3fb8aa3b, v0, -v2
	v_rndne_f32_e32 v5, v2
	s_delay_alu instid0(VALU_DEP_3) | instskip(SKIP_4) | instid1(VALU_DEP_4)
	v_fma_f32 v6, 0x3fb8aa3b, v1, -v3
	v_rndne_f32_e32 v7, v3
	v_fma_f32 v139, 0x3fb8aa3b, v127, -v138
	v_fmac_f32_e32 v4, 0x32a5705f, v0
	v_sub_f32_e32 v2, v2, v5
	v_dual_fmac_f32 v6, 0x32a5705f, v1 :: v_dual_sub_f32 v3, v3, v7
	s_delay_alu instid0(VALU_DEP_4) | instskip(SKIP_1) | instid1(VALU_DEP_4)
	v_fmac_f32_e32 v139, 0x32a5705f, v127
	v_rndne_f32_e32 v140, v138
	v_add_f32_e32 v2, v2, v4
	v_cvt_i32_f32_e32 v4, v5
	v_add_f32_e32 v3, v3, v6
	v_cvt_i32_f32_e32 v5, v7
	v_sub_f32_e32 v138, v138, v140
	v_exp_f32_e32 v2, v2
	s_delay_alu instid0(VALU_DEP_3) | instskip(NEXT) | instid1(VALU_DEP_1)
	v_exp_f32_e32 v3, v3
	v_add_f32_e32 v138, v138, v139
	v_cvt_i32_f32_e32 v139, v140
	s_delay_alu instid0(VALU_DEP_2) | instskip(NEXT) | instid1(TRANS32_DEP_3)
	v_exp_f32_e32 v138, v138
	v_ldexp_f32 v2, v2, v4
	v_add_co_u32 v4, vcc_lo, s19, v95
	s_waitcnt_depctr 0xfff
	v_ldexp_f32 v3, v3, v5
	v_add_co_ci_u32_e32 v5, vcc_lo, s20, v96, vcc_lo
	v_cmp_ngt_f32_e32 vcc_lo, 0xc2ce8ed0, v0
	v_ldexp_f32 v138, v138, v139
	v_cndmask_b32_e32 v2, 0, v2, vcc_lo
	v_cmp_ngt_f32_e32 vcc_lo, 0xc2ce8ed0, v1
	v_cndmask_b32_e32 v3, 0, v3, vcc_lo
	v_add_co_u32 v6, vcc_lo, s19, v97
	v_add_co_ci_u32_e32 v7, vcc_lo, s20, v98, vcc_lo
	v_cmp_nlt_f32_e32 vcc_lo, 0x42b17218, v0
	s_or_b32 s19, s3, 16
	s_delay_alu instid0(SALU_CYCLE_1) | instskip(SKIP_4) | instid1(SALU_CYCLE_1)
	s_mul_hi_i32 s21, s19, s16
	s_mul_i32 s20, s19, s16
	v_cndmask_b32_e32 v136, 0x7f800000, v2, vcc_lo
	v_cmp_nlt_f32_e32 vcc_lo, 0x42b17218, v1
	s_lshl_b64 s[20:21], s[20:21], 2
	s_add_u32 s19, s11, s20
	s_delay_alu instid0(VALU_DEP_2) | instskip(SKIP_4) | instid1(VALU_DEP_4)
	v_cvt_f16_f32_e64 v0, v136
	v_cndmask_b32_e32 v137, 0x7f800000, v3, vcc_lo
	v_add_co_u32 v68, vcc_lo, v4, v107
	v_add_co_ci_u32_e32 v69, vcc_lo, 0, v5, vcc_lo
	v_add_co_u32 v76, vcc_lo, v6, v107
	v_cvt_f16_f32_e64 v1, v137
	v_add_co_ci_u32_e32 v77, vcc_lo, 0, v7, vcc_lo
	ds_store_b16 v112, v0
	ds_store_b16 v112, v1 offset:64
	s_waitcnt vmcnt(3)
	ds_store_b128 v111, v[10:13]
	s_waitcnt vmcnt(2)
	ds_store_b128 v113, v[14:17]
	;; [unrolled: 2-line block ×4, first 2 shown]
	s_waitcnt lgkmcnt(0)
	s_barrier
	buffer_gl0_inv
	ds_load_2addr_b64 v[80:83], v116 offset1:32
	ds_load_2addr_b64 v[60:63], v116 offset0:64 offset1:96
	ds_load_b128 v[0:3], v110
	ds_load_2addr_b64 v[52:55], v116 offset0:128 offset1:160
	ds_load_2addr_b64 v[56:59], v116 offset0:192 offset1:224
	ds_load_2addr_b64 v[44:47], v135 offset1:32
	ds_load_2addr_b64 v[48:51], v135 offset0:64 offset1:96
	ds_load_2addr_b64 v[36:39], v135 offset0:128 offset1:160
	ds_load_2addr_b64 v[40:43], v135 offset0:192 offset1:224
	ds_load_2addr_b64 v[28:31], v134 offset1:32
	ds_load_2addr_b64 v[32:35], v134 offset0:64 offset1:96
	;; [unrolled: 4-line block ×3, first 2 shown]
	ds_load_2addr_b64 v[4:7], v133 offset0:128 offset1:160
	ds_load_2addr_b64 v[8:11], v133 offset0:192 offset1:224
	s_waitcnt lgkmcnt(0)
	s_barrier
	buffer_gl0_inv
	s_clause 0x3
	global_load_b128 v[64:67], v[68:69], off
	global_load_b128 v[68:71], v[68:69], off offset:512
	global_load_b128 v[72:75], v[76:77], off
	global_load_b128 v[76:79], v[76:77], off offset:512
	v_cmp_ngt_f32_e32 vcc_lo, 0xc2ce8ed0, v127
	s_addc_u32 s20, s17, s21
	v_pk_mul_f16 v207, v80, v0 op_sel_hi:[1,0]
	v_pk_mul_f16 v208, v81, v0 op_sel_hi:[1,0]
	s_waitcnt vmcnt(3)
	ds_store_b128 v111, v[64:67]
	s_waitcnt vmcnt(2)
	ds_store_b128 v113, v[68:71]
	;; [unrolled: 2-line block ×4, first 2 shown]
	v_cndmask_b32_e32 v138, 0, v138, vcc_lo
	v_add_co_u32 v139, vcc_lo, s19, v95
	v_add_co_ci_u32_e32 v140, vcc_lo, s20, v96, vcc_lo
	v_cmp_nlt_f32_e32 vcc_lo, 0x42b17218, v127
	s_waitcnt lgkmcnt(0)
	s_barrier
	buffer_gl0_inv
	v_cndmask_b32_e32 v127, 0x7f800000, v138, vcc_lo
	v_add_co_u32 v138, vcc_lo, s19, v97
	v_add_co_ci_u32_e32 v141, vcc_lo, s20, v98, vcc_lo
	s_delay_alu instid0(VALU_DEP_3) | instskip(SKIP_2) | instid1(VALU_DEP_3)
	v_cvt_f16_f32_e64 v206, v127
	v_add_co_u32 v190, vcc_lo, v139, v107
	v_add_co_ci_u32_e32 v191, vcc_lo, 0, v140, vcc_lo
	v_pk_mul_f16 v139, v206, v125 op_sel_hi:[0,1]
	v_pk_mul_f16 v140, v206, v126 op_sel_hi:[0,1]
	v_add_co_u32 v125, vcc_lo, v138, v107
	v_add_co_ci_u32_e32 v126, vcc_lo, 0, v141, vcc_lo
	s_delay_alu instid0(VALU_DEP_4) | instskip(NEXT) | instid1(VALU_DEP_4)
	v_pk_fma_f16 v209, v82, v0, v139 op_sel_hi:[1,0,1]
	v_pk_fma_f16 v210, v83, v0, v140 op_sel_hi:[1,0,1]
	ds_load_2addr_b64 v[64:67], v116 offset1:32
	ds_load_2addr_b64 v[68:71], v116 offset0:64 offset1:96
	ds_load_b128 v[72:75], v110 offset:16
	ds_load_2addr_b64 v[76:79], v116 offset0:128 offset1:160
	ds_load_2addr_b64 v[80:83], v116 offset0:192 offset1:224
	ds_load_2addr_b64 v[138:141], v135 offset1:32
	ds_load_2addr_b64 v[142:145], v135 offset0:64 offset1:96
	ds_load_2addr_b64 v[146:149], v135 offset0:128 offset1:160
	ds_load_2addr_b64 v[150:153], v135 offset0:192 offset1:224
	ds_load_2addr_b64 v[154:157], v134 offset1:32
	ds_load_2addr_b64 v[158:161], v134 offset0:64 offset1:96
	;; [unrolled: 4-line block ×3, first 2 shown]
	ds_load_2addr_b64 v[178:181], v133 offset0:128 offset1:160
	ds_load_2addr_b64 v[182:185], v133 offset0:192 offset1:224
	s_waitcnt lgkmcnt(0)
	s_barrier
	buffer_gl0_inv
	s_clause 0x3
	global_load_b128 v[186:189], v[190:191], off
	global_load_b128 v[190:193], v[190:191], off offset:512
	global_load_b128 v[194:197], v[125:126], off
	global_load_b128 v[198:201], v[125:126], off offset:512
	s_or_b32 s19, s3, 24
	v_pk_mul_f16 v119, v206, v119 op_sel_hi:[0,1]
	s_mul_hi_i32 s21, s19, s16
	s_mul_i32 s20, s19, s16
	v_pk_mul_f16 v120, v206, v120 op_sel_hi:[0,1]
	s_lshl_b64 s[20:21], s[20:21], 2
	v_pk_fma_f16 v63, v63, v0, v119 op_sel_hi:[1,0,1]
	s_add_u32 s19, s11, s20
	s_addc_u32 s20, s17, s21
	v_add_co_u32 v125, vcc_lo, s19, v95
	v_add_co_ci_u32_e32 v126, vcc_lo, s20, v96, vcc_lo
	v_add_co_u32 v119, vcc_lo, s19, v97
	v_pk_fma_f16 v62, v62, v0, v120 op_sel_hi:[1,0,1]
	v_add_co_ci_u32_e32 v120, vcc_lo, s20, v98, vcc_lo
	v_pk_mul_f16 v121, v206, v121 op_sel_hi:[0,1]
	v_pk_mul_f16 v122, v206, v122 op_sel_hi:[0,1]
	v_add_co_u32 v202, vcc_lo, v125, v107
	v_add_co_ci_u32_e32 v203, vcc_lo, 0, v126, vcc_lo
	v_add_co_u32 v204, vcc_lo, v119, v107
	v_pk_fma_f16 v60, v60, v0, v121 op_sel_hi:[1,0,1]
	v_pk_fma_f16 v61, v61, v0, v122 op_sel_hi:[1,0,1]
	v_add_co_ci_u32_e32 v205, vcc_lo, 0, v120, vcc_lo
	v_pk_fma_f16 v119, v123, v206, v207 op_sel_hi:[1,0,1]
	v_pk_fma_f16 v120, v124, v206, v208 op_sel_hi:[1,0,1]
	v_pk_fma_f16 v54, v54, v0, v209 op_sel:[0,1,0]
	v_pk_fma_f16 v55, v55, v0, v210 op_sel:[0,1,0]
	v_pk_fma_f16 v56, v56, v0, v60 op_sel:[0,1,0]
	v_pk_fma_f16 v57, v57, v0, v61 op_sel:[0,1,0]
	v_pk_fma_f16 v58, v58, v0, v62 op_sel:[0,1,0]
	v_pk_fma_f16 v59, v59, v0, v63 op_sel:[0,1,0]
	v_pk_fma_f16 v52, v52, v0, v119 op_sel:[0,1,0]
	v_pk_fma_f16 v0, v53, v0, v120 op_sel:[0,1,0]
	v_pk_fma_f16 v46, v46, v1, v54 op_sel_hi:[1,0,1]
	v_pk_fma_f16 v47, v47, v1, v55 op_sel_hi:[1,0,1]
	v_pk_fma_f16 v48, v48, v1, v56 op_sel_hi:[1,0,1]
	v_pk_fma_f16 v49, v49, v1, v57 op_sel_hi:[1,0,1]
	v_pk_fma_f16 v50, v50, v1, v58 op_sel_hi:[1,0,1]
	v_pk_fma_f16 v51, v51, v1, v59 op_sel_hi:[1,0,1]
	v_pk_fma_f16 v44, v44, v1, v52 op_sel_hi:[1,0,1]
	v_pk_fma_f16 v0, v45, v1, v0 op_sel_hi:[1,0,1]
	v_pk_fma_f16 v38, v38, v1, v46 op_sel:[0,1,0]
	v_pk_fma_f16 v39, v39, v1, v47 op_sel:[0,1,0]
	v_pk_fma_f16 v40, v40, v1, v48 op_sel:[0,1,0]
	v_pk_fma_f16 v41, v41, v1, v49 op_sel:[0,1,0]
	v_pk_fma_f16 v42, v42, v1, v50 op_sel:[0,1,0]
	v_pk_fma_f16 v43, v43, v1, v51 op_sel:[0,1,0]
	v_pk_fma_f16 v36, v36, v1, v44 op_sel:[0,1,0]
	v_pk_fma_f16 v0, v37, v1, v0 op_sel:[0,1,0]
	v_pk_fma_f16 v1, v32, v2, v40 op_sel_hi:[1,0,1]
	v_pk_fma_f16 v32, v33, v2, v41 op_sel_hi:[1,0,1]
	v_pk_fma_f16 v33, v34, v2, v42 op_sel_hi:[1,0,1]
	v_pk_fma_f16 v30, v30, v2, v38 op_sel_hi:[1,0,1]
	v_pk_fma_f16 v31, v31, v2, v39 op_sel_hi:[1,0,1]
	v_pk_fma_f16 v34, v35, v2, v43 op_sel_hi:[1,0,1]
	;; [unrolled: 16-line block ×5, first 2 shown]
	v_pk_fma_f16 v70, v144, v73, v70 op_sel_hi:[1,0,1]
	v_pk_fma_f16 v71, v145, v73, v71 op_sel_hi:[1,0,1]
	s_or_b32 s19, s3, 32
	v_pk_fma_f16 v64, v146, v73, v64 op_sel:[0,1,0]
	s_mul_hi_i32 s21, s19, s16
	s_mul_i32 s20, s19, s16
	v_pk_fma_f16 v65, v147, v73, v65 op_sel:[0,1,0]
	v_pk_fma_f16 v66, v148, v73, v66 op_sel:[0,1,0]
	;; [unrolled: 1-line block ×7, first 2 shown]
	s_lshl_b64 s[20:21], s[20:21], 2
	v_pk_fma_f16 v64, v154, v74, v64 op_sel_hi:[1,0,1]
	s_add_u32 s19, s11, s20
	v_pk_fma_f16 v65, v155, v74, v65 op_sel_hi:[1,0,1]
	v_pk_fma_f16 v66, v156, v74, v66 op_sel_hi:[1,0,1]
	;; [unrolled: 1-line block ×7, first 2 shown]
	s_addc_u32 s20, s17, s21
	v_pk_fma_f16 v64, v162, v74, v64 op_sel:[0,1,0]
	v_pk_fma_f16 v65, v163, v74, v65 op_sel:[0,1,0]
	;; [unrolled: 1-line block ×8, first 2 shown]
	v_pk_fma_f16 v64, v170, v75, v64 op_sel_hi:[1,0,1]
	v_pk_fma_f16 v65, v171, v75, v65 op_sel_hi:[1,0,1]
	v_pk_fma_f16 v66, v172, v75, v66 op_sel_hi:[1,0,1]
	v_pk_fma_f16 v67, v173, v75, v67 op_sel_hi:[1,0,1]
	v_pk_fma_f16 v68, v174, v75, v68 op_sel_hi:[1,0,1]
	v_pk_fma_f16 v69, v175, v75, v69 op_sel_hi:[1,0,1]
	v_pk_fma_f16 v70, v176, v75, v70 op_sel_hi:[1,0,1]
	v_pk_fma_f16 v71, v177, v75, v71 op_sel_hi:[1,0,1]
	s_waitcnt vmcnt(3)
	ds_store_b128 v111, v[186:189]
	s_waitcnt vmcnt(2)
	ds_store_b128 v113, v[190:193]
	;; [unrolled: 2-line block ×4, first 2 shown]
	s_waitcnt lgkmcnt(0)
	s_barrier
	buffer_gl0_inv
	ds_load_2addr_b64 v[0:3], v116 offset1:32
	ds_load_2addr_b64 v[4:7], v116 offset0:64 offset1:96
	ds_load_b128 v[8:11], v110 offset:32
	ds_load_2addr_b64 v[12:15], v116 offset0:128 offset1:160
	ds_load_2addr_b64 v[16:19], v116 offset0:192 offset1:224
	ds_load_2addr_b64 v[20:23], v135 offset1:32
	ds_load_2addr_b64 v[24:27], v135 offset0:64 offset1:96
	ds_load_2addr_b64 v[28:31], v135 offset0:128 offset1:160
	ds_load_2addr_b64 v[32:35], v135 offset0:192 offset1:224
	ds_load_2addr_b64 v[36:39], v134 offset1:32
	ds_load_2addr_b64 v[40:43], v134 offset0:64 offset1:96
	;; [unrolled: 4-line block ×3, first 2 shown]
	ds_load_2addr_b64 v[60:63], v133 offset0:128 offset1:160
	ds_load_2addr_b64 v[119:122], v133 offset0:192 offset1:224
	s_waitcnt lgkmcnt(0)
	s_barrier
	buffer_gl0_inv
	s_clause 0x3
	global_load_b128 v[123:126], v[202:203], off
	global_load_b128 v[186:189], v[202:203], off offset:512
	global_load_b128 v[190:193], v[204:205], off
	global_load_b128 v[194:197], v[204:205], off offset:512
	v_add_co_u32 v198, vcc_lo, s19, v95
	v_add_co_ci_u32_e32 v199, vcc_lo, s20, v96, vcc_lo
	v_add_co_u32 v200, vcc_lo, s19, v97
	v_add_co_ci_u32_e32 v201, vcc_lo, s20, v98, vcc_lo
	s_delay_alu instid0(VALU_DEP_4) | instskip(NEXT) | instid1(VALU_DEP_4)
	v_add_co_u32 v198, vcc_lo, v198, v107
	v_add_co_ci_u32_e32 v199, vcc_lo, 0, v199, vcc_lo
	s_delay_alu instid0(VALU_DEP_4) | instskip(NEXT) | instid1(VALU_DEP_4)
	v_add_co_u32 v200, vcc_lo, v200, v107
	v_add_co_ci_u32_e32 v201, vcc_lo, 0, v201, vcc_lo
	v_pk_fma_f16 v202, v178, v75, v64 op_sel:[0,1,0]
	v_pk_fma_f16 v203, v179, v75, v65 op_sel:[0,1,0]
	;; [unrolled: 1-line block ×8, first 2 shown]
	v_pk_fma_f16 v0, v0, v8, v202 op_sel_hi:[1,0,1]
	v_pk_fma_f16 v1, v1, v8, v203 op_sel_hi:[1,0,1]
	;; [unrolled: 1-line block ×8, first 2 shown]
	v_pk_fma_f16 v0, v12, v8, v0 op_sel:[0,1,0]
	v_pk_fma_f16 v1, v13, v8, v1 op_sel:[0,1,0]
	;; [unrolled: 1-line block ×8, first 2 shown]
	v_pk_fma_f16 v0, v20, v9, v0 op_sel_hi:[1,0,1]
	v_pk_fma_f16 v1, v21, v9, v1 op_sel_hi:[1,0,1]
	;; [unrolled: 1-line block ×8, first 2 shown]
	s_or_b32 s19, s3, 40
	v_pk_fma_f16 v0, v28, v9, v0 op_sel:[0,1,0]
	s_mul_hi_i32 s21, s19, s16
	s_mul_i32 s20, s19, s16
	v_pk_fma_f16 v1, v29, v9, v1 op_sel:[0,1,0]
	v_pk_fma_f16 v2, v30, v9, v2 op_sel:[0,1,0]
	;; [unrolled: 1-line block ×7, first 2 shown]
	s_lshl_b64 s[20:21], s[20:21], 2
	v_pk_fma_f16 v0, v36, v10, v0 op_sel_hi:[1,0,1]
	s_add_u32 s19, s11, s20
	v_pk_fma_f16 v1, v37, v10, v1 op_sel_hi:[1,0,1]
	v_pk_fma_f16 v2, v38, v10, v2 op_sel_hi:[1,0,1]
	;; [unrolled: 1-line block ×7, first 2 shown]
	s_addc_u32 s20, s17, s21
	v_pk_fma_f16 v0, v44, v10, v0 op_sel:[0,1,0]
	v_pk_fma_f16 v1, v45, v10, v1 op_sel:[0,1,0]
	;; [unrolled: 1-line block ×8, first 2 shown]
	v_pk_fma_f16 v0, v52, v11, v0 op_sel_hi:[1,0,1]
	v_pk_fma_f16 v1, v53, v11, v1 op_sel_hi:[1,0,1]
	;; [unrolled: 1-line block ×8, first 2 shown]
	v_pk_fma_f16 v202, v60, v11, v0 op_sel:[0,1,0]
	v_pk_fma_f16 v203, v61, v11, v1 op_sel:[0,1,0]
	;; [unrolled: 1-line block ×8, first 2 shown]
	s_waitcnt vmcnt(3)
	ds_store_b128 v111, v[123:126]
	s_waitcnt vmcnt(2)
	ds_store_b128 v113, v[186:189]
	;; [unrolled: 2-line block ×4, first 2 shown]
	s_waitcnt lgkmcnt(0)
	s_barrier
	buffer_gl0_inv
	ds_load_2addr_b64 v[64:67], v116 offset1:32
	ds_load_2addr_b64 v[68:71], v116 offset0:64 offset1:96
	ds_load_b128 v[72:75], v110 offset:48
	ds_load_2addr_b64 v[76:79], v116 offset0:128 offset1:160
	ds_load_2addr_b64 v[80:83], v116 offset0:192 offset1:224
	ds_load_2addr_b64 v[123:126], v135 offset1:32
	ds_load_2addr_b64 v[138:141], v135 offset0:64 offset1:96
	ds_load_2addr_b64 v[142:145], v135 offset0:128 offset1:160
	ds_load_2addr_b64 v[146:149], v135 offset0:192 offset1:224
	ds_load_2addr_b64 v[150:153], v134 offset1:32
	ds_load_2addr_b64 v[154:157], v134 offset0:64 offset1:96
	;; [unrolled: 4-line block ×3, first 2 shown]
	ds_load_2addr_b64 v[174:177], v133 offset0:128 offset1:160
	ds_load_2addr_b64 v[178:181], v133 offset0:192 offset1:224
	s_waitcnt lgkmcnt(0)
	s_barrier
	buffer_gl0_inv
	s_clause 0x3
	global_load_b128 v[182:185], v[198:199], off
	global_load_b128 v[186:189], v[198:199], off offset:512
	global_load_b128 v[190:193], v[200:201], off
	global_load_b128 v[194:197], v[200:201], off offset:512
	v_add_co_u32 v198, vcc_lo, s19, v95
	v_add_co_ci_u32_e32 v199, vcc_lo, s20, v96, vcc_lo
	v_add_co_u32 v200, vcc_lo, s19, v97
	v_add_co_ci_u32_e32 v201, vcc_lo, s20, v98, vcc_lo
	s_delay_alu instid0(VALU_DEP_4) | instskip(NEXT) | instid1(VALU_DEP_4)
	v_add_co_u32 v198, vcc_lo, v198, v107
	v_add_co_ci_u32_e32 v199, vcc_lo, 0, v199, vcc_lo
	s_delay_alu instid0(VALU_DEP_4) | instskip(NEXT) | instid1(VALU_DEP_4)
	v_add_co_u32 v200, vcc_lo, v200, v107
	v_add_co_ci_u32_e32 v201, vcc_lo, 0, v201, vcc_lo
	v_pk_fma_f16 v64, v64, v72, v202 op_sel_hi:[1,0,1]
	v_pk_fma_f16 v65, v65, v72, v203 op_sel_hi:[1,0,1]
	v_pk_fma_f16 v66, v66, v72, v204 op_sel_hi:[1,0,1]
	v_pk_fma_f16 v67, v67, v72, v205 op_sel_hi:[1,0,1]
	v_pk_fma_f16 v68, v68, v72, v206 op_sel_hi:[1,0,1]
	v_pk_fma_f16 v69, v69, v72, v207 op_sel_hi:[1,0,1]
	v_pk_fma_f16 v70, v70, v72, v208 op_sel_hi:[1,0,1]
	v_pk_fma_f16 v71, v71, v72, v209 op_sel_hi:[1,0,1]
	v_pk_fma_f16 v64, v76, v72, v64 op_sel:[0,1,0]
	v_pk_fma_f16 v65, v77, v72, v65 op_sel:[0,1,0]
	;; [unrolled: 1-line block ×8, first 2 shown]
	v_pk_fma_f16 v64, v123, v73, v64 op_sel_hi:[1,0,1]
	v_pk_fma_f16 v65, v124, v73, v65 op_sel_hi:[1,0,1]
	;; [unrolled: 1-line block ×8, first 2 shown]
	s_or_b32 s19, s3, 48
	v_pk_fma_f16 v64, v142, v73, v64 op_sel:[0,1,0]
	s_mul_hi_i32 s21, s19, s16
	s_mul_i32 s20, s19, s16
	v_pk_fma_f16 v65, v143, v73, v65 op_sel:[0,1,0]
	v_pk_fma_f16 v66, v144, v73, v66 op_sel:[0,1,0]
	;; [unrolled: 1-line block ×7, first 2 shown]
	s_lshl_b64 s[20:21], s[20:21], 2
	v_pk_fma_f16 v64, v150, v74, v64 op_sel_hi:[1,0,1]
	s_add_u32 s19, s11, s20
	v_pk_fma_f16 v65, v151, v74, v65 op_sel_hi:[1,0,1]
	v_pk_fma_f16 v66, v152, v74, v66 op_sel_hi:[1,0,1]
	;; [unrolled: 1-line block ×7, first 2 shown]
	s_addc_u32 s20, s17, s21
	v_pk_fma_f16 v64, v158, v74, v64 op_sel:[0,1,0]
	v_pk_fma_f16 v65, v159, v74, v65 op_sel:[0,1,0]
	;; [unrolled: 1-line block ×8, first 2 shown]
	v_pk_fma_f16 v64, v166, v75, v64 op_sel_hi:[1,0,1]
	v_pk_fma_f16 v65, v167, v75, v65 op_sel_hi:[1,0,1]
	;; [unrolled: 1-line block ×8, first 2 shown]
	v_pk_fma_f16 v202, v174, v75, v64 op_sel:[0,1,0]
	v_pk_fma_f16 v203, v175, v75, v65 op_sel:[0,1,0]
	;; [unrolled: 1-line block ×8, first 2 shown]
	s_waitcnt vmcnt(3)
	ds_store_b128 v111, v[182:185]
	s_waitcnt vmcnt(2)
	ds_store_b128 v113, v[186:189]
	;; [unrolled: 2-line block ×4, first 2 shown]
	s_waitcnt lgkmcnt(0)
	s_barrier
	buffer_gl0_inv
	ds_load_2addr_b64 v[0:3], v116 offset1:32
	ds_load_2addr_b64 v[4:7], v116 offset0:64 offset1:96
	ds_load_b128 v[8:11], v110 offset:64
	ds_load_2addr_b64 v[12:15], v116 offset0:128 offset1:160
	ds_load_2addr_b64 v[16:19], v116 offset0:192 offset1:224
	ds_load_2addr_b64 v[20:23], v135 offset1:32
	ds_load_2addr_b64 v[24:27], v135 offset0:64 offset1:96
	ds_load_2addr_b64 v[28:31], v135 offset0:128 offset1:160
	ds_load_2addr_b64 v[32:35], v135 offset0:192 offset1:224
	ds_load_2addr_b64 v[36:39], v134 offset1:32
	ds_load_2addr_b64 v[40:43], v134 offset0:64 offset1:96
	;; [unrolled: 4-line block ×3, first 2 shown]
	ds_load_2addr_b64 v[60:63], v133 offset0:128 offset1:160
	ds_load_2addr_b64 v[119:122], v133 offset0:192 offset1:224
	s_waitcnt lgkmcnt(0)
	s_barrier
	buffer_gl0_inv
	s_clause 0x3
	global_load_b128 v[182:185], v[198:199], off
	global_load_b128 v[186:189], v[198:199], off offset:512
	global_load_b128 v[190:193], v[200:201], off
	global_load_b128 v[194:197], v[200:201], off offset:512
	v_add_co_u32 v198, vcc_lo, s19, v95
	v_add_co_ci_u32_e32 v199, vcc_lo, s20, v96, vcc_lo
	v_add_co_u32 v200, vcc_lo, s19, v97
	v_add_co_ci_u32_e32 v201, vcc_lo, s20, v98, vcc_lo
	s_delay_alu instid0(VALU_DEP_4) | instskip(NEXT) | instid1(VALU_DEP_4)
	v_add_co_u32 v198, vcc_lo, v198, v107
	v_add_co_ci_u32_e32 v199, vcc_lo, 0, v199, vcc_lo
	s_delay_alu instid0(VALU_DEP_4) | instskip(NEXT) | instid1(VALU_DEP_4)
	v_add_co_u32 v200, vcc_lo, v200, v107
	v_add_co_ci_u32_e32 v201, vcc_lo, 0, v201, vcc_lo
	v_pk_fma_f16 v0, v0, v8, v202 op_sel_hi:[1,0,1]
	v_pk_fma_f16 v1, v1, v8, v203 op_sel_hi:[1,0,1]
	;; [unrolled: 1-line block ×8, first 2 shown]
	v_pk_fma_f16 v0, v12, v8, v0 op_sel:[0,1,0]
	v_pk_fma_f16 v1, v13, v8, v1 op_sel:[0,1,0]
	;; [unrolled: 1-line block ×8, first 2 shown]
	v_pk_fma_f16 v0, v20, v9, v0 op_sel_hi:[1,0,1]
	v_pk_fma_f16 v1, v21, v9, v1 op_sel_hi:[1,0,1]
	;; [unrolled: 1-line block ×8, first 2 shown]
	s_or_b32 s19, s3, 56
	v_pk_fma_f16 v0, v28, v9, v0 op_sel:[0,1,0]
	s_mul_hi_i32 s21, s19, s16
	s_mul_i32 s20, s19, s16
	v_pk_fma_f16 v1, v29, v9, v1 op_sel:[0,1,0]
	v_pk_fma_f16 v2, v30, v9, v2 op_sel:[0,1,0]
	;; [unrolled: 1-line block ×7, first 2 shown]
	s_lshl_b64 s[20:21], s[20:21], 2
	v_pk_fma_f16 v0, v36, v10, v0 op_sel_hi:[1,0,1]
	s_add_u32 s19, s11, s20
	v_pk_fma_f16 v1, v37, v10, v1 op_sel_hi:[1,0,1]
	v_pk_fma_f16 v2, v38, v10, v2 op_sel_hi:[1,0,1]
	;; [unrolled: 1-line block ×7, first 2 shown]
	s_addc_u32 s20, s17, s21
	v_pk_fma_f16 v0, v44, v10, v0 op_sel:[0,1,0]
	v_pk_fma_f16 v1, v45, v10, v1 op_sel:[0,1,0]
	;; [unrolled: 1-line block ×8, first 2 shown]
	v_pk_fma_f16 v0, v52, v11, v0 op_sel_hi:[1,0,1]
	v_pk_fma_f16 v1, v53, v11, v1 op_sel_hi:[1,0,1]
	;; [unrolled: 1-line block ×8, first 2 shown]
	v_pk_fma_f16 v202, v60, v11, v0 op_sel:[0,1,0]
	v_pk_fma_f16 v61, v61, v11, v1 op_sel:[0,1,0]
	;; [unrolled: 1-line block ×8, first 2 shown]
	v_add_f32_e32 v0, v136, v137
	s_waitcnt vmcnt(3)
	ds_store_b128 v111, v[182:185]
	s_waitcnt vmcnt(2)
	ds_store_b128 v113, v[186:189]
	;; [unrolled: 2-line block ×4, first 2 shown]
	s_waitcnt lgkmcnt(0)
	s_barrier
	buffer_gl0_inv
	ds_load_2addr_b64 v[64:67], v116 offset1:32
	ds_load_2addr_b64 v[68:71], v116 offset0:64 offset1:96
	ds_load_b128 v[72:75], v110 offset:80
	ds_load_2addr_b64 v[76:79], v116 offset0:128 offset1:160
	ds_load_2addr_b64 v[80:83], v116 offset0:192 offset1:224
	ds_load_2addr_b64 v[123:126], v135 offset1:32
	ds_load_2addr_b64 v[138:141], v135 offset0:64 offset1:96
	ds_load_2addr_b64 v[142:145], v135 offset0:128 offset1:160
	ds_load_2addr_b64 v[146:149], v135 offset0:192 offset1:224
	ds_load_2addr_b64 v[150:153], v134 offset1:32
	ds_load_2addr_b64 v[154:157], v134 offset0:64 offset1:96
	;; [unrolled: 4-line block ×3, first 2 shown]
	ds_load_2addr_b64 v[174:177], v133 offset0:128 offset1:160
	ds_load_2addr_b64 v[178:181], v133 offset0:192 offset1:224
	s_waitcnt lgkmcnt(0)
	s_barrier
	buffer_gl0_inv
	s_clause 0x3
	global_load_b128 v[182:185], v[198:199], off
	global_load_b128 v[186:189], v[198:199], off offset:512
	global_load_b128 v[190:193], v[200:201], off
	global_load_b128 v[194:197], v[200:201], off offset:512
	v_add_co_u32 v198, vcc_lo, s19, v95
	v_add_co_ci_u32_e32 v199, vcc_lo, s20, v96, vcc_lo
	v_add_co_u32 v200, vcc_lo, s19, v97
	v_add_co_ci_u32_e32 v201, vcc_lo, s20, v98, vcc_lo
	s_delay_alu instid0(VALU_DEP_4) | instskip(NEXT) | instid1(VALU_DEP_4)
	v_add_co_u32 v198, vcc_lo, v198, v107
	v_add_co_ci_u32_e32 v199, vcc_lo, 0, v199, vcc_lo
	s_delay_alu instid0(VALU_DEP_4) | instskip(NEXT) | instid1(VALU_DEP_4)
	v_add_co_u32 v200, vcc_lo, v200, v107
	v_add_co_ci_u32_e32 v201, vcc_lo, 0, v201, vcc_lo
	v_pk_fma_f16 v64, v64, v72, v202 op_sel_hi:[1,0,1]
	v_pk_fma_f16 v61, v65, v72, v61 op_sel_hi:[1,0,1]
	v_pk_fma_f16 v62, v66, v72, v62 op_sel_hi:[1,0,1]
	v_pk_fma_f16 v63, v67, v72, v63 op_sel_hi:[1,0,1]
	v_pk_fma_f16 v65, v68, v72, v203 op_sel_hi:[1,0,1]
	v_pk_fma_f16 v66, v69, v72, v204 op_sel_hi:[1,0,1]
	v_pk_fma_f16 v67, v70, v72, v205 op_sel_hi:[1,0,1]
	v_pk_fma_f16 v68, v71, v72, v206 op_sel_hi:[1,0,1]
	v_pk_fma_f16 v64, v76, v72, v64 op_sel:[0,1,0]
	v_pk_fma_f16 v61, v77, v72, v61 op_sel:[0,1,0]
	v_pk_fma_f16 v62, v78, v72, v62 op_sel:[0,1,0]
	v_pk_fma_f16 v63, v79, v72, v63 op_sel:[0,1,0]
	v_pk_fma_f16 v65, v80, v72, v65 op_sel:[0,1,0]
	v_pk_fma_f16 v66, v81, v72, v66 op_sel:[0,1,0]
	v_pk_fma_f16 v67, v82, v72, v67 op_sel:[0,1,0]
	v_pk_fma_f16 v68, v83, v72, v68 op_sel:[0,1,0]
	v_pk_fma_f16 v64, v123, v73, v64 op_sel_hi:[1,0,1]
	v_pk_fma_f16 v61, v124, v73, v61 op_sel_hi:[1,0,1]
	v_pk_fma_f16 v62, v125, v73, v62 op_sel_hi:[1,0,1]
	v_pk_fma_f16 v63, v126, v73, v63 op_sel_hi:[1,0,1]
	v_pk_fma_f16 v65, v138, v73, v65 op_sel_hi:[1,0,1]
	v_pk_fma_f16 v66, v139, v73, v66 op_sel_hi:[1,0,1]
	v_pk_fma_f16 v67, v140, v73, v67 op_sel_hi:[1,0,1]
	v_pk_fma_f16 v68, v141, v73, v68 op_sel_hi:[1,0,1]
	v_pk_fma_f16 v64, v142, v73, v64 op_sel:[0,1,0]
	v_pk_fma_f16 v61, v143, v73, v61 op_sel:[0,1,0]
	v_pk_fma_f16 v62, v144, v73, v62 op_sel:[0,1,0]
	v_pk_fma_f16 v63, v145, v73, v63 op_sel:[0,1,0]
	v_pk_fma_f16 v65, v146, v73, v65 op_sel:[0,1,0]
	v_pk_fma_f16 v66, v147, v73, v66 op_sel:[0,1,0]
	v_pk_fma_f16 v67, v148, v73, v67 op_sel:[0,1,0]
	v_pk_fma_f16 v68, v149, v73, v68 op_sel:[0,1,0]
	;; [unrolled: 16-line block ×4, first 2 shown]
	v_fmac_f32_e32 v0, v118, v127
	s_waitcnt vmcnt(3)
	ds_store_b128 v111, v[182:185]
	s_waitcnt vmcnt(2)
	ds_store_b128 v113, v[186:189]
	;; [unrolled: 2-line block ×4, first 2 shown]
	s_waitcnt lgkmcnt(0)
	s_barrier
	buffer_gl0_inv
	ds_load_2addr_b64 v[1:4], v116 offset1:32
	ds_load_2addr_b64 v[5:8], v116 offset0:64 offset1:96
	ds_load_b128 v[9:12], v110 offset:96
	ds_load_2addr_b64 v[13:16], v116 offset0:128 offset1:160
	ds_load_2addr_b64 v[17:20], v116 offset0:192 offset1:224
	ds_load_2addr_b64 v[21:24], v135 offset1:32
	ds_load_2addr_b64 v[25:28], v135 offset0:64 offset1:96
	ds_load_2addr_b64 v[29:32], v135 offset0:128 offset1:160
	ds_load_2addr_b64 v[33:36], v135 offset0:192 offset1:224
	ds_load_2addr_b64 v[37:40], v134 offset1:32
	ds_load_2addr_b64 v[41:44], v134 offset0:64 offset1:96
	;; [unrolled: 4-line block ×3, first 2 shown]
	ds_load_2addr_b64 v[119:122], v133 offset0:128 offset1:160
	ds_load_2addr_b64 v[182:185], v133 offset0:192 offset1:224
	s_waitcnt lgkmcnt(0)
	s_barrier
	buffer_gl0_inv
	s_clause 0x3
	global_load_b128 v[186:189], v[198:199], off
	global_load_b128 v[190:193], v[198:199], off offset:512
	global_load_b128 v[194:197], v[200:201], off
	global_load_b128 v[198:201], v[200:201], off offset:512
	s_waitcnt vmcnt(3)
	ds_store_b128 v111, v[186:189]
	s_waitcnt vmcnt(2)
	ds_store_b128 v113, v[190:193]
	;; [unrolled: 2-line block ×4, first 2 shown]
	v_pk_fma_f16 v1, v1, v9, v64 op_sel_hi:[1,0,1]
	v_pk_fma_f16 v2, v2, v9, v61 op_sel_hi:[1,0,1]
	v_pk_fma_f16 v3, v3, v9, v62 op_sel_hi:[1,0,1]
	v_pk_fma_f16 v4, v4, v9, v63 op_sel_hi:[1,0,1]
	v_pk_fma_f16 v5, v5, v9, v65 op_sel_hi:[1,0,1]
	v_pk_fma_f16 v6, v6, v9, v66 op_sel_hi:[1,0,1]
	v_pk_fma_f16 v7, v7, v9, v67 op_sel_hi:[1,0,1]
	v_pk_fma_f16 v8, v8, v9, v68 op_sel_hi:[1,0,1]
	v_pk_fma_f16 v1, v13, v9, v1 op_sel:[0,1,0]
	v_pk_fma_f16 v2, v14, v9, v2 op_sel:[0,1,0]
	v_pk_fma_f16 v3, v15, v9, v3 op_sel:[0,1,0]
	v_pk_fma_f16 v4, v16, v9, v4 op_sel:[0,1,0]
	v_pk_fma_f16 v5, v17, v9, v5 op_sel:[0,1,0]
	v_pk_fma_f16 v6, v18, v9, v6 op_sel:[0,1,0]
	v_pk_fma_f16 v7, v19, v9, v7 op_sel:[0,1,0]
	v_pk_fma_f16 v8, v20, v9, v8 op_sel:[0,1,0]
	v_pk_fma_f16 v1, v21, v10, v1 op_sel_hi:[1,0,1]
	v_pk_fma_f16 v2, v22, v10, v2 op_sel_hi:[1,0,1]
	v_pk_fma_f16 v3, v23, v10, v3 op_sel_hi:[1,0,1]
	v_pk_fma_f16 v4, v24, v10, v4 op_sel_hi:[1,0,1]
	v_pk_fma_f16 v5, v25, v10, v5 op_sel_hi:[1,0,1]
	v_pk_fma_f16 v6, v26, v10, v6 op_sel_hi:[1,0,1]
	v_pk_fma_f16 v7, v27, v10, v7 op_sel_hi:[1,0,1]
	v_pk_fma_f16 v8, v28, v10, v8 op_sel_hi:[1,0,1]
	v_pk_fma_f16 v1, v29, v10, v1 op_sel:[0,1,0]
	v_pk_fma_f16 v2, v30, v10, v2 op_sel:[0,1,0]
	v_pk_fma_f16 v3, v31, v10, v3 op_sel:[0,1,0]
	v_pk_fma_f16 v4, v32, v10, v4 op_sel:[0,1,0]
	v_pk_fma_f16 v5, v33, v10, v5 op_sel:[0,1,0]
	v_pk_fma_f16 v6, v34, v10, v6 op_sel:[0,1,0]
	v_pk_fma_f16 v7, v35, v10, v7 op_sel:[0,1,0]
	v_pk_fma_f16 v8, v36, v10, v8 op_sel:[0,1,0]
	;; [unrolled: 16-line block ×3, first 2 shown]
	v_pk_fma_f16 v77, v53, v12, v1 op_sel_hi:[1,0,1]
	v_pk_fma_f16 v78, v54, v12, v2 op_sel_hi:[1,0,1]
	;; [unrolled: 1-line block ×8, first 2 shown]
	s_waitcnt lgkmcnt(0)
	s_barrier
	buffer_gl0_inv
	ds_load_2addr_b64 v[1:4], v116 offset1:32
	ds_load_2addr_b64 v[5:8], v116 offset0:64 offset1:96
	ds_load_b128 v[13:16], v110 offset:112
	ds_load_2addr_b64 v[17:20], v116 offset0:128 offset1:160
	ds_load_2addr_b64 v[21:24], v116 offset0:192 offset1:224
	ds_load_2addr_b64 v[25:28], v135 offset1:32
	ds_load_2addr_b64 v[29:32], v135 offset0:64 offset1:96
	ds_load_2addr_b64 v[33:36], v135 offset0:128 offset1:160
	ds_load_2addr_b64 v[37:40], v135 offset0:192 offset1:224
	ds_load_2addr_b64 v[41:44], v134 offset1:32
	ds_load_2addr_b64 v[45:48], v134 offset0:64 offset1:96
	;; [unrolled: 4-line block ×3, first 2 shown]
	ds_load_2addr_b64 v[69:72], v133 offset0:128 offset1:160
	ds_load_2addr_b64 v[73:76], v133 offset0:192 offset1:224
	v_pk_fma_f16 v58, v119, v12, v77 op_sel:[0,1,0]
	v_pk_fma_f16 v59, v120, v12, v78 op_sel:[0,1,0]
	;; [unrolled: 1-line block ×8, first 2 shown]
	s_waitcnt lgkmcnt(14)
	v_pk_fma_f16 v1, v1, v13, v58 op_sel_hi:[1,0,1]
	v_pk_fma_f16 v2, v2, v13, v59 op_sel_hi:[1,0,1]
	;; [unrolled: 1-line block ×8, first 2 shown]
	s_waitcnt lgkmcnt(13)
	v_pk_fma_f16 v1, v17, v13, v1 op_sel:[0,1,0]
	v_pk_fma_f16 v2, v18, v13, v2 op_sel:[0,1,0]
	;; [unrolled: 1-line block ×4, first 2 shown]
	s_waitcnt lgkmcnt(12)
	v_pk_fma_f16 v5, v21, v13, v5 op_sel:[0,1,0]
	v_pk_fma_f16 v6, v22, v13, v6 op_sel:[0,1,0]
	;; [unrolled: 1-line block ×4, first 2 shown]
	s_waitcnt lgkmcnt(11)
	v_pk_fma_f16 v1, v25, v14, v1 op_sel_hi:[1,0,1]
	v_pk_fma_f16 v2, v26, v14, v2 op_sel_hi:[1,0,1]
	;; [unrolled: 1-line block ×4, first 2 shown]
	s_waitcnt lgkmcnt(10)
	v_pk_fma_f16 v5, v29, v14, v5 op_sel_hi:[1,0,1]
	v_pk_fma_f16 v6, v30, v14, v6 op_sel_hi:[1,0,1]
	;; [unrolled: 1-line block ×4, first 2 shown]
	s_waitcnt lgkmcnt(0)
	s_barrier
	buffer_gl0_inv
	s_load_b32 s19, s[4:5], 0x4
	v_pk_fma_f16 v1, v33, v14, v1 op_sel:[0,1,0]
	v_pk_fma_f16 v2, v34, v14, v2 op_sel:[0,1,0]
	;; [unrolled: 1-line block ×8, first 2 shown]
	v_pk_fma_f16 v1, v41, v15, v1 op_sel_hi:[1,0,1]
	v_pk_fma_f16 v2, v42, v15, v2 op_sel_hi:[1,0,1]
	;; [unrolled: 1-line block ×8, first 2 shown]
	v_pk_fma_f16 v1, v49, v15, v1 op_sel:[0,1,0]
	v_pk_fma_f16 v2, v50, v15, v2 op_sel:[0,1,0]
	;; [unrolled: 1-line block ×8, first 2 shown]
	v_pk_fma_f16 v1, v61, v16, v1 op_sel_hi:[1,0,1]
	v_pk_fma_f16 v2, v62, v16, v2 op_sel_hi:[1,0,1]
	;; [unrolled: 1-line block ×8, first 2 shown]
	s_waitcnt lgkmcnt(0)
	s_lshl_b32 s19, s19, 6
	v_pk_fma_f16 v123, v69, v16, v1 op_sel:[0,1,0]
	v_pk_fma_f16 v124, v70, v16, v2 op_sel:[0,1,0]
	;; [unrolled: 1-line block ×8, first 2 shown]
	s_add_i32 s3, s19, s3
	s_delay_alu instid0(SALU_CYCLE_1)
	s_cmp_lt_i32 s3, s2
	s_cbranch_scc0 .LBB28_21
; %bb.20:                               ;   in Loop: Header=BB28_11 Depth=1
	v_dual_mov_b32 v127, v99 :: v_dual_mov_b32 v118, v0
	s_branch .LBB28_11
.LBB28_21:
	v_dual_mov_b32 v1, 32 :: v_dual_mov_b32 v4, v102
.LBB28_22:
	s_delay_alu instid0(VALU_DEP_1)
	v_cmp_lt_i32_e32 vcc_lo, v128, v1
	s_cmp_eq_u64 s[24:25], 0
	s_cselect_b32 s2, -1, 0
	s_cmp_lg_u32 s14, 0
	v_cndmask_b32_e32 v2, v4, v128, vcc_lo
	v_cmp_lt_i32_e32 vcc_lo, v129, v1
	s_cselect_b32 s3, -1, 0
	s_delay_alu instid0(SALU_CYCLE_1) | instskip(SKIP_2) | instid1(VALU_DEP_2)
	s_or_b32 s2, s3, s2
	v_cndmask_b32_e32 v3, v4, v129, vcc_lo
	v_cmp_lt_i32_e32 vcc_lo, v130, v1
	v_lshlrev_b32_e32 v3, 2, v3
	v_lshlrev_b32_e32 v2, 2, v2
	ds_bpermute_b32 v2, v2, v0
	s_waitcnt lgkmcnt(0)
	v_add_f32_e32 v0, v0, v2
	ds_bpermute_b32 v2, v3, v0
	v_cndmask_b32_e32 v3, v4, v130, vcc_lo
	v_cmp_lt_i32_e32 vcc_lo, v131, v1
	s_waitcnt lgkmcnt(0)
	s_delay_alu instid0(VALU_DEP_2) | instskip(SKIP_3) | instid1(VALU_DEP_2)
	v_dual_add_f32 v0, v0, v2 :: v_dual_lshlrev_b32 v3, 2, v3
	ds_bpermute_b32 v2, v3, v0
	v_cndmask_b32_e32 v3, v4, v131, vcc_lo
	v_cmp_lt_i32_e32 vcc_lo, v132, v1
	v_lshlrev_b32_e32 v3, 2, v3
	v_cndmask_b32_e32 v1, v4, v132, vcc_lo
	s_and_b32 vcc_lo, exec_lo, s2
	s_waitcnt lgkmcnt(0)
	s_delay_alu instid0(VALU_DEP_1)
	v_dual_add_f32 v0, v0, v2 :: v_dual_lshlrev_b32 v1, 2, v1
	ds_bpermute_b32 v2, v3, v0
	s_waitcnt lgkmcnt(0)
	v_add_f32_e32 v2, v0, v2
	v_add_nc_u32_e32 v0, s15, v100
	ds_bpermute_b32 v1, v1, v2
	s_waitcnt lgkmcnt(0)
	v_add_f32_e32 v100, v2, v1
	s_cbranch_vccnz .LBB28_24
; %bb.23:
	v_ashrrev_i32_e32 v1, 31, v0
	s_delay_alu instid0(VALU_DEP_1) | instskip(NEXT) | instid1(VALU_DEP_1)
	v_lshlrev_b64 v[1:2], 2, v[0:1]
	v_add_co_u32 v1, vcc_lo, s24, v1
	s_delay_alu instid0(VALU_DEP_2) | instskip(SKIP_3) | instid1(VALU_DEP_1)
	v_add_co_ci_u32_e32 v2, vcc_lo, s25, v2, vcc_lo
	global_load_b32 v1, v[1:2], off
	s_waitcnt vmcnt(0)
	v_dual_max_f32 v2, v99, v99 :: v_dual_max_f32 v3, v1, v1
	v_max_f32_e32 v2, v2, v3
	s_delay_alu instid0(VALU_DEP_1) | instskip(NEXT) | instid1(VALU_DEP_1)
	v_sub_f32_e32 v1, v1, v2
	v_mul_f32_e32 v5, 0x3fb8aa3b, v1
	v_sub_f32_e32 v3, v99, v2
	v_mov_b32_e32 v99, v2
	s_delay_alu instid0(VALU_DEP_3) | instskip(NEXT) | instid1(VALU_DEP_3)
	v_rndne_f32_e32 v9, v5
	v_mul_f32_e32 v4, 0x3fb8aa3b, v3
	v_fma_f32 v8, 0x3fb8aa3b, v1, -v5
	s_delay_alu instid0(VALU_DEP_3) | instskip(NEXT) | instid1(VALU_DEP_3)
	v_sub_f32_e32 v5, v5, v9
	v_fma_f32 v6, 0x3fb8aa3b, v3, -v4
	v_rndne_f32_e32 v7, v4
	s_delay_alu instid0(VALU_DEP_4) | instskip(NEXT) | instid1(VALU_DEP_2)
	v_fmac_f32_e32 v8, 0x32a5705f, v1
	v_sub_f32_e32 v4, v4, v7
	s_delay_alu instid0(VALU_DEP_4) | instskip(SKIP_1) | instid1(VALU_DEP_2)
	v_fmac_f32_e32 v6, 0x32a5705f, v3
	v_cmp_ngt_f32_e32 vcc_lo, 0xc2ce8ed0, v3
	v_dual_add_f32 v5, v5, v8 :: v_dual_add_f32 v4, v4, v6
	v_cvt_i32_f32_e32 v6, v7
	s_delay_alu instid0(VALU_DEP_2) | instskip(SKIP_1) | instid1(VALU_DEP_3)
	v_exp_f32_e32 v5, v5
	v_cvt_i32_f32_e32 v7, v9
	v_exp_f32_e32 v4, v4
	s_waitcnt_depctr 0xfff
	v_ldexp_f32 v5, v5, v7
	v_ldexp_f32 v4, v4, v6
	s_delay_alu instid0(VALU_DEP_1) | instskip(SKIP_1) | instid1(VALU_DEP_4)
	v_cndmask_b32_e32 v4, 0, v4, vcc_lo
	v_cmp_ngt_f32_e32 vcc_lo, 0xc2ce8ed0, v1
	v_cndmask_b32_e32 v5, 0, v5, vcc_lo
	v_cmp_nlt_f32_e32 vcc_lo, 0x42b17218, v3
	s_delay_alu instid0(VALU_DEP_4) | instskip(SKIP_1) | instid1(VALU_DEP_4)
	v_cndmask_b32_e32 v3, 0x7f800000, v4, vcc_lo
	v_cmp_nlt_f32_e32 vcc_lo, 0x42b17218, v1
	v_cndmask_b32_e32 v1, 0x7f800000, v5, vcc_lo
	s_delay_alu instid0(VALU_DEP_1) | instskip(NEXT) | instid1(VALU_DEP_1)
	v_fmac_f32_e32 v1, v100, v3
	v_mov_b32_e32 v100, v1
	v_cvt_f16_f32_e32 v4, v3
	s_delay_alu instid0(VALU_DEP_1)
	v_pk_mul_f16 v123, v4, v123 op_sel_hi:[0,1]
	v_pk_mul_f16 v124, v4, v124 op_sel_hi:[0,1]
	;; [unrolled: 1-line block ×8, first 2 shown]
.LBB28_24:
	s_delay_alu instid0(VALU_DEP_1) | instskip(SKIP_2) | instid1(VALU_DEP_2)
	v_div_scale_f32 v4, null, v100, v100, 1.0
	s_load_b32 s0, s[0:1], 0xd4
	v_mad_u64_u32 v[1:2], null, s12, s6, v[85:86]
	v_rcp_f32_e32 v5, v4
	v_div_scale_f32 v6, vcc_lo, 1.0, v100, 1.0
	v_lshrrev_b32_e32 v7, 16, v124
	v_cvt_f32_f16_e32 v8, v124
	v_lshrrev_b32_e32 v17, 16, v122
	v_lshrrev_b32_e32 v9, 16, v123
	v_lshrrev_b32_e32 v15, 16, v125
	v_cvt_f32_f16_e32 v7, v7
	v_cvt_f32_f16_e32 v10, v123
	s_delay_alu instid0(TRANS32_DEP_1)
	v_fma_f32 v2, -v4, v5, 1.0
	v_cvt_f32_f16_e32 v9, v9
	v_cvt_f32_f16_e32 v15, v15
	v_cvt_f32_f16_e32 v12, v126
	v_cvt_f32_f16_e32 v16, v125
	v_dual_fmac_f32 v5, v2, v5 :: v_dual_mov_b32 v14, 0
	v_mad_u64_u32 v[2:3], null, v1, s7, v[0:1]
	v_lshrrev_b32_e32 v3, 16, v126
	s_delay_alu instid0(VALU_DEP_3)
	v_mul_f32_e32 v11, v6, v5
	s_waitcnt lgkmcnt(0)
	s_cmp_lg_u32 s0, 1
	v_lshrrev_b32_e32 v21, 16, v121
	s_cselect_b32 s1, -1, 0
	v_cvt_f32_f16_e32 v22, v3
	v_mad_u64_u32 v[0:1], null, s0, v2, s[14:15]
	v_fma_f32 v1, -v4, v11, v6
	v_cvt_f32_f16_e32 v21, v21
	v_lshrrev_b32_e32 v23, 16, v119
	v_mov_b32_e32 v2, v14
	v_lshrrev_b32_e32 v24, 16, v120
	v_fmac_f32_e32 v11, v1, v5
	v_lshl_add_u32 v13, v0, 9, v101
	v_cvt_f32_f16_e32 v26, v119
	v_cvt_f32_f16_e32 v28, v120
	;; [unrolled: 1-line block ×3, first 2 shown]
	v_fma_f32 v3, -v4, v11, v6
	s_delay_alu instid0(VALU_DEP_1) | instskip(SKIP_2) | instid1(VALU_DEP_3)
	v_div_fmas_f32 v5, v3, v5, v11
	v_lshlrev_b64 v[3:4], 2, v[13:14]
	v_cvt_f32_f16_e32 v11, v17
	v_div_fixup_f32 v5, v5, v100, 1.0
	s_delay_alu instid0(VALU_DEP_3) | instskip(NEXT) | instid1(VALU_DEP_4)
	v_add_co_u32 v17, vcc_lo, s28, v3
	v_add_co_ci_u32_e32 v18, vcc_lo, s29, v4, vcc_lo
	s_delay_alu instid0(VALU_DEP_3) | instskip(SKIP_1) | instid1(VALU_DEP_2)
	v_cndmask_b32_e64 v25, v5, 1.0, s1
	v_add_nc_u32_e32 v1, 0x80, v13
	v_mul_f32_e32 v3, v25, v8
	v_mul_f32_e32 v8, v25, v22
	s_delay_alu instid0(VALU_DEP_3)
	v_lshlrev_b64 v[1:2], 2, v[1:2]
	v_mul_f32_e32 v6, v25, v15
	v_cvt_f32_f16_e32 v15, v122
	v_mul_f32_e32 v4, v25, v7
	v_mul_f32_e32 v7, v25, v12
	;; [unrolled: 1-line block ×3, first 2 shown]
	v_add_co_u32 v19, vcc_lo, s28, v1
	v_add_co_ci_u32_e32 v20, vcc_lo, s29, v2, vcc_lo
	v_mul_f32_e32 v2, v25, v9
	v_add_nc_u32_e32 v9, 0x100, v13
	v_dual_mul_f32 v1, v25, v10 :: v_dual_mov_b32 v10, v14
	v_dual_mul_f32 v12, v25, v11 :: v_dual_add_nc_u32 v13, 0x180, v13
	v_mul_f32_e32 v11, v25, v15
	v_cvt_f32_f16_e32 v22, v121
	s_delay_alu instid0(VALU_DEP_4)
	v_lshlrev_b64 v[15:16], 2, v[9:10]
	v_mul_f32_e32 v10, v25, v21
	s_clause 0x1
	global_store_b128 v[17:18], v[1:4], off
	global_store_b128 v[19:20], v[5:8], off
	v_mul_f32_e32 v9, v25, v22
	v_add_co_u32 v21, vcc_lo, s28, v15
	v_cvt_f32_f16_e32 v15, v23
	v_lshlrev_b64 v[23:24], 2, v[13:14]
	v_add_co_ci_u32_e32 v22, vcc_lo, s29, v16, vcc_lo
	v_cmp_eq_u32_e32 vcc_lo, 0, v84
	s_delay_alu instid0(VALU_DEP_4)
	v_mul_f32_e32 v16, v25, v15
	v_mul_f32_e32 v15, v25, v26
	v_add_co_u32 v23, s0, s28, v23
	v_mul_f32_e32 v14, v25, v27
	v_mul_f32_e32 v13, v25, v28
	v_add_co_ci_u32_e64 v24, s0, s29, v24, s0
	s_and_b32 s0, vcc_lo, s1
	s_clause 0x1
	global_store_b128 v[21:22], v[9:12], off
	global_store_b128 v[23:24], v[13:16], off
	s_and_saveexec_b32 s1, s0
	s_cbranch_execz .LBB28_26
; %bb.25:
	v_ashrrev_i32_e32 v1, 31, v0
	s_delay_alu instid0(VALU_DEP_1) | instskip(NEXT) | instid1(VALU_DEP_1)
	v_lshlrev_b64 v[0:1], 3, v[0:1]
	v_add_co_u32 v0, vcc_lo, s30, v0
	s_delay_alu instid0(VALU_DEP_2)
	v_add_co_ci_u32_e32 v1, vcc_lo, s31, v1, vcc_lo
	global_store_b64 v[0:1], v[99:100], off
.LBB28_26:
	s_nop 0
	s_sendmsg sendmsg(MSG_DEALLOC_VGPRS)
	s_endpgm
	.section	.rodata,"a",@progbits
	.p2align	6, 0x0
	.amdhsa_kernel _ZL15flash_attn_tileILi576ELi512ELi1ELi4ELb1EEvPKcS1_S1_S1_S1_PKiPfP15HIP_vector_typeIfLj2EEffffjfiS5_IjLj3EEiiiiiiiiiiiliiliiiiil
		.amdhsa_group_segment_fixed_size 14336
		.amdhsa_private_segment_fixed_size 0
		.amdhsa_kernarg_size 464
		.amdhsa_user_sgpr_count 13
		.amdhsa_user_sgpr_dispatch_ptr 0
		.amdhsa_user_sgpr_queue_ptr 0
		.amdhsa_user_sgpr_kernarg_segment_ptr 1
		.amdhsa_user_sgpr_dispatch_id 0
		.amdhsa_user_sgpr_private_segment_size 0
		.amdhsa_wavefront_size32 1
		.amdhsa_uses_dynamic_stack 0
		.amdhsa_enable_private_segment 0
		.amdhsa_system_sgpr_workgroup_id_x 1
		.amdhsa_system_sgpr_workgroup_id_y 1
		.amdhsa_system_sgpr_workgroup_id_z 1
		.amdhsa_system_sgpr_workgroup_info 0
		.amdhsa_system_vgpr_workitem_id 1
		.amdhsa_next_free_vgpr 214
		.amdhsa_next_free_sgpr 41
		.amdhsa_reserve_vcc 1
		.amdhsa_float_round_mode_32 0
		.amdhsa_float_round_mode_16_64 0
		.amdhsa_float_denorm_mode_32 3
		.amdhsa_float_denorm_mode_16_64 3
		.amdhsa_dx10_clamp 1
		.amdhsa_ieee_mode 1
		.amdhsa_fp16_overflow 0
		.amdhsa_workgroup_processor_mode 1
		.amdhsa_memory_ordered 1
		.amdhsa_forward_progress 0
		.amdhsa_shared_vgpr_count 0
		.amdhsa_exception_fp_ieee_invalid_op 0
		.amdhsa_exception_fp_denorm_src 0
		.amdhsa_exception_fp_ieee_div_zero 0
		.amdhsa_exception_fp_ieee_overflow 0
		.amdhsa_exception_fp_ieee_underflow 0
		.amdhsa_exception_fp_ieee_inexact 0
		.amdhsa_exception_int_div_zero 0
	.end_amdhsa_kernel
	.section	.text._ZL15flash_attn_tileILi576ELi512ELi1ELi4ELb1EEvPKcS1_S1_S1_S1_PKiPfP15HIP_vector_typeIfLj2EEffffjfiS5_IjLj3EEiiiiiiiiiiiliiliiiiil,"axG",@progbits,_ZL15flash_attn_tileILi576ELi512ELi1ELi4ELb1EEvPKcS1_S1_S1_S1_PKiPfP15HIP_vector_typeIfLj2EEffffjfiS5_IjLj3EEiiiiiiiiiiiliiliiiiil,comdat
.Lfunc_end28:
	.size	_ZL15flash_attn_tileILi576ELi512ELi1ELi4ELb1EEvPKcS1_S1_S1_S1_PKiPfP15HIP_vector_typeIfLj2EEffffjfiS5_IjLj3EEiiiiiiiiiiiliiliiiiil, .Lfunc_end28-_ZL15flash_attn_tileILi576ELi512ELi1ELi4ELb1EEvPKcS1_S1_S1_S1_PKiPfP15HIP_vector_typeIfLj2EEffffjfiS5_IjLj3EEiiiiiiiiiiiliiliiiiil
                                        ; -- End function
	.section	.AMDGPU.csdata,"",@progbits
; Kernel info:
; codeLenInByte = 26052
; NumSgprs: 43
; NumVgprs: 214
; ScratchSize: 0
; MemoryBound: 0
; FloatMode: 240
; IeeeMode: 1
; LDSByteSize: 14336 bytes/workgroup (compile time only)
; SGPRBlocks: 5
; VGPRBlocks: 26
; NumSGPRsForWavesPerEU: 43
; NumVGPRsForWavesPerEU: 214
; Occupancy: 7
; WaveLimiterHint : 1
; COMPUTE_PGM_RSRC2:SCRATCH_EN: 0
; COMPUTE_PGM_RSRC2:USER_SGPR: 13
; COMPUTE_PGM_RSRC2:TRAP_HANDLER: 0
; COMPUTE_PGM_RSRC2:TGID_X_EN: 1
; COMPUTE_PGM_RSRC2:TGID_Y_EN: 1
; COMPUTE_PGM_RSRC2:TGID_Z_EN: 1
; COMPUTE_PGM_RSRC2:TIDIG_COMP_CNT: 1
	.text
	.p2alignl 7, 3214868480
	.fill 96, 4, 3214868480
	.type	__hip_cuid_9d892909b0521014,@object ; @__hip_cuid_9d892909b0521014
	.section	.bss,"aw",@nobits
	.globl	__hip_cuid_9d892909b0521014
__hip_cuid_9d892909b0521014:
	.byte	0                               ; 0x0
	.size	__hip_cuid_9d892909b0521014, 1

	.ident	"AMD clang version 19.0.0git (https://github.com/RadeonOpenCompute/llvm-project roc-6.4.0 25133 c7fe45cf4b819c5991fe208aaa96edf142730f1d)"
	.section	".note.GNU-stack","",@progbits
	.addrsig
	.addrsig_sym __hip_cuid_9d892909b0521014
	.amdgpu_metadata
---
amdhsa.kernels:
  - .args:
      - .address_space:  global
        .offset:         0
        .size:           8
        .value_kind:     global_buffer
      - .address_space:  global
        .offset:         8
        .size:           8
        .value_kind:     global_buffer
      - .address_space:  global
        .offset:         16
        .size:           8
        .value_kind:     global_buffer
      - .address_space:  global
        .offset:         24
        .size:           8
        .value_kind:     global_buffer
      - .address_space:  global
        .offset:         32
        .size:           8
        .value_kind:     global_buffer
      - .address_space:  global
        .offset:         40
        .size:           8
        .value_kind:     global_buffer
      - .address_space:  global
        .offset:         48
        .size:           8
        .value_kind:     global_buffer
      - .address_space:  global
        .offset:         56
        .size:           8
        .value_kind:     global_buffer
      - .offset:         64
        .size:           4
        .value_kind:     by_value
      - .offset:         68
        .size:           4
        .value_kind:     by_value
      - .offset:         72
        .size:           4
        .value_kind:     by_value
      - .offset:         76
        .size:           4
        .value_kind:     by_value
      - .offset:         80
        .size:           4
        .value_kind:     by_value
      - .offset:         84
        .size:           4
        .value_kind:     by_value
      - .offset:         88
        .size:           4
        .value_kind:     by_value
      - .offset:         92
        .size:           12
        .value_kind:     by_value
      - .offset:         104
        .size:           4
        .value_kind:     by_value
      - .offset:         108
        .size:           4
        .value_kind:     by_value
      - .offset:         112
        .size:           4
        .value_kind:     by_value
      - .offset:         116
        .size:           4
        .value_kind:     by_value
      - .offset:         120
        .size:           4
        .value_kind:     by_value
      - .offset:         124
        .size:           4
        .value_kind:     by_value
      - .offset:         128
        .size:           4
        .value_kind:     by_value
      - .offset:         132
        .size:           4
        .value_kind:     by_value
      - .offset:         136
        .size:           4
        .value_kind:     by_value
      - .offset:         140
        .size:           4
        .value_kind:     by_value
      - .offset:         144
        .size:           4
        .value_kind:     by_value
      - .offset:         152
        .size:           8
        .value_kind:     by_value
      - .offset:         160
        .size:           4
        .value_kind:     by_value
      - .offset:         164
        .size:           4
        .value_kind:     by_value
      - .offset:         168
        .size:           8
        .value_kind:     by_value
      - .offset:         176
        .size:           4
        .value_kind:     by_value
      - .offset:         180
        .size:           4
        .value_kind:     by_value
      - .offset:         184
        .size:           4
        .value_kind:     by_value
      - .offset:         188
        .size:           4
        .value_kind:     by_value
      - .offset:         192
        .size:           4
        .value_kind:     by_value
      - .offset:         200
        .size:           8
        .value_kind:     by_value
      - .offset:         208
        .size:           4
        .value_kind:     hidden_block_count_x
      - .offset:         212
        .size:           4
        .value_kind:     hidden_block_count_y
      - .offset:         216
        .size:           4
        .value_kind:     hidden_block_count_z
      - .offset:         220
        .size:           2
        .value_kind:     hidden_group_size_x
      - .offset:         222
        .size:           2
        .value_kind:     hidden_group_size_y
      - .offset:         224
        .size:           2
        .value_kind:     hidden_group_size_z
      - .offset:         226
        .size:           2
        .value_kind:     hidden_remainder_x
      - .offset:         228
        .size:           2
        .value_kind:     hidden_remainder_y
      - .offset:         230
        .size:           2
        .value_kind:     hidden_remainder_z
      - .offset:         248
        .size:           8
        .value_kind:     hidden_global_offset_x
      - .offset:         256
        .size:           8
        .value_kind:     hidden_global_offset_y
      - .offset:         264
        .size:           8
        .value_kind:     hidden_global_offset_z
      - .offset:         272
        .size:           2
        .value_kind:     hidden_grid_dims
    .group_segment_fixed_size: 63488
    .kernarg_segment_align: 8
    .kernarg_segment_size: 464
    .language:       OpenCL C
    .language_version:
      - 2
      - 0
    .max_flat_workgroup_size: 256
    .name:           _ZL15flash_attn_tileILi576ELi512ELi2ELi16ELb0EEvPKcS1_S1_S1_S1_PKiPfP15HIP_vector_typeIfLj2EEffffjfiS5_IjLj3EEiiiiiiiiiiiliiliiiiil
    .private_segment_fixed_size: 0
    .sgpr_count:     42
    .sgpr_spill_count: 0
    .symbol:         _ZL15flash_attn_tileILi576ELi512ELi2ELi16ELb0EEvPKcS1_S1_S1_S1_PKiPfP15HIP_vector_typeIfLj2EEffffjfiS5_IjLj3EEiiiiiiiiiiiliiliiiiil.kd
    .uniform_work_group_size: 1
    .uses_dynamic_stack: false
    .vgpr_count:     210
    .vgpr_spill_count: 0
    .wavefront_size: 32
    .workgroup_processor_mode: 1
  - .args:
      - .actual_access:  read_only
        .address_space:  global
        .offset:         0
        .size:           8
        .value_kind:     global_buffer
      - .actual_access:  write_only
        .address_space:  global
        .offset:         8
        .size:           8
        .value_kind:     global_buffer
      - .offset:         16
        .size:           4
        .value_kind:     by_value
      - .offset:         20
        .size:           4
        .value_kind:     by_value
      - .offset:         24
        .size:           4
        .value_kind:     by_value
      - .offset:         32
        .size:           4
        .value_kind:     hidden_block_count_x
      - .offset:         36
        .size:           4
        .value_kind:     hidden_block_count_y
      - .offset:         40
        .size:           4
        .value_kind:     hidden_block_count_z
      - .offset:         44
        .size:           2
        .value_kind:     hidden_group_size_x
      - .offset:         46
        .size:           2
        .value_kind:     hidden_group_size_y
      - .offset:         48
        .size:           2
        .value_kind:     hidden_group_size_z
      - .offset:         50
        .size:           2
        .value_kind:     hidden_remainder_x
      - .offset:         52
        .size:           2
        .value_kind:     hidden_remainder_y
      - .offset:         54
        .size:           2
        .value_kind:     hidden_remainder_z
      - .offset:         72
        .size:           8
        .value_kind:     hidden_global_offset_x
      - .offset:         80
        .size:           8
        .value_kind:     hidden_global_offset_y
      - .offset:         88
        .size:           8
        .value_kind:     hidden_global_offset_z
      - .offset:         96
        .size:           2
        .value_kind:     hidden_grid_dims
    .group_segment_fixed_size: 128
    .kernarg_segment_align: 8
    .kernarg_segment_size: 288
    .language:       OpenCL C
    .language_version:
      - 2
      - 0
    .max_flat_workgroup_size: 128
    .name:           _ZL25flash_attn_mask_to_KV_maxILi2EEvPK7__half2Piiii
    .private_segment_fixed_size: 0
    .sgpr_count:     18
    .sgpr_spill_count: 0
    .symbol:         _ZL25flash_attn_mask_to_KV_maxILi2EEvPK7__half2Piiii.kd
    .uniform_work_group_size: 1
    .uses_dynamic_stack: false
    .vgpr_count:     7
    .vgpr_spill_count: 0
    .wavefront_size: 32
    .workgroup_processor_mode: 1
  - .args:
      - .address_space:  global
        .offset:         0
        .size:           8
        .value_kind:     global_buffer
      - .address_space:  global
        .offset:         8
        .size:           8
        .value_kind:     global_buffer
      - .offset:         16
        .size:           4
        .value_kind:     by_value
      - .offset:         20
        .size:           4
        .value_kind:     by_value
      - .offset:         24
        .size:           4
        .value_kind:     by_value
      - .offset:         28
        .size:           4
        .value_kind:     by_value
      - .offset:         32
        .size:           4
        .value_kind:     by_value
      - .offset:         36
        .size:           4
        .value_kind:     by_value
      - .offset:         40
        .size:           12
        .value_kind:     by_value
      - .offset:         52
        .size:           12
        .value_kind:     by_value
      - .offset:         64
        .size:           12
        .value_kind:     by_value
    .group_segment_fixed_size: 0
    .kernarg_segment_align: 8
    .kernarg_segment_size: 76
    .language:       OpenCL C
    .language_version:
      - 2
      - 0
    .max_flat_workgroup_size: 512
    .name:           _ZL33flash_attn_stream_k_fixup_uniformILi512ELi2ELi16EEvPfPK15HIP_vector_typeIfLj2EEiiiiiiS1_IjLj3EES5_S5_
    .private_segment_fixed_size: 0
    .sgpr_count:     22
    .sgpr_spill_count: 0
    .symbol:         _ZL33flash_attn_stream_k_fixup_uniformILi512ELi2ELi16EEvPfPK15HIP_vector_typeIfLj2EEiiiiiiS1_IjLj3EES5_S5_.kd
    .uniform_work_group_size: 1
    .uses_dynamic_stack: false
    .vgpr_count:     15
    .vgpr_spill_count: 0
    .wavefront_size: 32
    .workgroup_processor_mode: 1
  - .args:
      - .address_space:  global
        .offset:         0
        .size:           8
        .value_kind:     global_buffer
      - .address_space:  global
        .offset:         8
        .size:           8
        .value_kind:     global_buffer
      - .offset:         16
        .size:           4
        .value_kind:     by_value
      - .offset:         20
        .size:           4
        .value_kind:     by_value
      - .offset:         24
        .size:           4
        .value_kind:     by_value
      - .offset:         28
        .size:           4
        .value_kind:     by_value
      - .offset:         32
        .size:           12
        .value_kind:     by_value
      - .offset:         44
        .size:           12
        .value_kind:     by_value
      - .offset:         56
        .size:           12
        .value_kind:     by_value
      - .offset:         68
        .size:           12
        .value_kind:     by_value
      - .offset:         80
        .size:           4
        .value_kind:     hidden_block_count_x
      - .offset:         84
        .size:           4
        .value_kind:     hidden_block_count_y
      - .offset:         88
        .size:           4
        .value_kind:     hidden_block_count_z
      - .offset:         92
        .size:           2
        .value_kind:     hidden_group_size_x
      - .offset:         94
        .size:           2
        .value_kind:     hidden_group_size_y
      - .offset:         96
        .size:           2
        .value_kind:     hidden_group_size_z
      - .offset:         98
        .size:           2
        .value_kind:     hidden_remainder_x
      - .offset:         100
        .size:           2
        .value_kind:     hidden_remainder_y
      - .offset:         102
        .size:           2
        .value_kind:     hidden_remainder_z
      - .offset:         120
        .size:           8
        .value_kind:     hidden_global_offset_x
      - .offset:         128
        .size:           8
        .value_kind:     hidden_global_offset_y
      - .offset:         136
        .size:           8
        .value_kind:     hidden_global_offset_z
      - .offset:         144
        .size:           2
        .value_kind:     hidden_grid_dims
    .group_segment_fixed_size: 0
    .kernarg_segment_align: 8
    .kernarg_segment_size: 336
    .language:       OpenCL C
    .language_version:
      - 2
      - 0
    .max_flat_workgroup_size: 512
    .name:           _ZL33flash_attn_stream_k_fixup_generalILi512ELi2ELi16EEvPfPK15HIP_vector_typeIfLj2EEiiiiS1_IjLj3EES5_S5_S5_
    .private_segment_fixed_size: 0
    .sgpr_count:     34
    .sgpr_spill_count: 0
    .symbol:         _ZL33flash_attn_stream_k_fixup_generalILi512ELi2ELi16EEvPfPK15HIP_vector_typeIfLj2EEiiiiS1_IjLj3EES5_S5_S5_.kd
    .uniform_work_group_size: 1
    .uses_dynamic_stack: false
    .vgpr_count:     19
    .vgpr_spill_count: 0
    .wavefront_size: 32
    .workgroup_processor_mode: 1
  - .args:
      - .address_space:  global
        .offset:         0
        .size:           8
        .value_kind:     global_buffer
      - .address_space:  global
        .offset:         8
        .size:           8
        .value_kind:     global_buffer
      - .address_space:  global
        .offset:         16
        .size:           8
        .value_kind:     global_buffer
      - .offset:         24
        .size:           4
        .value_kind:     by_value
      - .offset:         32
        .size:           4
        .value_kind:     hidden_block_count_x
      - .offset:         36
        .size:           4
        .value_kind:     hidden_block_count_y
      - .offset:         40
        .size:           4
        .value_kind:     hidden_block_count_z
      - .offset:         44
        .size:           2
        .value_kind:     hidden_group_size_x
      - .offset:         46
        .size:           2
        .value_kind:     hidden_group_size_y
      - .offset:         48
        .size:           2
        .value_kind:     hidden_group_size_z
      - .offset:         50
        .size:           2
        .value_kind:     hidden_remainder_x
      - .offset:         52
        .size:           2
        .value_kind:     hidden_remainder_y
      - .offset:         54
        .size:           2
        .value_kind:     hidden_remainder_z
      - .offset:         72
        .size:           8
        .value_kind:     hidden_global_offset_x
      - .offset:         80
        .size:           8
        .value_kind:     hidden_global_offset_y
      - .offset:         88
        .size:           8
        .value_kind:     hidden_global_offset_z
      - .offset:         96
        .size:           2
        .value_kind:     hidden_grid_dims
      - .offset:         152
        .size:           4
        .value_kind:     hidden_dynamic_lds_size
    .group_segment_fixed_size: 0
    .kernarg_segment_align: 8
    .kernarg_segment_size: 288
    .language:       OpenCL C
    .language_version:
      - 2
      - 0
    .max_flat_workgroup_size: 512
    .name:           _ZL26flash_attn_combine_resultsILi512EEvPKfPK15HIP_vector_typeIfLj2EEPfi
    .private_segment_fixed_size: 0
    .sgpr_count:     18
    .sgpr_spill_count: 0
    .symbol:         _ZL26flash_attn_combine_resultsILi512EEvPKfPK15HIP_vector_typeIfLj2EEPfi.kd
    .uniform_work_group_size: 1
    .uses_dynamic_stack: false
    .vgpr_count:     55
    .vgpr_spill_count: 0
    .wavefront_size: 32
    .workgroup_processor_mode: 1
  - .args:
      - .address_space:  global
        .offset:         0
        .size:           8
        .value_kind:     global_buffer
      - .address_space:  global
        .offset:         8
        .size:           8
        .value_kind:     global_buffer
      - .address_space:  global
        .offset:         16
        .size:           8
        .value_kind:     global_buffer
      - .address_space:  global
        .offset:         24
        .size:           8
        .value_kind:     global_buffer
      - .address_space:  global
        .offset:         32
        .size:           8
        .value_kind:     global_buffer
      - .address_space:  global
        .offset:         40
        .size:           8
        .value_kind:     global_buffer
      - .address_space:  global
        .offset:         48
        .size:           8
        .value_kind:     global_buffer
      - .address_space:  global
        .offset:         56
        .size:           8
        .value_kind:     global_buffer
      - .offset:         64
        .size:           4
        .value_kind:     by_value
      - .offset:         68
        .size:           4
        .value_kind:     by_value
      - .offset:         72
        .size:           4
        .value_kind:     by_value
      - .offset:         76
        .size:           4
        .value_kind:     by_value
      - .offset:         80
        .size:           4
        .value_kind:     by_value
      - .offset:         84
        .size:           4
        .value_kind:     by_value
      - .offset:         88
        .size:           4
        .value_kind:     by_value
      - .offset:         92
        .size:           12
        .value_kind:     by_value
      - .offset:         104
        .size:           4
        .value_kind:     by_value
      - .offset:         108
        .size:           4
        .value_kind:     by_value
      - .offset:         112
        .size:           4
        .value_kind:     by_value
      - .offset:         116
        .size:           4
        .value_kind:     by_value
      - .offset:         120
        .size:           4
        .value_kind:     by_value
      - .offset:         124
        .size:           4
        .value_kind:     by_value
      - .offset:         128
        .size:           4
        .value_kind:     by_value
      - .offset:         132
        .size:           4
        .value_kind:     by_value
      - .offset:         136
        .size:           4
        .value_kind:     by_value
      - .offset:         140
        .size:           4
        .value_kind:     by_value
      - .offset:         144
        .size:           4
        .value_kind:     by_value
      - .offset:         152
        .size:           8
        .value_kind:     by_value
      - .offset:         160
        .size:           4
        .value_kind:     by_value
      - .offset:         164
        .size:           4
        .value_kind:     by_value
      - .offset:         168
        .size:           8
        .value_kind:     by_value
      - .offset:         176
        .size:           4
        .value_kind:     by_value
      - .offset:         180
        .size:           4
        .value_kind:     by_value
      - .offset:         184
        .size:           4
        .value_kind:     by_value
      - .offset:         188
        .size:           4
        .value_kind:     by_value
      - .offset:         192
        .size:           4
        .value_kind:     by_value
      - .offset:         200
        .size:           8
        .value_kind:     by_value
      - .offset:         208
        .size:           4
        .value_kind:     hidden_block_count_x
      - .offset:         212
        .size:           4
        .value_kind:     hidden_block_count_y
      - .offset:         216
        .size:           4
        .value_kind:     hidden_block_count_z
      - .offset:         220
        .size:           2
        .value_kind:     hidden_group_size_x
      - .offset:         222
        .size:           2
        .value_kind:     hidden_group_size_y
      - .offset:         224
        .size:           2
        .value_kind:     hidden_group_size_z
      - .offset:         226
        .size:           2
        .value_kind:     hidden_remainder_x
      - .offset:         228
        .size:           2
        .value_kind:     hidden_remainder_y
      - .offset:         230
        .size:           2
        .value_kind:     hidden_remainder_z
      - .offset:         248
        .size:           8
        .value_kind:     hidden_global_offset_x
      - .offset:         256
        .size:           8
        .value_kind:     hidden_global_offset_y
      - .offset:         264
        .size:           8
        .value_kind:     hidden_global_offset_z
      - .offset:         272
        .size:           2
        .value_kind:     hidden_grid_dims
    .group_segment_fixed_size: 29696
    .kernarg_segment_align: 8
    .kernarg_segment_size: 464
    .language:       OpenCL C
    .language_version:
      - 2
      - 0
    .max_flat_workgroup_size: 256
    .name:           _ZL15flash_attn_tileILi576ELi512ELi1ELi16ELb0EEvPKcS1_S1_S1_S1_PKiPfP15HIP_vector_typeIfLj2EEffffjfiS5_IjLj3EEiiiiiiiiiiiliiliiiiil
    .private_segment_fixed_size: 0
    .sgpr_count:     44
    .sgpr_spill_count: 0
    .symbol:         _ZL15flash_attn_tileILi576ELi512ELi1ELi16ELb0EEvPKcS1_S1_S1_S1_PKiPfP15HIP_vector_typeIfLj2EEffffjfiS5_IjLj3EEiiiiiiiiiiiliiliiiiil.kd
    .uniform_work_group_size: 1
    .uses_dynamic_stack: false
    .vgpr_count:     191
    .vgpr_spill_count: 0
    .wavefront_size: 32
    .workgroup_processor_mode: 1
  - .args:
      - .actual_access:  read_only
        .address_space:  global
        .offset:         0
        .size:           8
        .value_kind:     global_buffer
      - .actual_access:  write_only
        .address_space:  global
        .offset:         8
        .size:           8
        .value_kind:     global_buffer
      - .offset:         16
        .size:           4
        .value_kind:     by_value
      - .offset:         20
        .size:           4
        .value_kind:     by_value
      - .offset:         24
        .size:           4
        .value_kind:     by_value
      - .offset:         32
        .size:           4
        .value_kind:     hidden_block_count_x
      - .offset:         36
        .size:           4
        .value_kind:     hidden_block_count_y
      - .offset:         40
        .size:           4
        .value_kind:     hidden_block_count_z
      - .offset:         44
        .size:           2
        .value_kind:     hidden_group_size_x
      - .offset:         46
        .size:           2
        .value_kind:     hidden_group_size_y
      - .offset:         48
        .size:           2
        .value_kind:     hidden_group_size_z
      - .offset:         50
        .size:           2
        .value_kind:     hidden_remainder_x
      - .offset:         52
        .size:           2
        .value_kind:     hidden_remainder_y
      - .offset:         54
        .size:           2
        .value_kind:     hidden_remainder_z
      - .offset:         72
        .size:           8
        .value_kind:     hidden_global_offset_x
      - .offset:         80
        .size:           8
        .value_kind:     hidden_global_offset_y
      - .offset:         88
        .size:           8
        .value_kind:     hidden_global_offset_z
      - .offset:         96
        .size:           2
        .value_kind:     hidden_grid_dims
    .group_segment_fixed_size: 128
    .kernarg_segment_align: 8
    .kernarg_segment_size: 288
    .language:       OpenCL C
    .language_version:
      - 2
      - 0
    .max_flat_workgroup_size: 128
    .name:           _ZL25flash_attn_mask_to_KV_maxILi1EEvPK7__half2Piiii
    .private_segment_fixed_size: 0
    .sgpr_count:     18
    .sgpr_spill_count: 0
    .symbol:         _ZL25flash_attn_mask_to_KV_maxILi1EEvPK7__half2Piiii.kd
    .uniform_work_group_size: 1
    .uses_dynamic_stack: false
    .vgpr_count:     7
    .vgpr_spill_count: 0
    .wavefront_size: 32
    .workgroup_processor_mode: 1
  - .args:
      - .address_space:  global
        .offset:         0
        .size:           8
        .value_kind:     global_buffer
      - .address_space:  global
        .offset:         8
        .size:           8
        .value_kind:     global_buffer
      - .offset:         16
        .size:           4
        .value_kind:     by_value
      - .offset:         20
        .size:           4
        .value_kind:     by_value
      - .offset:         24
        .size:           4
        .value_kind:     by_value
      - .offset:         28
        .size:           4
        .value_kind:     by_value
      - .offset:         32
        .size:           4
        .value_kind:     by_value
      - .offset:         36
        .size:           4
        .value_kind:     by_value
      - .offset:         40
        .size:           12
        .value_kind:     by_value
      - .offset:         52
        .size:           12
        .value_kind:     by_value
      - .offset:         64
        .size:           12
        .value_kind:     by_value
    .group_segment_fixed_size: 0
    .kernarg_segment_align: 8
    .kernarg_segment_size: 76
    .language:       OpenCL C
    .language_version:
      - 2
      - 0
    .max_flat_workgroup_size: 512
    .name:           _ZL33flash_attn_stream_k_fixup_uniformILi512ELi1ELi16EEvPfPK15HIP_vector_typeIfLj2EEiiiiiiS1_IjLj3EES5_S5_
    .private_segment_fixed_size: 0
    .sgpr_count:     22
    .sgpr_spill_count: 0
    .symbol:         _ZL33flash_attn_stream_k_fixup_uniformILi512ELi1ELi16EEvPfPK15HIP_vector_typeIfLj2EEiiiiiiS1_IjLj3EES5_S5_.kd
    .uniform_work_group_size: 1
    .uses_dynamic_stack: false
    .vgpr_count:     15
    .vgpr_spill_count: 0
    .wavefront_size: 32
    .workgroup_processor_mode: 1
  - .args:
      - .address_space:  global
        .offset:         0
        .size:           8
        .value_kind:     global_buffer
      - .address_space:  global
        .offset:         8
        .size:           8
        .value_kind:     global_buffer
      - .offset:         16
        .size:           4
        .value_kind:     by_value
      - .offset:         20
        .size:           4
        .value_kind:     by_value
      - .offset:         24
        .size:           4
        .value_kind:     by_value
      - .offset:         28
        .size:           4
        .value_kind:     by_value
      - .offset:         32
        .size:           12
        .value_kind:     by_value
      - .offset:         44
        .size:           12
        .value_kind:     by_value
      - .offset:         56
        .size:           12
        .value_kind:     by_value
      - .offset:         68
        .size:           12
        .value_kind:     by_value
      - .offset:         80
        .size:           4
        .value_kind:     hidden_block_count_x
      - .offset:         84
        .size:           4
        .value_kind:     hidden_block_count_y
      - .offset:         88
        .size:           4
        .value_kind:     hidden_block_count_z
      - .offset:         92
        .size:           2
        .value_kind:     hidden_group_size_x
      - .offset:         94
        .size:           2
        .value_kind:     hidden_group_size_y
      - .offset:         96
        .size:           2
        .value_kind:     hidden_group_size_z
      - .offset:         98
        .size:           2
        .value_kind:     hidden_remainder_x
      - .offset:         100
        .size:           2
        .value_kind:     hidden_remainder_y
      - .offset:         102
        .size:           2
        .value_kind:     hidden_remainder_z
      - .offset:         120
        .size:           8
        .value_kind:     hidden_global_offset_x
      - .offset:         128
        .size:           8
        .value_kind:     hidden_global_offset_y
      - .offset:         136
        .size:           8
        .value_kind:     hidden_global_offset_z
      - .offset:         144
        .size:           2
        .value_kind:     hidden_grid_dims
    .group_segment_fixed_size: 0
    .kernarg_segment_align: 8
    .kernarg_segment_size: 336
    .language:       OpenCL C
    .language_version:
      - 2
      - 0
    .max_flat_workgroup_size: 512
    .name:           _ZL33flash_attn_stream_k_fixup_generalILi512ELi1ELi16EEvPfPK15HIP_vector_typeIfLj2EEiiiiS1_IjLj3EES5_S5_S5_
    .private_segment_fixed_size: 0
    .sgpr_count:     34
    .sgpr_spill_count: 0
    .symbol:         _ZL33flash_attn_stream_k_fixup_generalILi512ELi1ELi16EEvPfPK15HIP_vector_typeIfLj2EEiiiiS1_IjLj3EES5_S5_S5_.kd
    .uniform_work_group_size: 1
    .uses_dynamic_stack: false
    .vgpr_count:     19
    .vgpr_spill_count: 0
    .wavefront_size: 32
    .workgroup_processor_mode: 1
  - .args:
      - .address_space:  global
        .offset:         0
        .size:           8
        .value_kind:     global_buffer
      - .address_space:  global
        .offset:         8
        .size:           8
        .value_kind:     global_buffer
      - .address_space:  global
        .offset:         16
        .size:           8
        .value_kind:     global_buffer
      - .address_space:  global
        .offset:         24
        .size:           8
        .value_kind:     global_buffer
      - .address_space:  global
        .offset:         32
        .size:           8
        .value_kind:     global_buffer
      - .address_space:  global
        .offset:         40
        .size:           8
        .value_kind:     global_buffer
      - .address_space:  global
        .offset:         48
        .size:           8
        .value_kind:     global_buffer
      - .address_space:  global
        .offset:         56
        .size:           8
        .value_kind:     global_buffer
      - .offset:         64
        .size:           4
        .value_kind:     by_value
      - .offset:         68
        .size:           4
        .value_kind:     by_value
      - .offset:         72
        .size:           4
        .value_kind:     by_value
      - .offset:         76
        .size:           4
        .value_kind:     by_value
      - .offset:         80
        .size:           4
        .value_kind:     by_value
      - .offset:         84
        .size:           4
        .value_kind:     by_value
      - .offset:         88
        .size:           4
        .value_kind:     by_value
      - .offset:         92
        .size:           12
        .value_kind:     by_value
      - .offset:         104
        .size:           4
        .value_kind:     by_value
      - .offset:         108
        .size:           4
        .value_kind:     by_value
      - .offset:         112
        .size:           4
        .value_kind:     by_value
      - .offset:         116
        .size:           4
        .value_kind:     by_value
      - .offset:         120
        .size:           4
        .value_kind:     by_value
      - .offset:         124
        .size:           4
        .value_kind:     by_value
      - .offset:         128
        .size:           4
        .value_kind:     by_value
      - .offset:         132
        .size:           4
        .value_kind:     by_value
      - .offset:         136
        .size:           4
        .value_kind:     by_value
      - .offset:         140
        .size:           4
        .value_kind:     by_value
      - .offset:         144
        .size:           4
        .value_kind:     by_value
      - .offset:         152
        .size:           8
        .value_kind:     by_value
      - .offset:         160
        .size:           4
        .value_kind:     by_value
      - .offset:         164
        .size:           4
        .value_kind:     by_value
      - .offset:         168
        .size:           8
        .value_kind:     by_value
      - .offset:         176
        .size:           4
        .value_kind:     by_value
      - .offset:         180
        .size:           4
        .value_kind:     by_value
      - .offset:         184
        .size:           4
        .value_kind:     by_value
      - .offset:         188
        .size:           4
        .value_kind:     by_value
      - .offset:         192
        .size:           4
        .value_kind:     by_value
      - .offset:         200
        .size:           8
        .value_kind:     by_value
      - .offset:         208
        .size:           4
        .value_kind:     hidden_block_count_x
      - .offset:         212
        .size:           4
        .value_kind:     hidden_block_count_y
      - .offset:         216
        .size:           4
        .value_kind:     hidden_block_count_z
      - .offset:         220
        .size:           2
        .value_kind:     hidden_group_size_x
      - .offset:         222
        .size:           2
        .value_kind:     hidden_group_size_y
      - .offset:         224
        .size:           2
        .value_kind:     hidden_group_size_z
      - .offset:         226
        .size:           2
        .value_kind:     hidden_remainder_x
      - .offset:         228
        .size:           2
        .value_kind:     hidden_remainder_y
      - .offset:         230
        .size:           2
        .value_kind:     hidden_remainder_z
      - .offset:         248
        .size:           8
        .value_kind:     hidden_global_offset_x
      - .offset:         256
        .size:           8
        .value_kind:     hidden_global_offset_y
      - .offset:         264
        .size:           8
        .value_kind:     hidden_global_offset_z
      - .offset:         272
        .size:           2
        .value_kind:     hidden_grid_dims
    .group_segment_fixed_size: 63488
    .kernarg_segment_align: 8
    .kernarg_segment_size: 464
    .language:       OpenCL C
    .language_version:
      - 2
      - 0
    .max_flat_workgroup_size: 256
    .name:           _ZL15flash_attn_tileILi576ELi512ELi8ELi4ELb0EEvPKcS1_S1_S1_S1_PKiPfP15HIP_vector_typeIfLj2EEffffjfiS5_IjLj3EEiiiiiiiiiiiliiliiiiil
    .private_segment_fixed_size: 0
    .sgpr_count:     42
    .sgpr_spill_count: 0
    .symbol:         _ZL15flash_attn_tileILi576ELi512ELi8ELi4ELb0EEvPKcS1_S1_S1_S1_PKiPfP15HIP_vector_typeIfLj2EEffffjfiS5_IjLj3EEiiiiiiiiiiiliiliiiiil.kd
    .uniform_work_group_size: 1
    .uses_dynamic_stack: false
    .vgpr_count:     209
    .vgpr_spill_count: 0
    .wavefront_size: 32
    .workgroup_processor_mode: 1
  - .args:
      - .actual_access:  read_only
        .address_space:  global
        .offset:         0
        .size:           8
        .value_kind:     global_buffer
      - .actual_access:  write_only
        .address_space:  global
        .offset:         8
        .size:           8
        .value_kind:     global_buffer
      - .offset:         16
        .size:           4
        .value_kind:     by_value
      - .offset:         20
        .size:           4
        .value_kind:     by_value
      - .offset:         24
        .size:           4
        .value_kind:     by_value
      - .offset:         32
        .size:           4
        .value_kind:     hidden_block_count_x
      - .offset:         36
        .size:           4
        .value_kind:     hidden_block_count_y
      - .offset:         40
        .size:           4
        .value_kind:     hidden_block_count_z
      - .offset:         44
        .size:           2
        .value_kind:     hidden_group_size_x
      - .offset:         46
        .size:           2
        .value_kind:     hidden_group_size_y
      - .offset:         48
        .size:           2
        .value_kind:     hidden_group_size_z
      - .offset:         50
        .size:           2
        .value_kind:     hidden_remainder_x
      - .offset:         52
        .size:           2
        .value_kind:     hidden_remainder_y
      - .offset:         54
        .size:           2
        .value_kind:     hidden_remainder_z
      - .offset:         72
        .size:           8
        .value_kind:     hidden_global_offset_x
      - .offset:         80
        .size:           8
        .value_kind:     hidden_global_offset_y
      - .offset:         88
        .size:           8
        .value_kind:     hidden_global_offset_z
      - .offset:         96
        .size:           2
        .value_kind:     hidden_grid_dims
    .group_segment_fixed_size: 128
    .kernarg_segment_align: 8
    .kernarg_segment_size: 288
    .language:       OpenCL C
    .language_version:
      - 2
      - 0
    .max_flat_workgroup_size: 128
    .name:           _ZL25flash_attn_mask_to_KV_maxILi8EEvPK7__half2Piiii
    .private_segment_fixed_size: 0
    .sgpr_count:     29
    .sgpr_spill_count: 0
    .symbol:         _ZL25flash_attn_mask_to_KV_maxILi8EEvPK7__half2Piiii.kd
    .uniform_work_group_size: 1
    .uses_dynamic_stack: false
    .vgpr_count:     9
    .vgpr_spill_count: 0
    .wavefront_size: 32
    .workgroup_processor_mode: 1
  - .args:
      - .address_space:  global
        .offset:         0
        .size:           8
        .value_kind:     global_buffer
      - .address_space:  global
        .offset:         8
        .size:           8
        .value_kind:     global_buffer
      - .offset:         16
        .size:           4
        .value_kind:     by_value
      - .offset:         20
        .size:           4
        .value_kind:     by_value
      - .offset:         24
        .size:           4
        .value_kind:     by_value
      - .offset:         28
        .size:           4
        .value_kind:     by_value
      - .offset:         32
        .size:           4
        .value_kind:     by_value
      - .offset:         36
        .size:           4
        .value_kind:     by_value
      - .offset:         40
        .size:           12
        .value_kind:     by_value
      - .offset:         52
        .size:           12
        .value_kind:     by_value
      - .offset:         64
        .size:           12
        .value_kind:     by_value
    .group_segment_fixed_size: 0
    .kernarg_segment_align: 8
    .kernarg_segment_size: 76
    .language:       OpenCL C
    .language_version:
      - 2
      - 0
    .max_flat_workgroup_size: 512
    .name:           _ZL33flash_attn_stream_k_fixup_uniformILi512ELi8ELi4EEvPfPK15HIP_vector_typeIfLj2EEiiiiiiS1_IjLj3EES5_S5_
    .private_segment_fixed_size: 0
    .sgpr_count:     22
    .sgpr_spill_count: 0
    .symbol:         _ZL33flash_attn_stream_k_fixup_uniformILi512ELi8ELi4EEvPfPK15HIP_vector_typeIfLj2EEiiiiiiS1_IjLj3EES5_S5_.kd
    .uniform_work_group_size: 1
    .uses_dynamic_stack: false
    .vgpr_count:     15
    .vgpr_spill_count: 0
    .wavefront_size: 32
    .workgroup_processor_mode: 1
  - .args:
      - .address_space:  global
        .offset:         0
        .size:           8
        .value_kind:     global_buffer
      - .address_space:  global
        .offset:         8
        .size:           8
        .value_kind:     global_buffer
      - .offset:         16
        .size:           4
        .value_kind:     by_value
      - .offset:         20
        .size:           4
        .value_kind:     by_value
      - .offset:         24
        .size:           4
        .value_kind:     by_value
      - .offset:         28
        .size:           4
        .value_kind:     by_value
      - .offset:         32
        .size:           12
        .value_kind:     by_value
      - .offset:         44
        .size:           12
        .value_kind:     by_value
      - .offset:         56
        .size:           12
        .value_kind:     by_value
      - .offset:         68
        .size:           12
        .value_kind:     by_value
      - .offset:         80
        .size:           4
        .value_kind:     hidden_block_count_x
      - .offset:         84
        .size:           4
        .value_kind:     hidden_block_count_y
      - .offset:         88
        .size:           4
        .value_kind:     hidden_block_count_z
      - .offset:         92
        .size:           2
        .value_kind:     hidden_group_size_x
      - .offset:         94
        .size:           2
        .value_kind:     hidden_group_size_y
      - .offset:         96
        .size:           2
        .value_kind:     hidden_group_size_z
      - .offset:         98
        .size:           2
        .value_kind:     hidden_remainder_x
      - .offset:         100
        .size:           2
        .value_kind:     hidden_remainder_y
      - .offset:         102
        .size:           2
        .value_kind:     hidden_remainder_z
      - .offset:         120
        .size:           8
        .value_kind:     hidden_global_offset_x
      - .offset:         128
        .size:           8
        .value_kind:     hidden_global_offset_y
      - .offset:         136
        .size:           8
        .value_kind:     hidden_global_offset_z
      - .offset:         144
        .size:           2
        .value_kind:     hidden_grid_dims
    .group_segment_fixed_size: 0
    .kernarg_segment_align: 8
    .kernarg_segment_size: 336
    .language:       OpenCL C
    .language_version:
      - 2
      - 0
    .max_flat_workgroup_size: 512
    .name:           _ZL33flash_attn_stream_k_fixup_generalILi512ELi8ELi4EEvPfPK15HIP_vector_typeIfLj2EEiiiiS1_IjLj3EES5_S5_S5_
    .private_segment_fixed_size: 0
    .sgpr_count:     34
    .sgpr_spill_count: 0
    .symbol:         _ZL33flash_attn_stream_k_fixup_generalILi512ELi8ELi4EEvPfPK15HIP_vector_typeIfLj2EEiiiiS1_IjLj3EES5_S5_S5_.kd
    .uniform_work_group_size: 1
    .uses_dynamic_stack: false
    .vgpr_count:     19
    .vgpr_spill_count: 0
    .wavefront_size: 32
    .workgroup_processor_mode: 1
  - .args:
      - .address_space:  global
        .offset:         0
        .size:           8
        .value_kind:     global_buffer
      - .address_space:  global
        .offset:         8
        .size:           8
        .value_kind:     global_buffer
      - .address_space:  global
        .offset:         16
        .size:           8
        .value_kind:     global_buffer
      - .address_space:  global
        .offset:         24
        .size:           8
        .value_kind:     global_buffer
      - .address_space:  global
        .offset:         32
        .size:           8
        .value_kind:     global_buffer
      - .address_space:  global
        .offset:         40
        .size:           8
        .value_kind:     global_buffer
      - .address_space:  global
        .offset:         48
        .size:           8
        .value_kind:     global_buffer
      - .address_space:  global
        .offset:         56
        .size:           8
        .value_kind:     global_buffer
      - .offset:         64
        .size:           4
        .value_kind:     by_value
      - .offset:         68
        .size:           4
        .value_kind:     by_value
      - .offset:         72
        .size:           4
        .value_kind:     by_value
      - .offset:         76
        .size:           4
        .value_kind:     by_value
      - .offset:         80
        .size:           4
        .value_kind:     by_value
      - .offset:         84
        .size:           4
        .value_kind:     by_value
      - .offset:         88
        .size:           4
        .value_kind:     by_value
      - .offset:         92
        .size:           12
        .value_kind:     by_value
      - .offset:         104
        .size:           4
        .value_kind:     by_value
      - .offset:         108
        .size:           4
        .value_kind:     by_value
      - .offset:         112
        .size:           4
        .value_kind:     by_value
      - .offset:         116
        .size:           4
        .value_kind:     by_value
      - .offset:         120
        .size:           4
        .value_kind:     by_value
      - .offset:         124
        .size:           4
        .value_kind:     by_value
      - .offset:         128
        .size:           4
        .value_kind:     by_value
      - .offset:         132
        .size:           4
        .value_kind:     by_value
      - .offset:         136
        .size:           4
        .value_kind:     by_value
      - .offset:         140
        .size:           4
        .value_kind:     by_value
      - .offset:         144
        .size:           4
        .value_kind:     by_value
      - .offset:         152
        .size:           8
        .value_kind:     by_value
      - .offset:         160
        .size:           4
        .value_kind:     by_value
      - .offset:         164
        .size:           4
        .value_kind:     by_value
      - .offset:         168
        .size:           8
        .value_kind:     by_value
      - .offset:         176
        .size:           4
        .value_kind:     by_value
      - .offset:         180
        .size:           4
        .value_kind:     by_value
      - .offset:         184
        .size:           4
        .value_kind:     by_value
      - .offset:         188
        .size:           4
        .value_kind:     by_value
      - .offset:         192
        .size:           4
        .value_kind:     by_value
      - .offset:         200
        .size:           8
        .value_kind:     by_value
      - .offset:         208
        .size:           4
        .value_kind:     hidden_block_count_x
      - .offset:         212
        .size:           4
        .value_kind:     hidden_block_count_y
      - .offset:         216
        .size:           4
        .value_kind:     hidden_block_count_z
      - .offset:         220
        .size:           2
        .value_kind:     hidden_group_size_x
      - .offset:         222
        .size:           2
        .value_kind:     hidden_group_size_y
      - .offset:         224
        .size:           2
        .value_kind:     hidden_group_size_z
      - .offset:         226
        .size:           2
        .value_kind:     hidden_remainder_x
      - .offset:         228
        .size:           2
        .value_kind:     hidden_remainder_y
      - .offset:         230
        .size:           2
        .value_kind:     hidden_remainder_z
      - .offset:         248
        .size:           8
        .value_kind:     hidden_global_offset_x
      - .offset:         256
        .size:           8
        .value_kind:     hidden_global_offset_y
      - .offset:         264
        .size:           8
        .value_kind:     hidden_global_offset_z
      - .offset:         272
        .size:           2
        .value_kind:     hidden_grid_dims
    .group_segment_fixed_size: 29696
    .kernarg_segment_align: 8
    .kernarg_segment_size: 464
    .language:       OpenCL C
    .language_version:
      - 2
      - 0
    .max_flat_workgroup_size: 256
    .name:           _ZL15flash_attn_tileILi576ELi512ELi4ELi4ELb0EEvPKcS1_S1_S1_S1_PKiPfP15HIP_vector_typeIfLj2EEffffjfiS5_IjLj3EEiiiiiiiiiiiliiliiiiil
    .private_segment_fixed_size: 0
    .sgpr_count:     44
    .sgpr_spill_count: 0
    .symbol:         _ZL15flash_attn_tileILi576ELi512ELi4ELi4ELb0EEvPKcS1_S1_S1_S1_PKiPfP15HIP_vector_typeIfLj2EEffffjfiS5_IjLj3EEiiiiiiiiiiiliiliiiiil.kd
    .uniform_work_group_size: 1
    .uses_dynamic_stack: false
    .vgpr_count:     191
    .vgpr_spill_count: 0
    .wavefront_size: 32
    .workgroup_processor_mode: 1
  - .args:
      - .actual_access:  read_only
        .address_space:  global
        .offset:         0
        .size:           8
        .value_kind:     global_buffer
      - .actual_access:  write_only
        .address_space:  global
        .offset:         8
        .size:           8
        .value_kind:     global_buffer
      - .offset:         16
        .size:           4
        .value_kind:     by_value
      - .offset:         20
        .size:           4
        .value_kind:     by_value
      - .offset:         24
        .size:           4
        .value_kind:     by_value
      - .offset:         32
        .size:           4
        .value_kind:     hidden_block_count_x
      - .offset:         36
        .size:           4
        .value_kind:     hidden_block_count_y
      - .offset:         40
        .size:           4
        .value_kind:     hidden_block_count_z
      - .offset:         44
        .size:           2
        .value_kind:     hidden_group_size_x
      - .offset:         46
        .size:           2
        .value_kind:     hidden_group_size_y
      - .offset:         48
        .size:           2
        .value_kind:     hidden_group_size_z
      - .offset:         50
        .size:           2
        .value_kind:     hidden_remainder_x
      - .offset:         52
        .size:           2
        .value_kind:     hidden_remainder_y
      - .offset:         54
        .size:           2
        .value_kind:     hidden_remainder_z
      - .offset:         72
        .size:           8
        .value_kind:     hidden_global_offset_x
      - .offset:         80
        .size:           8
        .value_kind:     hidden_global_offset_y
      - .offset:         88
        .size:           8
        .value_kind:     hidden_global_offset_z
      - .offset:         96
        .size:           2
        .value_kind:     hidden_grid_dims
    .group_segment_fixed_size: 128
    .kernarg_segment_align: 8
    .kernarg_segment_size: 288
    .language:       OpenCL C
    .language_version:
      - 2
      - 0
    .max_flat_workgroup_size: 128
    .name:           _ZL25flash_attn_mask_to_KV_maxILi4EEvPK7__half2Piiii
    .private_segment_fixed_size: 0
    .sgpr_count:     21
    .sgpr_spill_count: 0
    .symbol:         _ZL25flash_attn_mask_to_KV_maxILi4EEvPK7__half2Piiii.kd
    .uniform_work_group_size: 1
    .uses_dynamic_stack: false
    .vgpr_count:     9
    .vgpr_spill_count: 0
    .wavefront_size: 32
    .workgroup_processor_mode: 1
  - .args:
      - .address_space:  global
        .offset:         0
        .size:           8
        .value_kind:     global_buffer
      - .address_space:  global
        .offset:         8
        .size:           8
        .value_kind:     global_buffer
      - .offset:         16
        .size:           4
        .value_kind:     by_value
      - .offset:         20
        .size:           4
        .value_kind:     by_value
      - .offset:         24
        .size:           4
        .value_kind:     by_value
      - .offset:         28
        .size:           4
        .value_kind:     by_value
      - .offset:         32
        .size:           4
        .value_kind:     by_value
      - .offset:         36
        .size:           4
        .value_kind:     by_value
      - .offset:         40
        .size:           12
        .value_kind:     by_value
      - .offset:         52
        .size:           12
        .value_kind:     by_value
      - .offset:         64
        .size:           12
        .value_kind:     by_value
    .group_segment_fixed_size: 0
    .kernarg_segment_align: 8
    .kernarg_segment_size: 76
    .language:       OpenCL C
    .language_version:
      - 2
      - 0
    .max_flat_workgroup_size: 512
    .name:           _ZL33flash_attn_stream_k_fixup_uniformILi512ELi4ELi4EEvPfPK15HIP_vector_typeIfLj2EEiiiiiiS1_IjLj3EES5_S5_
    .private_segment_fixed_size: 0
    .sgpr_count:     22
    .sgpr_spill_count: 0
    .symbol:         _ZL33flash_attn_stream_k_fixup_uniformILi512ELi4ELi4EEvPfPK15HIP_vector_typeIfLj2EEiiiiiiS1_IjLj3EES5_S5_.kd
    .uniform_work_group_size: 1
    .uses_dynamic_stack: false
    .vgpr_count:     15
    .vgpr_spill_count: 0
    .wavefront_size: 32
    .workgroup_processor_mode: 1
  - .args:
      - .address_space:  global
        .offset:         0
        .size:           8
        .value_kind:     global_buffer
      - .address_space:  global
        .offset:         8
        .size:           8
        .value_kind:     global_buffer
      - .offset:         16
        .size:           4
        .value_kind:     by_value
      - .offset:         20
        .size:           4
        .value_kind:     by_value
      - .offset:         24
        .size:           4
        .value_kind:     by_value
      - .offset:         28
        .size:           4
        .value_kind:     by_value
      - .offset:         32
        .size:           12
        .value_kind:     by_value
      - .offset:         44
        .size:           12
        .value_kind:     by_value
      - .offset:         56
        .size:           12
        .value_kind:     by_value
      - .offset:         68
        .size:           12
        .value_kind:     by_value
      - .offset:         80
        .size:           4
        .value_kind:     hidden_block_count_x
      - .offset:         84
        .size:           4
        .value_kind:     hidden_block_count_y
      - .offset:         88
        .size:           4
        .value_kind:     hidden_block_count_z
      - .offset:         92
        .size:           2
        .value_kind:     hidden_group_size_x
      - .offset:         94
        .size:           2
        .value_kind:     hidden_group_size_y
      - .offset:         96
        .size:           2
        .value_kind:     hidden_group_size_z
      - .offset:         98
        .size:           2
        .value_kind:     hidden_remainder_x
      - .offset:         100
        .size:           2
        .value_kind:     hidden_remainder_y
      - .offset:         102
        .size:           2
        .value_kind:     hidden_remainder_z
      - .offset:         120
        .size:           8
        .value_kind:     hidden_global_offset_x
      - .offset:         128
        .size:           8
        .value_kind:     hidden_global_offset_y
      - .offset:         136
        .size:           8
        .value_kind:     hidden_global_offset_z
      - .offset:         144
        .size:           2
        .value_kind:     hidden_grid_dims
    .group_segment_fixed_size: 0
    .kernarg_segment_align: 8
    .kernarg_segment_size: 336
    .language:       OpenCL C
    .language_version:
      - 2
      - 0
    .max_flat_workgroup_size: 512
    .name:           _ZL33flash_attn_stream_k_fixup_generalILi512ELi4ELi4EEvPfPK15HIP_vector_typeIfLj2EEiiiiS1_IjLj3EES5_S5_S5_
    .private_segment_fixed_size: 0
    .sgpr_count:     34
    .sgpr_spill_count: 0
    .symbol:         _ZL33flash_attn_stream_k_fixup_generalILi512ELi4ELi4EEvPfPK15HIP_vector_typeIfLj2EEiiiiS1_IjLj3EES5_S5_S5_.kd
    .uniform_work_group_size: 1
    .uses_dynamic_stack: false
    .vgpr_count:     19
    .vgpr_spill_count: 0
    .wavefront_size: 32
    .workgroup_processor_mode: 1
  - .args:
      - .address_space:  global
        .offset:         0
        .size:           8
        .value_kind:     global_buffer
      - .address_space:  global
        .offset:         8
        .size:           8
        .value_kind:     global_buffer
      - .address_space:  global
        .offset:         16
        .size:           8
        .value_kind:     global_buffer
      - .address_space:  global
        .offset:         24
        .size:           8
        .value_kind:     global_buffer
      - .address_space:  global
        .offset:         32
        .size:           8
        .value_kind:     global_buffer
      - .address_space:  global
        .offset:         40
        .size:           8
        .value_kind:     global_buffer
      - .address_space:  global
        .offset:         48
        .size:           8
        .value_kind:     global_buffer
      - .address_space:  global
        .offset:         56
        .size:           8
        .value_kind:     global_buffer
      - .offset:         64
        .size:           4
        .value_kind:     by_value
      - .offset:         68
        .size:           4
        .value_kind:     by_value
      - .offset:         72
        .size:           4
        .value_kind:     by_value
      - .offset:         76
        .size:           4
        .value_kind:     by_value
      - .offset:         80
        .size:           4
        .value_kind:     by_value
      - .offset:         84
        .size:           4
        .value_kind:     by_value
      - .offset:         88
        .size:           4
        .value_kind:     by_value
      - .offset:         92
        .size:           12
        .value_kind:     by_value
      - .offset:         104
        .size:           4
        .value_kind:     by_value
      - .offset:         108
        .size:           4
        .value_kind:     by_value
      - .offset:         112
        .size:           4
        .value_kind:     by_value
      - .offset:         116
        .size:           4
        .value_kind:     by_value
      - .offset:         120
        .size:           4
        .value_kind:     by_value
      - .offset:         124
        .size:           4
        .value_kind:     by_value
      - .offset:         128
        .size:           4
        .value_kind:     by_value
      - .offset:         132
        .size:           4
        .value_kind:     by_value
      - .offset:         136
        .size:           4
        .value_kind:     by_value
      - .offset:         140
        .size:           4
        .value_kind:     by_value
      - .offset:         144
        .size:           4
        .value_kind:     by_value
      - .offset:         152
        .size:           8
        .value_kind:     by_value
      - .offset:         160
        .size:           4
        .value_kind:     by_value
      - .offset:         164
        .size:           4
        .value_kind:     by_value
      - .offset:         168
        .size:           8
        .value_kind:     by_value
      - .offset:         176
        .size:           4
        .value_kind:     by_value
      - .offset:         180
        .size:           4
        .value_kind:     by_value
      - .offset:         184
        .size:           4
        .value_kind:     by_value
      - .offset:         188
        .size:           4
        .value_kind:     by_value
      - .offset:         192
        .size:           4
        .value_kind:     by_value
      - .offset:         200
        .size:           8
        .value_kind:     by_value
      - .offset:         208
        .size:           4
        .value_kind:     hidden_block_count_x
      - .offset:         212
        .size:           4
        .value_kind:     hidden_block_count_y
      - .offset:         216
        .size:           4
        .value_kind:     hidden_block_count_z
      - .offset:         220
        .size:           2
        .value_kind:     hidden_group_size_x
      - .offset:         222
        .size:           2
        .value_kind:     hidden_group_size_y
      - .offset:         224
        .size:           2
        .value_kind:     hidden_group_size_z
      - .offset:         226
        .size:           2
        .value_kind:     hidden_remainder_x
      - .offset:         228
        .size:           2
        .value_kind:     hidden_remainder_y
      - .offset:         230
        .size:           2
        .value_kind:     hidden_remainder_z
      - .offset:         248
        .size:           8
        .value_kind:     hidden_global_offset_x
      - .offset:         256
        .size:           8
        .value_kind:     hidden_global_offset_y
      - .offset:         264
        .size:           8
        .value_kind:     hidden_global_offset_z
      - .offset:         272
        .size:           2
        .value_kind:     hidden_grid_dims
    .group_segment_fixed_size: 19456
    .kernarg_segment_align: 8
    .kernarg_segment_size: 464
    .language:       OpenCL C
    .language_version:
      - 2
      - 0
    .max_flat_workgroup_size: 256
    .name:           _ZL15flash_attn_tileILi576ELi512ELi2ELi4ELb0EEvPKcS1_S1_S1_S1_PKiPfP15HIP_vector_typeIfLj2EEffffjfiS5_IjLj3EEiiiiiiiiiiiliiliiiiil
    .private_segment_fixed_size: 0
    .sgpr_count:     42
    .sgpr_spill_count: 0
    .symbol:         _ZL15flash_attn_tileILi576ELi512ELi2ELi4ELb0EEvPKcS1_S1_S1_S1_PKiPfP15HIP_vector_typeIfLj2EEffffjfiS5_IjLj3EEiiiiiiiiiiiliiliiiiil.kd
    .uniform_work_group_size: 1
    .uses_dynamic_stack: false
    .vgpr_count:     114
    .vgpr_spill_count: 0
    .wavefront_size: 32
    .workgroup_processor_mode: 1
  - .args:
      - .address_space:  global
        .offset:         0
        .size:           8
        .value_kind:     global_buffer
      - .address_space:  global
        .offset:         8
        .size:           8
        .value_kind:     global_buffer
      - .offset:         16
        .size:           4
        .value_kind:     by_value
      - .offset:         20
        .size:           4
        .value_kind:     by_value
      - .offset:         24
        .size:           4
        .value_kind:     by_value
      - .offset:         28
        .size:           4
        .value_kind:     by_value
      - .offset:         32
        .size:           4
        .value_kind:     by_value
      - .offset:         36
        .size:           4
        .value_kind:     by_value
      - .offset:         40
        .size:           12
        .value_kind:     by_value
      - .offset:         52
        .size:           12
        .value_kind:     by_value
      - .offset:         64
        .size:           12
        .value_kind:     by_value
    .group_segment_fixed_size: 0
    .kernarg_segment_align: 8
    .kernarg_segment_size: 76
    .language:       OpenCL C
    .language_version:
      - 2
      - 0
    .max_flat_workgroup_size: 512
    .name:           _ZL33flash_attn_stream_k_fixup_uniformILi512ELi2ELi4EEvPfPK15HIP_vector_typeIfLj2EEiiiiiiS1_IjLj3EES5_S5_
    .private_segment_fixed_size: 0
    .sgpr_count:     22
    .sgpr_spill_count: 0
    .symbol:         _ZL33flash_attn_stream_k_fixup_uniformILi512ELi2ELi4EEvPfPK15HIP_vector_typeIfLj2EEiiiiiiS1_IjLj3EES5_S5_.kd
    .uniform_work_group_size: 1
    .uses_dynamic_stack: false
    .vgpr_count:     15
    .vgpr_spill_count: 0
    .wavefront_size: 32
    .workgroup_processor_mode: 1
  - .args:
      - .address_space:  global
        .offset:         0
        .size:           8
        .value_kind:     global_buffer
      - .address_space:  global
        .offset:         8
        .size:           8
        .value_kind:     global_buffer
      - .offset:         16
        .size:           4
        .value_kind:     by_value
      - .offset:         20
        .size:           4
        .value_kind:     by_value
      - .offset:         24
        .size:           4
        .value_kind:     by_value
      - .offset:         28
        .size:           4
        .value_kind:     by_value
      - .offset:         32
        .size:           12
        .value_kind:     by_value
      - .offset:         44
        .size:           12
        .value_kind:     by_value
      - .offset:         56
        .size:           12
        .value_kind:     by_value
      - .offset:         68
        .size:           12
        .value_kind:     by_value
      - .offset:         80
        .size:           4
        .value_kind:     hidden_block_count_x
      - .offset:         84
        .size:           4
        .value_kind:     hidden_block_count_y
      - .offset:         88
        .size:           4
        .value_kind:     hidden_block_count_z
      - .offset:         92
        .size:           2
        .value_kind:     hidden_group_size_x
      - .offset:         94
        .size:           2
        .value_kind:     hidden_group_size_y
      - .offset:         96
        .size:           2
        .value_kind:     hidden_group_size_z
      - .offset:         98
        .size:           2
        .value_kind:     hidden_remainder_x
      - .offset:         100
        .size:           2
        .value_kind:     hidden_remainder_y
      - .offset:         102
        .size:           2
        .value_kind:     hidden_remainder_z
      - .offset:         120
        .size:           8
        .value_kind:     hidden_global_offset_x
      - .offset:         128
        .size:           8
        .value_kind:     hidden_global_offset_y
      - .offset:         136
        .size:           8
        .value_kind:     hidden_global_offset_z
      - .offset:         144
        .size:           2
        .value_kind:     hidden_grid_dims
    .group_segment_fixed_size: 0
    .kernarg_segment_align: 8
    .kernarg_segment_size: 336
    .language:       OpenCL C
    .language_version:
      - 2
      - 0
    .max_flat_workgroup_size: 512
    .name:           _ZL33flash_attn_stream_k_fixup_generalILi512ELi2ELi4EEvPfPK15HIP_vector_typeIfLj2EEiiiiS1_IjLj3EES5_S5_S5_
    .private_segment_fixed_size: 0
    .sgpr_count:     34
    .sgpr_spill_count: 0
    .symbol:         _ZL33flash_attn_stream_k_fixup_generalILi512ELi2ELi4EEvPfPK15HIP_vector_typeIfLj2EEiiiiS1_IjLj3EES5_S5_S5_.kd
    .uniform_work_group_size: 1
    .uses_dynamic_stack: false
    .vgpr_count:     19
    .vgpr_spill_count: 0
    .wavefront_size: 32
    .workgroup_processor_mode: 1
  - .args:
      - .address_space:  global
        .offset:         0
        .size:           8
        .value_kind:     global_buffer
      - .address_space:  global
        .offset:         8
        .size:           8
        .value_kind:     global_buffer
      - .address_space:  global
        .offset:         16
        .size:           8
        .value_kind:     global_buffer
      - .address_space:  global
        .offset:         24
        .size:           8
        .value_kind:     global_buffer
      - .address_space:  global
        .offset:         32
        .size:           8
        .value_kind:     global_buffer
      - .address_space:  global
        .offset:         40
        .size:           8
        .value_kind:     global_buffer
      - .address_space:  global
        .offset:         48
        .size:           8
        .value_kind:     global_buffer
      - .address_space:  global
        .offset:         56
        .size:           8
        .value_kind:     global_buffer
      - .offset:         64
        .size:           4
        .value_kind:     by_value
      - .offset:         68
        .size:           4
        .value_kind:     by_value
      - .offset:         72
        .size:           4
        .value_kind:     by_value
      - .offset:         76
        .size:           4
        .value_kind:     by_value
      - .offset:         80
        .size:           4
        .value_kind:     by_value
      - .offset:         84
        .size:           4
        .value_kind:     by_value
      - .offset:         88
        .size:           4
        .value_kind:     by_value
      - .offset:         92
        .size:           12
        .value_kind:     by_value
      - .offset:         104
        .size:           4
        .value_kind:     by_value
      - .offset:         108
        .size:           4
        .value_kind:     by_value
      - .offset:         112
        .size:           4
        .value_kind:     by_value
      - .offset:         116
        .size:           4
        .value_kind:     by_value
      - .offset:         120
        .size:           4
        .value_kind:     by_value
      - .offset:         124
        .size:           4
        .value_kind:     by_value
      - .offset:         128
        .size:           4
        .value_kind:     by_value
      - .offset:         132
        .size:           4
        .value_kind:     by_value
      - .offset:         136
        .size:           4
        .value_kind:     by_value
      - .offset:         140
        .size:           4
        .value_kind:     by_value
      - .offset:         144
        .size:           4
        .value_kind:     by_value
      - .offset:         152
        .size:           8
        .value_kind:     by_value
      - .offset:         160
        .size:           4
        .value_kind:     by_value
      - .offset:         164
        .size:           4
        .value_kind:     by_value
      - .offset:         168
        .size:           8
        .value_kind:     by_value
      - .offset:         176
        .size:           4
        .value_kind:     by_value
      - .offset:         180
        .size:           4
        .value_kind:     by_value
      - .offset:         184
        .size:           4
        .value_kind:     by_value
      - .offset:         188
        .size:           4
        .value_kind:     by_value
      - .offset:         192
        .size:           4
        .value_kind:     by_value
      - .offset:         200
        .size:           8
        .value_kind:     by_value
      - .offset:         208
        .size:           4
        .value_kind:     hidden_block_count_x
      - .offset:         212
        .size:           4
        .value_kind:     hidden_block_count_y
      - .offset:         216
        .size:           4
        .value_kind:     hidden_block_count_z
      - .offset:         220
        .size:           2
        .value_kind:     hidden_group_size_x
      - .offset:         222
        .size:           2
        .value_kind:     hidden_group_size_y
      - .offset:         224
        .size:           2
        .value_kind:     hidden_group_size_z
      - .offset:         226
        .size:           2
        .value_kind:     hidden_remainder_x
      - .offset:         228
        .size:           2
        .value_kind:     hidden_remainder_y
      - .offset:         230
        .size:           2
        .value_kind:     hidden_remainder_z
      - .offset:         248
        .size:           8
        .value_kind:     hidden_global_offset_x
      - .offset:         256
        .size:           8
        .value_kind:     hidden_global_offset_y
      - .offset:         264
        .size:           8
        .value_kind:     hidden_global_offset_z
      - .offset:         272
        .size:           2
        .value_kind:     hidden_grid_dims
    .group_segment_fixed_size: 14336
    .kernarg_segment_align: 8
    .kernarg_segment_size: 464
    .language:       OpenCL C
    .language_version:
      - 2
      - 0
    .max_flat_workgroup_size: 128
    .name:           _ZL15flash_attn_tileILi576ELi512ELi1ELi4ELb0EEvPKcS1_S1_S1_S1_PKiPfP15HIP_vector_typeIfLj2EEffffjfiS5_IjLj3EEiiiiiiiiiiiliiliiiiil
    .private_segment_fixed_size: 0
    .sgpr_count:     43
    .sgpr_spill_count: 0
    .symbol:         _ZL15flash_attn_tileILi576ELi512ELi1ELi4ELb0EEvPKcS1_S1_S1_S1_PKiPfP15HIP_vector_typeIfLj2EEffffjfiS5_IjLj3EEiiiiiiiiiiiliiliiiiil.kd
    .uniform_work_group_size: 1
    .uses_dynamic_stack: false
    .vgpr_count:     172
    .vgpr_spill_count: 0
    .wavefront_size: 32
    .workgroup_processor_mode: 1
  - .args:
      - .address_space:  global
        .offset:         0
        .size:           8
        .value_kind:     global_buffer
      - .address_space:  global
        .offset:         8
        .size:           8
        .value_kind:     global_buffer
      - .offset:         16
        .size:           4
        .value_kind:     by_value
      - .offset:         20
        .size:           4
        .value_kind:     by_value
      - .offset:         24
        .size:           4
        .value_kind:     by_value
      - .offset:         28
        .size:           4
        .value_kind:     by_value
      - .offset:         32
        .size:           4
        .value_kind:     by_value
      - .offset:         36
        .size:           4
        .value_kind:     by_value
      - .offset:         40
        .size:           12
        .value_kind:     by_value
      - .offset:         52
        .size:           12
        .value_kind:     by_value
      - .offset:         64
        .size:           12
        .value_kind:     by_value
    .group_segment_fixed_size: 0
    .kernarg_segment_align: 8
    .kernarg_segment_size: 76
    .language:       OpenCL C
    .language_version:
      - 2
      - 0
    .max_flat_workgroup_size: 512
    .name:           _ZL33flash_attn_stream_k_fixup_uniformILi512ELi1ELi4EEvPfPK15HIP_vector_typeIfLj2EEiiiiiiS1_IjLj3EES5_S5_
    .private_segment_fixed_size: 0
    .sgpr_count:     22
    .sgpr_spill_count: 0
    .symbol:         _ZL33flash_attn_stream_k_fixup_uniformILi512ELi1ELi4EEvPfPK15HIP_vector_typeIfLj2EEiiiiiiS1_IjLj3EES5_S5_.kd
    .uniform_work_group_size: 1
    .uses_dynamic_stack: false
    .vgpr_count:     15
    .vgpr_spill_count: 0
    .wavefront_size: 32
    .workgroup_processor_mode: 1
  - .args:
      - .address_space:  global
        .offset:         0
        .size:           8
        .value_kind:     global_buffer
      - .address_space:  global
        .offset:         8
        .size:           8
        .value_kind:     global_buffer
      - .offset:         16
        .size:           4
        .value_kind:     by_value
      - .offset:         20
        .size:           4
        .value_kind:     by_value
      - .offset:         24
        .size:           4
        .value_kind:     by_value
      - .offset:         28
        .size:           4
        .value_kind:     by_value
      - .offset:         32
        .size:           12
        .value_kind:     by_value
      - .offset:         44
        .size:           12
        .value_kind:     by_value
      - .offset:         56
        .size:           12
        .value_kind:     by_value
      - .offset:         68
        .size:           12
        .value_kind:     by_value
      - .offset:         80
        .size:           4
        .value_kind:     hidden_block_count_x
      - .offset:         84
        .size:           4
        .value_kind:     hidden_block_count_y
      - .offset:         88
        .size:           4
        .value_kind:     hidden_block_count_z
      - .offset:         92
        .size:           2
        .value_kind:     hidden_group_size_x
      - .offset:         94
        .size:           2
        .value_kind:     hidden_group_size_y
      - .offset:         96
        .size:           2
        .value_kind:     hidden_group_size_z
      - .offset:         98
        .size:           2
        .value_kind:     hidden_remainder_x
      - .offset:         100
        .size:           2
        .value_kind:     hidden_remainder_y
      - .offset:         102
        .size:           2
        .value_kind:     hidden_remainder_z
      - .offset:         120
        .size:           8
        .value_kind:     hidden_global_offset_x
      - .offset:         128
        .size:           8
        .value_kind:     hidden_global_offset_y
      - .offset:         136
        .size:           8
        .value_kind:     hidden_global_offset_z
      - .offset:         144
        .size:           2
        .value_kind:     hidden_grid_dims
    .group_segment_fixed_size: 0
    .kernarg_segment_align: 8
    .kernarg_segment_size: 336
    .language:       OpenCL C
    .language_version:
      - 2
      - 0
    .max_flat_workgroup_size: 512
    .name:           _ZL33flash_attn_stream_k_fixup_generalILi512ELi1ELi4EEvPfPK15HIP_vector_typeIfLj2EEiiiiS1_IjLj3EES5_S5_S5_
    .private_segment_fixed_size: 0
    .sgpr_count:     34
    .sgpr_spill_count: 0
    .symbol:         _ZL33flash_attn_stream_k_fixup_generalILi512ELi1ELi4EEvPfPK15HIP_vector_typeIfLj2EEiiiiS1_IjLj3EES5_S5_S5_.kd
    .uniform_work_group_size: 1
    .uses_dynamic_stack: false
    .vgpr_count:     19
    .vgpr_spill_count: 0
    .wavefront_size: 32
    .workgroup_processor_mode: 1
  - .args:
      - .address_space:  global
        .offset:         0
        .size:           8
        .value_kind:     global_buffer
      - .address_space:  global
        .offset:         8
        .size:           8
        .value_kind:     global_buffer
      - .address_space:  global
        .offset:         16
        .size:           8
        .value_kind:     global_buffer
      - .address_space:  global
        .offset:         24
        .size:           8
        .value_kind:     global_buffer
      - .address_space:  global
        .offset:         32
        .size:           8
        .value_kind:     global_buffer
      - .address_space:  global
        .offset:         40
        .size:           8
        .value_kind:     global_buffer
      - .address_space:  global
        .offset:         48
        .size:           8
        .value_kind:     global_buffer
      - .address_space:  global
        .offset:         56
        .size:           8
        .value_kind:     global_buffer
      - .offset:         64
        .size:           4
        .value_kind:     by_value
      - .offset:         68
        .size:           4
        .value_kind:     by_value
      - .offset:         72
        .size:           4
        .value_kind:     by_value
      - .offset:         76
        .size:           4
        .value_kind:     by_value
      - .offset:         80
        .size:           4
        .value_kind:     by_value
      - .offset:         84
        .size:           4
        .value_kind:     by_value
      - .offset:         88
        .size:           4
        .value_kind:     by_value
      - .offset:         92
        .size:           12
        .value_kind:     by_value
      - .offset:         104
        .size:           4
        .value_kind:     by_value
      - .offset:         108
        .size:           4
        .value_kind:     by_value
      - .offset:         112
        .size:           4
        .value_kind:     by_value
      - .offset:         116
        .size:           4
        .value_kind:     by_value
      - .offset:         120
        .size:           4
        .value_kind:     by_value
      - .offset:         124
        .size:           4
        .value_kind:     by_value
      - .offset:         128
        .size:           4
        .value_kind:     by_value
      - .offset:         132
        .size:           4
        .value_kind:     by_value
      - .offset:         136
        .size:           4
        .value_kind:     by_value
      - .offset:         140
        .size:           4
        .value_kind:     by_value
      - .offset:         144
        .size:           4
        .value_kind:     by_value
      - .offset:         152
        .size:           8
        .value_kind:     by_value
      - .offset:         160
        .size:           4
        .value_kind:     by_value
      - .offset:         164
        .size:           4
        .value_kind:     by_value
      - .offset:         168
        .size:           8
        .value_kind:     by_value
      - .offset:         176
        .size:           4
        .value_kind:     by_value
      - .offset:         180
        .size:           4
        .value_kind:     by_value
      - .offset:         184
        .size:           4
        .value_kind:     by_value
      - .offset:         188
        .size:           4
        .value_kind:     by_value
      - .offset:         192
        .size:           4
        .value_kind:     by_value
      - .offset:         200
        .size:           8
        .value_kind:     by_value
      - .offset:         208
        .size:           4
        .value_kind:     hidden_block_count_x
      - .offset:         212
        .size:           4
        .value_kind:     hidden_block_count_y
      - .offset:         216
        .size:           4
        .value_kind:     hidden_block_count_z
      - .offset:         220
        .size:           2
        .value_kind:     hidden_group_size_x
      - .offset:         222
        .size:           2
        .value_kind:     hidden_group_size_y
      - .offset:         224
        .size:           2
        .value_kind:     hidden_group_size_z
      - .offset:         226
        .size:           2
        .value_kind:     hidden_remainder_x
      - .offset:         228
        .size:           2
        .value_kind:     hidden_remainder_y
      - .offset:         230
        .size:           2
        .value_kind:     hidden_remainder_z
      - .offset:         248
        .size:           8
        .value_kind:     hidden_global_offset_x
      - .offset:         256
        .size:           8
        .value_kind:     hidden_global_offset_y
      - .offset:         264
        .size:           8
        .value_kind:     hidden_global_offset_z
      - .offset:         272
        .size:           2
        .value_kind:     hidden_grid_dims
    .group_segment_fixed_size: 63488
    .kernarg_segment_align: 8
    .kernarg_segment_size: 464
    .language:       OpenCL C
    .language_version:
      - 2
      - 0
    .max_flat_workgroup_size: 256
    .name:           _ZL15flash_attn_tileILi576ELi512ELi2ELi16ELb1EEvPKcS1_S1_S1_S1_PKiPfP15HIP_vector_typeIfLj2EEffffjfiS5_IjLj3EEiiiiiiiiiiiliiliiiiil
    .private_segment_fixed_size: 0
    .sgpr_count:     42
    .sgpr_spill_count: 0
    .symbol:         _ZL15flash_attn_tileILi576ELi512ELi2ELi16ELb1EEvPKcS1_S1_S1_S1_PKiPfP15HIP_vector_typeIfLj2EEffffjfiS5_IjLj3EEiiiiiiiiiiiliiliiiiil.kd
    .uniform_work_group_size: 1
    .uses_dynamic_stack: false
    .vgpr_count:     209
    .vgpr_spill_count: 0
    .wavefront_size: 32
    .workgroup_processor_mode: 1
  - .args:
      - .address_space:  global
        .offset:         0
        .size:           8
        .value_kind:     global_buffer
      - .address_space:  global
        .offset:         8
        .size:           8
        .value_kind:     global_buffer
      - .address_space:  global
        .offset:         16
        .size:           8
        .value_kind:     global_buffer
      - .address_space:  global
        .offset:         24
        .size:           8
        .value_kind:     global_buffer
      - .address_space:  global
        .offset:         32
        .size:           8
        .value_kind:     global_buffer
      - .address_space:  global
        .offset:         40
        .size:           8
        .value_kind:     global_buffer
      - .address_space:  global
        .offset:         48
        .size:           8
        .value_kind:     global_buffer
      - .address_space:  global
        .offset:         56
        .size:           8
        .value_kind:     global_buffer
      - .offset:         64
        .size:           4
        .value_kind:     by_value
      - .offset:         68
        .size:           4
        .value_kind:     by_value
      - .offset:         72
        .size:           4
        .value_kind:     by_value
      - .offset:         76
        .size:           4
        .value_kind:     by_value
      - .offset:         80
        .size:           4
        .value_kind:     by_value
      - .offset:         84
        .size:           4
        .value_kind:     by_value
      - .offset:         88
        .size:           4
        .value_kind:     by_value
      - .offset:         92
        .size:           12
        .value_kind:     by_value
      - .offset:         104
        .size:           4
        .value_kind:     by_value
      - .offset:         108
        .size:           4
        .value_kind:     by_value
      - .offset:         112
        .size:           4
        .value_kind:     by_value
      - .offset:         116
        .size:           4
        .value_kind:     by_value
      - .offset:         120
        .size:           4
        .value_kind:     by_value
      - .offset:         124
        .size:           4
        .value_kind:     by_value
      - .offset:         128
        .size:           4
        .value_kind:     by_value
      - .offset:         132
        .size:           4
        .value_kind:     by_value
      - .offset:         136
        .size:           4
        .value_kind:     by_value
      - .offset:         140
        .size:           4
        .value_kind:     by_value
      - .offset:         144
        .size:           4
        .value_kind:     by_value
      - .offset:         152
        .size:           8
        .value_kind:     by_value
      - .offset:         160
        .size:           4
        .value_kind:     by_value
      - .offset:         164
        .size:           4
        .value_kind:     by_value
      - .offset:         168
        .size:           8
        .value_kind:     by_value
      - .offset:         176
        .size:           4
        .value_kind:     by_value
      - .offset:         180
        .size:           4
        .value_kind:     by_value
      - .offset:         184
        .size:           4
        .value_kind:     by_value
      - .offset:         188
        .size:           4
        .value_kind:     by_value
      - .offset:         192
        .size:           4
        .value_kind:     by_value
      - .offset:         200
        .size:           8
        .value_kind:     by_value
      - .offset:         208
        .size:           4
        .value_kind:     hidden_block_count_x
      - .offset:         212
        .size:           4
        .value_kind:     hidden_block_count_y
      - .offset:         216
        .size:           4
        .value_kind:     hidden_block_count_z
      - .offset:         220
        .size:           2
        .value_kind:     hidden_group_size_x
      - .offset:         222
        .size:           2
        .value_kind:     hidden_group_size_y
      - .offset:         224
        .size:           2
        .value_kind:     hidden_group_size_z
      - .offset:         226
        .size:           2
        .value_kind:     hidden_remainder_x
      - .offset:         228
        .size:           2
        .value_kind:     hidden_remainder_y
      - .offset:         230
        .size:           2
        .value_kind:     hidden_remainder_z
      - .offset:         248
        .size:           8
        .value_kind:     hidden_global_offset_x
      - .offset:         256
        .size:           8
        .value_kind:     hidden_global_offset_y
      - .offset:         264
        .size:           8
        .value_kind:     hidden_global_offset_z
      - .offset:         272
        .size:           2
        .value_kind:     hidden_grid_dims
    .group_segment_fixed_size: 29696
    .kernarg_segment_align: 8
    .kernarg_segment_size: 464
    .language:       OpenCL C
    .language_version:
      - 2
      - 0
    .max_flat_workgroup_size: 256
    .name:           _ZL15flash_attn_tileILi576ELi512ELi1ELi16ELb1EEvPKcS1_S1_S1_S1_PKiPfP15HIP_vector_typeIfLj2EEffffjfiS5_IjLj3EEiiiiiiiiiiiliiliiiiil
    .private_segment_fixed_size: 0
    .sgpr_count:     42
    .sgpr_spill_count: 0
    .symbol:         _ZL15flash_attn_tileILi576ELi512ELi1ELi16ELb1EEvPKcS1_S1_S1_S1_PKiPfP15HIP_vector_typeIfLj2EEffffjfiS5_IjLj3EEiiiiiiiiiiiliiliiiiil.kd
    .uniform_work_group_size: 1
    .uses_dynamic_stack: false
    .vgpr_count:     241
    .vgpr_spill_count: 0
    .wavefront_size: 32
    .workgroup_processor_mode: 1
  - .args:
      - .address_space:  global
        .offset:         0
        .size:           8
        .value_kind:     global_buffer
      - .address_space:  global
        .offset:         8
        .size:           8
        .value_kind:     global_buffer
      - .address_space:  global
        .offset:         16
        .size:           8
        .value_kind:     global_buffer
      - .address_space:  global
        .offset:         24
        .size:           8
        .value_kind:     global_buffer
      - .address_space:  global
        .offset:         32
        .size:           8
        .value_kind:     global_buffer
      - .address_space:  global
        .offset:         40
        .size:           8
        .value_kind:     global_buffer
      - .address_space:  global
        .offset:         48
        .size:           8
        .value_kind:     global_buffer
      - .address_space:  global
        .offset:         56
        .size:           8
        .value_kind:     global_buffer
      - .offset:         64
        .size:           4
        .value_kind:     by_value
      - .offset:         68
        .size:           4
        .value_kind:     by_value
      - .offset:         72
        .size:           4
        .value_kind:     by_value
      - .offset:         76
        .size:           4
        .value_kind:     by_value
      - .offset:         80
        .size:           4
        .value_kind:     by_value
      - .offset:         84
        .size:           4
        .value_kind:     by_value
      - .offset:         88
        .size:           4
        .value_kind:     by_value
      - .offset:         92
        .size:           12
        .value_kind:     by_value
      - .offset:         104
        .size:           4
        .value_kind:     by_value
      - .offset:         108
        .size:           4
        .value_kind:     by_value
      - .offset:         112
        .size:           4
        .value_kind:     by_value
      - .offset:         116
        .size:           4
        .value_kind:     by_value
      - .offset:         120
        .size:           4
        .value_kind:     by_value
      - .offset:         124
        .size:           4
        .value_kind:     by_value
      - .offset:         128
        .size:           4
        .value_kind:     by_value
      - .offset:         132
        .size:           4
        .value_kind:     by_value
      - .offset:         136
        .size:           4
        .value_kind:     by_value
      - .offset:         140
        .size:           4
        .value_kind:     by_value
      - .offset:         144
        .size:           4
        .value_kind:     by_value
      - .offset:         152
        .size:           8
        .value_kind:     by_value
      - .offset:         160
        .size:           4
        .value_kind:     by_value
      - .offset:         164
        .size:           4
        .value_kind:     by_value
      - .offset:         168
        .size:           8
        .value_kind:     by_value
      - .offset:         176
        .size:           4
        .value_kind:     by_value
      - .offset:         180
        .size:           4
        .value_kind:     by_value
      - .offset:         184
        .size:           4
        .value_kind:     by_value
      - .offset:         188
        .size:           4
        .value_kind:     by_value
      - .offset:         192
        .size:           4
        .value_kind:     by_value
      - .offset:         200
        .size:           8
        .value_kind:     by_value
      - .offset:         208
        .size:           4
        .value_kind:     hidden_block_count_x
      - .offset:         212
        .size:           4
        .value_kind:     hidden_block_count_y
      - .offset:         216
        .size:           4
        .value_kind:     hidden_block_count_z
      - .offset:         220
        .size:           2
        .value_kind:     hidden_group_size_x
      - .offset:         222
        .size:           2
        .value_kind:     hidden_group_size_y
      - .offset:         224
        .size:           2
        .value_kind:     hidden_group_size_z
      - .offset:         226
        .size:           2
        .value_kind:     hidden_remainder_x
      - .offset:         228
        .size:           2
        .value_kind:     hidden_remainder_y
      - .offset:         230
        .size:           2
        .value_kind:     hidden_remainder_z
      - .offset:         248
        .size:           8
        .value_kind:     hidden_global_offset_x
      - .offset:         256
        .size:           8
        .value_kind:     hidden_global_offset_y
      - .offset:         264
        .size:           8
        .value_kind:     hidden_global_offset_z
      - .offset:         272
        .size:           2
        .value_kind:     hidden_grid_dims
    .group_segment_fixed_size: 63488
    .kernarg_segment_align: 8
    .kernarg_segment_size: 464
    .language:       OpenCL C
    .language_version:
      - 2
      - 0
    .max_flat_workgroup_size: 256
    .name:           _ZL15flash_attn_tileILi576ELi512ELi8ELi4ELb1EEvPKcS1_S1_S1_S1_PKiPfP15HIP_vector_typeIfLj2EEffffjfiS5_IjLj3EEiiiiiiiiiiiliiliiiiil
    .private_segment_fixed_size: 0
    .sgpr_count:     42
    .sgpr_spill_count: 0
    .symbol:         _ZL15flash_attn_tileILi576ELi512ELi8ELi4ELb1EEvPKcS1_S1_S1_S1_PKiPfP15HIP_vector_typeIfLj2EEffffjfiS5_IjLj3EEiiiiiiiiiiiliiliiiiil.kd
    .uniform_work_group_size: 1
    .uses_dynamic_stack: false
    .vgpr_count:     208
    .vgpr_spill_count: 0
    .wavefront_size: 32
    .workgroup_processor_mode: 1
  - .args:
      - .address_space:  global
        .offset:         0
        .size:           8
        .value_kind:     global_buffer
      - .address_space:  global
        .offset:         8
        .size:           8
        .value_kind:     global_buffer
      - .address_space:  global
        .offset:         16
        .size:           8
        .value_kind:     global_buffer
      - .address_space:  global
        .offset:         24
        .size:           8
        .value_kind:     global_buffer
      - .address_space:  global
        .offset:         32
        .size:           8
        .value_kind:     global_buffer
      - .address_space:  global
        .offset:         40
        .size:           8
        .value_kind:     global_buffer
      - .address_space:  global
        .offset:         48
        .size:           8
        .value_kind:     global_buffer
      - .address_space:  global
        .offset:         56
        .size:           8
        .value_kind:     global_buffer
      - .offset:         64
        .size:           4
        .value_kind:     by_value
      - .offset:         68
        .size:           4
        .value_kind:     by_value
      - .offset:         72
        .size:           4
        .value_kind:     by_value
      - .offset:         76
        .size:           4
        .value_kind:     by_value
      - .offset:         80
        .size:           4
        .value_kind:     by_value
      - .offset:         84
        .size:           4
        .value_kind:     by_value
      - .offset:         88
        .size:           4
        .value_kind:     by_value
      - .offset:         92
        .size:           12
        .value_kind:     by_value
      - .offset:         104
        .size:           4
        .value_kind:     by_value
      - .offset:         108
        .size:           4
        .value_kind:     by_value
      - .offset:         112
        .size:           4
        .value_kind:     by_value
      - .offset:         116
        .size:           4
        .value_kind:     by_value
      - .offset:         120
        .size:           4
        .value_kind:     by_value
      - .offset:         124
        .size:           4
        .value_kind:     by_value
      - .offset:         128
        .size:           4
        .value_kind:     by_value
      - .offset:         132
        .size:           4
        .value_kind:     by_value
      - .offset:         136
        .size:           4
        .value_kind:     by_value
      - .offset:         140
        .size:           4
        .value_kind:     by_value
      - .offset:         144
        .size:           4
        .value_kind:     by_value
      - .offset:         152
        .size:           8
        .value_kind:     by_value
      - .offset:         160
        .size:           4
        .value_kind:     by_value
      - .offset:         164
        .size:           4
        .value_kind:     by_value
      - .offset:         168
        .size:           8
        .value_kind:     by_value
      - .offset:         176
        .size:           4
        .value_kind:     by_value
      - .offset:         180
        .size:           4
        .value_kind:     by_value
      - .offset:         184
        .size:           4
        .value_kind:     by_value
      - .offset:         188
        .size:           4
        .value_kind:     by_value
      - .offset:         192
        .size:           4
        .value_kind:     by_value
      - .offset:         200
        .size:           8
        .value_kind:     by_value
      - .offset:         208
        .size:           4
        .value_kind:     hidden_block_count_x
      - .offset:         212
        .size:           4
        .value_kind:     hidden_block_count_y
      - .offset:         216
        .size:           4
        .value_kind:     hidden_block_count_z
      - .offset:         220
        .size:           2
        .value_kind:     hidden_group_size_x
      - .offset:         222
        .size:           2
        .value_kind:     hidden_group_size_y
      - .offset:         224
        .size:           2
        .value_kind:     hidden_group_size_z
      - .offset:         226
        .size:           2
        .value_kind:     hidden_remainder_x
      - .offset:         228
        .size:           2
        .value_kind:     hidden_remainder_y
      - .offset:         230
        .size:           2
        .value_kind:     hidden_remainder_z
      - .offset:         248
        .size:           8
        .value_kind:     hidden_global_offset_x
      - .offset:         256
        .size:           8
        .value_kind:     hidden_global_offset_y
      - .offset:         264
        .size:           8
        .value_kind:     hidden_global_offset_z
      - .offset:         272
        .size:           2
        .value_kind:     hidden_grid_dims
    .group_segment_fixed_size: 29696
    .kernarg_segment_align: 8
    .kernarg_segment_size: 464
    .language:       OpenCL C
    .language_version:
      - 2
      - 0
    .max_flat_workgroup_size: 256
    .name:           _ZL15flash_attn_tileILi576ELi512ELi4ELi4ELb1EEvPKcS1_S1_S1_S1_PKiPfP15HIP_vector_typeIfLj2EEffffjfiS5_IjLj3EEiiiiiiiiiiiliiliiiiil
    .private_segment_fixed_size: 0
    .sgpr_count:     42
    .sgpr_spill_count: 0
    .symbol:         _ZL15flash_attn_tileILi576ELi512ELi4ELi4ELb1EEvPKcS1_S1_S1_S1_PKiPfP15HIP_vector_typeIfLj2EEffffjfiS5_IjLj3EEiiiiiiiiiiiliiliiiiil.kd
    .uniform_work_group_size: 1
    .uses_dynamic_stack: false
    .vgpr_count:     241
    .vgpr_spill_count: 0
    .wavefront_size: 32
    .workgroup_processor_mode: 1
  - .args:
      - .address_space:  global
        .offset:         0
        .size:           8
        .value_kind:     global_buffer
      - .address_space:  global
        .offset:         8
        .size:           8
        .value_kind:     global_buffer
      - .address_space:  global
        .offset:         16
        .size:           8
        .value_kind:     global_buffer
      - .address_space:  global
        .offset:         24
        .size:           8
        .value_kind:     global_buffer
      - .address_space:  global
        .offset:         32
        .size:           8
        .value_kind:     global_buffer
      - .address_space:  global
        .offset:         40
        .size:           8
        .value_kind:     global_buffer
      - .address_space:  global
        .offset:         48
        .size:           8
        .value_kind:     global_buffer
      - .address_space:  global
        .offset:         56
        .size:           8
        .value_kind:     global_buffer
      - .offset:         64
        .size:           4
        .value_kind:     by_value
      - .offset:         68
        .size:           4
        .value_kind:     by_value
      - .offset:         72
        .size:           4
        .value_kind:     by_value
      - .offset:         76
        .size:           4
        .value_kind:     by_value
      - .offset:         80
        .size:           4
        .value_kind:     by_value
      - .offset:         84
        .size:           4
        .value_kind:     by_value
      - .offset:         88
        .size:           4
        .value_kind:     by_value
      - .offset:         92
        .size:           12
        .value_kind:     by_value
      - .offset:         104
        .size:           4
        .value_kind:     by_value
      - .offset:         108
        .size:           4
        .value_kind:     by_value
      - .offset:         112
        .size:           4
        .value_kind:     by_value
      - .offset:         116
        .size:           4
        .value_kind:     by_value
      - .offset:         120
        .size:           4
        .value_kind:     by_value
      - .offset:         124
        .size:           4
        .value_kind:     by_value
      - .offset:         128
        .size:           4
        .value_kind:     by_value
      - .offset:         132
        .size:           4
        .value_kind:     by_value
      - .offset:         136
        .size:           4
        .value_kind:     by_value
      - .offset:         140
        .size:           4
        .value_kind:     by_value
      - .offset:         144
        .size:           4
        .value_kind:     by_value
      - .offset:         152
        .size:           8
        .value_kind:     by_value
      - .offset:         160
        .size:           4
        .value_kind:     by_value
      - .offset:         164
        .size:           4
        .value_kind:     by_value
      - .offset:         168
        .size:           8
        .value_kind:     by_value
      - .offset:         176
        .size:           4
        .value_kind:     by_value
      - .offset:         180
        .size:           4
        .value_kind:     by_value
      - .offset:         184
        .size:           4
        .value_kind:     by_value
      - .offset:         188
        .size:           4
        .value_kind:     by_value
      - .offset:         192
        .size:           4
        .value_kind:     by_value
      - .offset:         200
        .size:           8
        .value_kind:     by_value
      - .offset:         208
        .size:           4
        .value_kind:     hidden_block_count_x
      - .offset:         212
        .size:           4
        .value_kind:     hidden_block_count_y
      - .offset:         216
        .size:           4
        .value_kind:     hidden_block_count_z
      - .offset:         220
        .size:           2
        .value_kind:     hidden_group_size_x
      - .offset:         222
        .size:           2
        .value_kind:     hidden_group_size_y
      - .offset:         224
        .size:           2
        .value_kind:     hidden_group_size_z
      - .offset:         226
        .size:           2
        .value_kind:     hidden_remainder_x
      - .offset:         228
        .size:           2
        .value_kind:     hidden_remainder_y
      - .offset:         230
        .size:           2
        .value_kind:     hidden_remainder_z
      - .offset:         248
        .size:           8
        .value_kind:     hidden_global_offset_x
      - .offset:         256
        .size:           8
        .value_kind:     hidden_global_offset_y
      - .offset:         264
        .size:           8
        .value_kind:     hidden_global_offset_z
      - .offset:         272
        .size:           2
        .value_kind:     hidden_grid_dims
    .group_segment_fixed_size: 19456
    .kernarg_segment_align: 8
    .kernarg_segment_size: 464
    .language:       OpenCL C
    .language_version:
      - 2
      - 0
    .max_flat_workgroup_size: 256
    .name:           _ZL15flash_attn_tileILi576ELi512ELi2ELi4ELb1EEvPKcS1_S1_S1_S1_PKiPfP15HIP_vector_typeIfLj2EEffffjfiS5_IjLj3EEiiiiiiiiiiiliiliiiiil
    .private_segment_fixed_size: 0
    .sgpr_count:     42
    .sgpr_spill_count: 0
    .symbol:         _ZL15flash_attn_tileILi576ELi512ELi2ELi4ELb1EEvPKcS1_S1_S1_S1_PKiPfP15HIP_vector_typeIfLj2EEffffjfiS5_IjLj3EEiiiiiiiiiiiliiliiiiil.kd
    .uniform_work_group_size: 1
    .uses_dynamic_stack: false
    .vgpr_count:     151
    .vgpr_spill_count: 0
    .wavefront_size: 32
    .workgroup_processor_mode: 1
  - .args:
      - .address_space:  global
        .offset:         0
        .size:           8
        .value_kind:     global_buffer
      - .address_space:  global
        .offset:         8
        .size:           8
        .value_kind:     global_buffer
      - .address_space:  global
        .offset:         16
        .size:           8
        .value_kind:     global_buffer
      - .address_space:  global
        .offset:         24
        .size:           8
        .value_kind:     global_buffer
      - .address_space:  global
        .offset:         32
        .size:           8
        .value_kind:     global_buffer
      - .address_space:  global
        .offset:         40
        .size:           8
        .value_kind:     global_buffer
      - .address_space:  global
        .offset:         48
        .size:           8
        .value_kind:     global_buffer
      - .address_space:  global
        .offset:         56
        .size:           8
        .value_kind:     global_buffer
      - .offset:         64
        .size:           4
        .value_kind:     by_value
      - .offset:         68
        .size:           4
        .value_kind:     by_value
      - .offset:         72
        .size:           4
        .value_kind:     by_value
      - .offset:         76
        .size:           4
        .value_kind:     by_value
      - .offset:         80
        .size:           4
        .value_kind:     by_value
      - .offset:         84
        .size:           4
        .value_kind:     by_value
      - .offset:         88
        .size:           4
        .value_kind:     by_value
      - .offset:         92
        .size:           12
        .value_kind:     by_value
      - .offset:         104
        .size:           4
        .value_kind:     by_value
      - .offset:         108
        .size:           4
        .value_kind:     by_value
      - .offset:         112
        .size:           4
        .value_kind:     by_value
      - .offset:         116
        .size:           4
        .value_kind:     by_value
      - .offset:         120
        .size:           4
        .value_kind:     by_value
      - .offset:         124
        .size:           4
        .value_kind:     by_value
      - .offset:         128
        .size:           4
        .value_kind:     by_value
      - .offset:         132
        .size:           4
        .value_kind:     by_value
      - .offset:         136
        .size:           4
        .value_kind:     by_value
      - .offset:         140
        .size:           4
        .value_kind:     by_value
      - .offset:         144
        .size:           4
        .value_kind:     by_value
      - .offset:         152
        .size:           8
        .value_kind:     by_value
      - .offset:         160
        .size:           4
        .value_kind:     by_value
      - .offset:         164
        .size:           4
        .value_kind:     by_value
      - .offset:         168
        .size:           8
        .value_kind:     by_value
      - .offset:         176
        .size:           4
        .value_kind:     by_value
      - .offset:         180
        .size:           4
        .value_kind:     by_value
      - .offset:         184
        .size:           4
        .value_kind:     by_value
      - .offset:         188
        .size:           4
        .value_kind:     by_value
      - .offset:         192
        .size:           4
        .value_kind:     by_value
      - .offset:         200
        .size:           8
        .value_kind:     by_value
      - .offset:         208
        .size:           4
        .value_kind:     hidden_block_count_x
      - .offset:         212
        .size:           4
        .value_kind:     hidden_block_count_y
      - .offset:         216
        .size:           4
        .value_kind:     hidden_block_count_z
      - .offset:         220
        .size:           2
        .value_kind:     hidden_group_size_x
      - .offset:         222
        .size:           2
        .value_kind:     hidden_group_size_y
      - .offset:         224
        .size:           2
        .value_kind:     hidden_group_size_z
      - .offset:         226
        .size:           2
        .value_kind:     hidden_remainder_x
      - .offset:         228
        .size:           2
        .value_kind:     hidden_remainder_y
      - .offset:         230
        .size:           2
        .value_kind:     hidden_remainder_z
      - .offset:         248
        .size:           8
        .value_kind:     hidden_global_offset_x
      - .offset:         256
        .size:           8
        .value_kind:     hidden_global_offset_y
      - .offset:         264
        .size:           8
        .value_kind:     hidden_global_offset_z
      - .offset:         272
        .size:           2
        .value_kind:     hidden_grid_dims
    .group_segment_fixed_size: 14336
    .kernarg_segment_align: 8
    .kernarg_segment_size: 464
    .language:       OpenCL C
    .language_version:
      - 2
      - 0
    .max_flat_workgroup_size: 128
    .name:           _ZL15flash_attn_tileILi576ELi512ELi1ELi4ELb1EEvPKcS1_S1_S1_S1_PKiPfP15HIP_vector_typeIfLj2EEffffjfiS5_IjLj3EEiiiiiiiiiiiliiliiiiil
    .private_segment_fixed_size: 0
    .sgpr_count:     43
    .sgpr_spill_count: 0
    .symbol:         _ZL15flash_attn_tileILi576ELi512ELi1ELi4ELb1EEvPKcS1_S1_S1_S1_PKiPfP15HIP_vector_typeIfLj2EEffffjfiS5_IjLj3EEiiiiiiiiiiiliiliiiiil.kd
    .uniform_work_group_size: 1
    .uses_dynamic_stack: false
    .vgpr_count:     214
    .vgpr_spill_count: 0
    .wavefront_size: 32
    .workgroup_processor_mode: 1
amdhsa.target:   amdgcn-amd-amdhsa--gfx1100
amdhsa.version:
  - 1
  - 2
...

	.end_amdgpu_metadata
